;; amdgpu-corpus repo=vllm-project/vllm kind=compiled arch=gfx1100 opt=O3
	.text
	.amdgcn_target "amdgcn-amd-amdhsa--gfx1100"
	.amdhsa_code_object_version 6
	.section	.text._Z33per_token_group_quant_8bit_kernelIfaLb1ELb1EfEvPKT_PvPT3_iiifffii,"axG",@progbits,_Z33per_token_group_quant_8bit_kernelIfaLb1ELb1EfEvPKT_PvPT3_iiifffii,comdat
	.protected	_Z33per_token_group_quant_8bit_kernelIfaLb1ELb1EfEvPKT_PvPT3_iiifffii ; -- Begin function _Z33per_token_group_quant_8bit_kernelIfaLb1ELb1EfEvPKT_PvPT3_iiifffii
	.globl	_Z33per_token_group_quant_8bit_kernelIfaLb1ELb1EfEvPKT_PvPT3_iiifffii
	.p2align	8
	.type	_Z33per_token_group_quant_8bit_kernelIfaLb1ELb1EfEvPKT_PvPT3_iiifffii,@function
_Z33per_token_group_quant_8bit_kernelIfaLb1ELb1EfEvPKT_PvPT3_iiifffii: ; @_Z33per_token_group_quant_8bit_kernelIfaLb1ELb1EfEvPKT_PvPT3_iiifffii
; %bb.0:
	s_clause 0x1
	s_load_b128 s[4:7], s[0:1], 0x20
	s_load_b32 s14, s[0:1], 0x18
	v_lshrrev_b32_e32 v7, 4, v0
	s_clause 0x1
	s_load_b64 s[2:3], s[0:1], 0x30
	s_load_b64 s[8:9], s[0:1], 0x0
	v_and_b32_e32 v9, 15, v0
                                        ; implicit-def: $vgpr13
	s_waitcnt lgkmcnt(0)
	s_mul_i32 s15, s15, s4
	v_mul_lo_u32 v10, v7, s14
	v_add_co_u32 v11, s4, s15, v7
	s_delay_alu instid0(VALU_DEP_1) | instskip(SKIP_1) | instid1(VALU_DEP_2)
	v_add_co_ci_u32_e64 v12, null, 0, 0, s4
	s_ashr_i32 s4, s14, 31
	v_mad_u64_u32 v[1:2], null, v11, s14, 0
	s_delay_alu instid0(VALU_DEP_2)
	v_mul_lo_u32 v3, v12, s14
	v_mul_lo_u32 v4, v11, s4
	s_and_b32 s4, s14, 3
	v_lshl_add_u32 v0, v10, 2, 0
	s_cmp_eq_u32 s4, 0
	s_cselect_b32 s15, -1, 0
	s_cmp_lg_u32 s4, 0
	s_delay_alu instid0(VALU_DEP_2) | instskip(SKIP_1) | instid1(VALU_DEP_1)
	v_add3_u32 v2, v2, v4, v3
	s_cselect_b32 s4, -1, 0
	v_lshlrev_b64 v[3:4], 2, v[1:2]
	s_delay_alu instid0(VALU_DEP_1) | instskip(SKIP_1) | instid1(VALU_DEP_3)
	v_add_co_u32 v5, vcc_lo, s8, v3
	v_mov_b32_e32 v8, 0
	v_add_co_ci_u32_e32 v6, vcc_lo, s9, v4, vcc_lo
	s_delay_alu instid0(VALU_DEP_3) | instskip(NEXT) | instid1(VALU_DEP_1)
	v_and_b32_e32 v7, 15, v5
	v_cmp_ne_u64_e32 vcc_lo, 0, v[7:8]
	s_or_b32 s4, s4, vcc_lo
	s_delay_alu instid0(SALU_CYCLE_1) | instskip(NEXT) | instid1(SALU_CYCLE_1)
	s_and_saveexec_b32 s10, s4
	s_xor_b32 s4, exec_lo, s10
	s_cbranch_execz .LBB0_12
; %bb.1:
	v_sub_nc_u32_e32 v7, 0, v5
	v_mov_b32_e32 v13, s5
	s_mov_b32 s10, exec_lo
	s_delay_alu instid0(VALU_DEP_2) | instskip(NEXT) | instid1(VALU_DEP_1)
	v_bfe_u32 v7, v7, 2, 2
	v_min_i32_e32 v7, s14, v7
	s_delay_alu instid0(VALU_DEP_1)
	v_cmpx_gt_i32_e64 v7, v9
	s_cbranch_execz .LBB0_3
; %bb.2:
	v_max_f32_e64 v13, s5, s5
	v_lshlrev_b32_e32 v8, 2, v9
	s_delay_alu instid0(VALU_DEP_1) | instskip(SKIP_4) | instid1(VALU_DEP_1)
	v_add_co_u32 v5, vcc_lo, v5, v8
	v_add_co_ci_u32_e32 v6, vcc_lo, 0, v6, vcc_lo
	global_load_b32 v5, v[5:6], off
	s_waitcnt vmcnt(0)
	v_max_f32_e64 v6, |v5|, |v5|
	v_dual_max_f32 v13, v13, v6 :: v_dual_add_nc_u32 v8, v0, v8
	ds_store_b32 v8, v5
.LBB0_3:
	s_or_b32 exec_lo, exec_lo, s10
	v_sub_nc_u32_e32 v14, s14, v7
	v_ashrrev_i32_e32 v8, 31, v7
	v_lshlrev_b32_e32 v15, 2, v7
	s_mov_b32 s10, exec_lo
	s_delay_alu instid0(VALU_DEP_3) | instskip(NEXT) | instid1(VALU_DEP_1)
	v_ashrrev_i32_e32 v5, 31, v14
	v_lshrrev_b32_e32 v5, 30, v5
	s_delay_alu instid0(VALU_DEP_1) | instskip(NEXT) | instid1(VALU_DEP_1)
	v_add_nc_u32_e32 v5, v14, v5
	v_ashrrev_i32_e32 v16, 2, v5
	v_lshlrev_b64 v[5:6], 2, v[7:8]
	s_delay_alu instid0(VALU_DEP_2)
	v_cmpx_gt_i32_e64 v16, v9
	s_cbranch_execz .LBB0_7
; %bb.4:
	v_lshlrev_b32_e32 v7, 4, v9
	s_mov_b32 s11, 0
	s_delay_alu instid0(VALU_DEP_1) | instskip(SKIP_2) | instid1(VALU_DEP_3)
	v_add_co_u32 v8, vcc_lo, v3, v7
	v_add_co_ci_u32_e32 v17, vcc_lo, 0, v4, vcc_lo
	v_lshl_add_u32 v7, v10, 2, v7
	v_add_co_u32 v8, vcc_lo, v8, v5
	s_delay_alu instid0(VALU_DEP_3) | instskip(NEXT) | instid1(VALU_DEP_2)
	v_add_co_ci_u32_e32 v17, vcc_lo, v17, v6, vcc_lo
	v_add_co_u32 v8, vcc_lo, v8, s8
	s_delay_alu instid0(VALU_DEP_2) | instskip(SKIP_1) | instid1(VALU_DEP_3)
	v_add_co_ci_u32_e32 v18, vcc_lo, s9, v17, vcc_lo
	v_add3_u32 v17, v7, v15, 0
	v_add_co_u32 v7, vcc_lo, v8, 8
	s_delay_alu instid0(VALU_DEP_3)
	v_add_co_ci_u32_e32 v8, vcc_lo, 0, v18, vcc_lo
	v_mov_b32_e32 v18, v9
	.p2align	6
.LBB0_5:                                ; =>This Inner Loop Header: Depth=1
	global_load_b128 v[19:22], v[7:8], off offset:-8
	v_add_nc_u32_e32 v18, 16, v18
	v_add_co_u32 v7, vcc_lo, 0x100, v7
	v_add_co_ci_u32_e32 v8, vcc_lo, 0, v8, vcc_lo
	s_delay_alu instid0(VALU_DEP_3)
	v_cmp_ge_i32_e32 vcc_lo, v18, v16
	s_or_b32 s11, vcc_lo, s11
	s_waitcnt vmcnt(0)
	v_max3_f32 v13, v13, |v19|, |v20|
	ds_store_b128 v17, v[19:22]
	v_add_nc_u32_e32 v17, 0x100, v17
	v_max3_f32 v13, v13, |v21|, |v22|
	s_and_not1_b32 exec_lo, exec_lo, s11
	s_cbranch_execnz .LBB0_5
; %bb.6:
	s_or_b32 exec_lo, exec_lo, s11
.LBB0_7:
	s_delay_alu instid0(SALU_CYCLE_1) | instskip(SKIP_2) | instid1(VALU_DEP_1)
	s_or_b32 exec_lo, exec_lo, s10
	v_lshl_add_u32 v7, v16, 2, v9
	s_mov_b32 s10, exec_lo
	v_cmpx_lt_i32_e64 v7, v14
	s_cbranch_execz .LBB0_11
; %bb.8:
	v_ashrrev_i32_e32 v8, 31, v7
	v_lshlrev_b32_e32 v19, 4, v16
	v_add_co_u32 v3, vcc_lo, v3, v5
	v_lshlrev_b32_e32 v18, 2, v10
	s_delay_alu instid0(VALU_DEP_4) | instskip(SKIP_2) | instid1(VALU_DEP_4)
	v_lshlrev_b64 v[16:17], 2, v[7:8]
	v_add_co_ci_u32_e32 v4, vcc_lo, v4, v6, vcc_lo
	v_lshlrev_b32_e32 v20, 2, v9
	v_add3_u32 v5, v18, v19, v15
	s_mov_b32 s11, 0
	s_delay_alu instid0(VALU_DEP_4) | instskip(SKIP_1) | instid1(VALU_DEP_3)
	v_add_co_u32 v3, vcc_lo, v3, v16
	v_add_co_ci_u32_e32 v4, vcc_lo, v4, v17, vcc_lo
	v_add3_u32 v5, v5, v20, 0
	s_delay_alu instid0(VALU_DEP_3) | instskip(NEXT) | instid1(VALU_DEP_3)
	v_add_co_u32 v3, vcc_lo, s8, v3
	v_add_co_ci_u32_e32 v4, vcc_lo, s9, v4, vcc_lo
	.p2align	6
.LBB0_9:                                ; =>This Inner Loop Header: Depth=1
	global_load_b32 v6, v[3:4], off
	v_dual_max_f32 v8, v13, v13 :: v_dual_add_nc_u32 v7, 16, v7
	v_add_co_u32 v3, vcc_lo, v3, 64
	v_add_co_ci_u32_e32 v4, vcc_lo, 0, v4, vcc_lo
	s_delay_alu instid0(VALU_DEP_3)
	v_cmp_ge_i32_e32 vcc_lo, v7, v14
	s_or_b32 s11, vcc_lo, s11
	s_waitcnt vmcnt(0)
	v_max_f32_e64 v13, |v6|, |v6|
	ds_store_b32 v5, v6
	v_add_nc_u32_e32 v5, 64, v5
	v_max_f32_e32 v13, v8, v13
	s_and_not1_b32 exec_lo, exec_lo, s11
	s_cbranch_execnz .LBB0_9
; %bb.10:
	s_or_b32 exec_lo, exec_lo, s11
.LBB0_11:
	s_delay_alu instid0(SALU_CYCLE_1)
	s_or_b32 exec_lo, exec_lo, s10
                                        ; implicit-def: $vgpr3_vgpr4
.LBB0_12:
	s_and_not1_saveexec_b32 s4, s4
	s_cbranch_execz .LBB0_18
; %bb.13:
	v_mov_b32_e32 v13, s5
	s_ashr_i32 s11, s14, 2
	s_mov_b32 s10, exec_lo
	v_cmpx_gt_i32_e64 s11, v9
	s_cbranch_execz .LBB0_17
; %bb.14:
	v_lshlrev_b32_e32 v5, 4, v9
	v_dual_mov_b32 v13, s5 :: v_dual_lshlrev_b32 v6, 2, v10
	s_mov_b32 s5, 0
	s_delay_alu instid0(VALU_DEP_2) | instskip(SKIP_1) | instid1(VALU_DEP_3)
	v_add_co_u32 v3, vcc_lo, v3, v5
	v_add_co_ci_u32_e32 v4, vcc_lo, 0, v4, vcc_lo
	v_add3_u32 v5, v6, v5, 0
	s_delay_alu instid0(VALU_DEP_3) | instskip(NEXT) | instid1(VALU_DEP_3)
	v_add_co_u32 v3, vcc_lo, v3, s8
	v_add_co_ci_u32_e32 v4, vcc_lo, s9, v4, vcc_lo
	v_mov_b32_e32 v6, v9
	s_delay_alu instid0(VALU_DEP_3) | instskip(NEXT) | instid1(VALU_DEP_3)
	v_add_co_u32 v3, vcc_lo, v3, 8
	v_add_co_ci_u32_e32 v4, vcc_lo, 0, v4, vcc_lo
	.p2align	6
.LBB0_15:                               ; =>This Inner Loop Header: Depth=1
	global_load_b128 v[14:17], v[3:4], off offset:-8
	v_add_nc_u32_e32 v6, 16, v6
	v_add_co_u32 v3, vcc_lo, 0x100, v3
	v_add_co_ci_u32_e32 v4, vcc_lo, 0, v4, vcc_lo
	s_delay_alu instid0(VALU_DEP_3)
	v_cmp_le_i32_e32 vcc_lo, s11, v6
	s_or_b32 s5, vcc_lo, s5
	s_waitcnt vmcnt(0)
	v_max3_f32 v7, v13, |v14|, |v15|
	ds_store_b128 v5, v[14:17]
	v_add_nc_u32_e32 v5, 0x100, v5
	v_max3_f32 v13, v7, |v16|, |v17|
	s_and_not1_b32 exec_lo, exec_lo, s5
	s_cbranch_execnz .LBB0_15
; %bb.16:
	s_or_b32 exec_lo, exec_lo, s5
.LBB0_17:
	s_delay_alu instid0(SALU_CYCLE_1)
	s_or_b32 exec_lo, exec_lo, s10
.LBB0_18:
	s_delay_alu instid0(SALU_CYCLE_1) | instskip(SKIP_4) | instid1(VALU_DEP_2)
	s_or_b32 exec_lo, exec_lo, s4
	v_mbcnt_lo_u32_b32 v3, -1, 0
	s_load_b64 s[4:5], s[0:1], 0x8
	s_mov_b32 s16, exec_lo
	v_max_f32_e32 v7, v13, v13
	v_xor_b32_e32 v5, 8, v3
	v_and_b32_e32 v4, 16, v3
	v_xor_b32_e32 v6, 4, v3
	s_delay_alu instid0(VALU_DEP_2) | instskip(NEXT) | instid1(VALU_DEP_1)
	v_add_nc_u32_e32 v4, 16, v4
	v_cmp_lt_i32_e32 vcc_lo, v5, v4
	v_cndmask_b32_e32 v5, v3, v5, vcc_lo
	s_delay_alu instid0(VALU_DEP_4) | instskip(NEXT) | instid1(VALU_DEP_2)
	v_cmp_lt_i32_e32 vcc_lo, v6, v4
	v_dual_cndmask_b32 v6, v3, v6 :: v_dual_lshlrev_b32 v5, 2, v5
	ds_bpermute_b32 v5, v5, v13
	s_waitcnt lgkmcnt(0)
	v_dual_max_f32 v5, v5, v5 :: v_dual_lshlrev_b32 v6, 2, v6
	s_delay_alu instid0(VALU_DEP_1)
	v_max_f32_e32 v5, v7, v5
	v_xor_b32_e32 v7, 2, v3
	ds_bpermute_b32 v6, v6, v5
	v_cmp_lt_i32_e32 vcc_lo, v7, v4
	s_waitcnt lgkmcnt(0)
	v_dual_cndmask_b32 v7, v3, v7 :: v_dual_max_f32 v6, v6, v6
	s_delay_alu instid0(VALU_DEP_1) | instskip(NEXT) | instid1(VALU_DEP_2)
	v_max_f32_e32 v5, v5, v6
	v_lshlrev_b32_e32 v7, 2, v7
	ds_bpermute_b32 v6, v7, v5
	v_xor_b32_e32 v7, 1, v3
	s_delay_alu instid0(VALU_DEP_1) | instskip(SKIP_2) | instid1(VALU_DEP_1)
	v_cmp_lt_i32_e32 vcc_lo, v7, v4
	v_cndmask_b32_e32 v3, v3, v7, vcc_lo
	s_waitcnt lgkmcnt(0)
	v_dual_max_f32 v4, v6, v6 :: v_dual_lshlrev_b32 v3, 2, v3
	s_delay_alu instid0(VALU_DEP_1) | instskip(SKIP_3) | instid1(VALU_DEP_1)
	v_max_f32_e32 v4, v5, v4
	ds_bpermute_b32 v3, v3, v4
	s_waitcnt lgkmcnt(0)
	v_max_f32_e32 v3, v3, v3
	v_max_f32_e32 v3, v4, v3
	s_delay_alu instid0(VALU_DEP_1) | instskip(SKIP_1) | instid1(VALU_DEP_2)
	v_div_scale_f32 v4, null, s7, s7, v3
	v_div_scale_f32 v7, vcc_lo, v3, s7, v3
	v_rcp_f32_e32 v5, v4
	s_waitcnt_depctr 0xfff
	v_fma_f32 v6, -v4, v5, 1.0
	s_delay_alu instid0(VALU_DEP_1) | instskip(NEXT) | instid1(VALU_DEP_1)
	v_fmac_f32_e32 v5, v6, v5
	v_mul_f32_e32 v6, v7, v5
	s_delay_alu instid0(VALU_DEP_1) | instskip(NEXT) | instid1(VALU_DEP_1)
	v_fma_f32 v8, -v4, v6, v7
	v_fmac_f32_e32 v6, v8, v5
	s_delay_alu instid0(VALU_DEP_1) | instskip(NEXT) | instid1(VALU_DEP_1)
	v_fma_f32 v4, -v4, v6, v7
	v_div_fmas_f32 v4, v4, v5, v6
	s_delay_alu instid0(VALU_DEP_1) | instskip(NEXT) | instid1(VALU_DEP_1)
	v_div_fixup_f32 v3, v4, s7, v3
	v_max_f32_e64 v3, 0x2edbe6ff, |v3|
	s_delay_alu instid0(VALU_DEP_1) | instskip(SKIP_1) | instid1(VALU_DEP_1)
	v_cmp_gt_f32_e32 vcc_lo, 0x800000, v3
	v_cndmask_b32_e64 v4, 1.0, 0x4f800000, vcc_lo
	v_mul_f32_e32 v3, v3, v4
	v_cndmask_b32_e64 v4, 0, 0x42000000, vcc_lo
	s_delay_alu instid0(VALU_DEP_2) | instskip(SKIP_2) | instid1(VALU_DEP_1)
	v_log_f32_e32 v3, v3
	s_waitcnt_depctr 0xfff
	v_sub_f32_e32 v3, v3, v4
	v_ceil_f32_e32 v3, v3
	s_delay_alu instid0(VALU_DEP_1) | instskip(SKIP_1) | instid1(VALU_DEP_1)
	v_cmp_gt_f32_e32 vcc_lo, 0xc2fc0000, v3
	v_cndmask_b32_e64 v4, 0, 0x42800000, vcc_lo
	v_add_f32_e32 v3, v3, v4
	v_cndmask_b32_e64 v4, 1.0, 0x1f800000, vcc_lo
	s_delay_alu instid0(VALU_DEP_2)
	v_exp_f32_e32 v3, v3
	s_waitcnt_depctr 0xfff
	v_mul_f32_e32 v5, v3, v4
	v_cmpx_eq_u32_e32 0, v9
	s_cbranch_execz .LBB0_24
; %bb.19:
	s_load_b64 s[8:9], s[0:1], 0x10
	s_ashr_i32 s0, s2, 31
	v_mov_b32_e32 v3, 0
	v_or_b32_e32 v4, s0, v12
	s_mov_b32 s1, s2
	s_delay_alu instid0(VALU_DEP_1) | instskip(SKIP_1) | instid1(SALU_CYCLE_1)
	v_cmp_ne_u64_e32 vcc_lo, 0, v[3:4]
                                        ; implicit-def: $vgpr3_vgpr4
	s_and_saveexec_b32 s2, vcc_lo
	s_xor_b32 s2, exec_lo, s2
	s_cbranch_execz .LBB0_21
; %bb.20:
	s_add_u32 s12, s1, s0
	s_mov_b32 s10, s0
	s_mov_b32 s11, s0
	s_addc_u32 s13, s0, s0
	s_delay_alu instid0(SALU_CYCLE_1) | instskip(NEXT) | instid1(SALU_CYCLE_1)
	s_xor_b64 s[12:13], s[12:13], s[10:11]
	v_cvt_f32_u32_e32 v3, s12
	v_cvt_f32_u32_e32 v4, s13
	s_sub_u32 s0, 0, s12
	s_subb_u32 s11, 0, s13
	s_delay_alu instid0(VALU_DEP_1) | instskip(NEXT) | instid1(VALU_DEP_1)
	v_fmamk_f32 v3, v4, 0x4f800000, v3
	v_rcp_f32_e32 v3, v3
	s_waitcnt_depctr 0xfff
	v_mul_f32_e32 v3, 0x5f7ffffc, v3
	s_delay_alu instid0(VALU_DEP_1) | instskip(NEXT) | instid1(VALU_DEP_1)
	v_mul_f32_e32 v4, 0x2f800000, v3
	v_trunc_f32_e32 v4, v4
	s_delay_alu instid0(VALU_DEP_1) | instskip(SKIP_1) | instid1(VALU_DEP_2)
	v_fmamk_f32 v3, v4, 0xcf800000, v3
	v_cvt_u32_f32_e32 v4, v4
	v_cvt_u32_f32_e32 v3, v3
	s_delay_alu instid0(VALU_DEP_2) | instskip(NEXT) | instid1(VALU_DEP_2)
	v_mul_lo_u32 v6, s0, v4
	v_mul_hi_u32 v7, s0, v3
	v_mul_lo_u32 v8, s11, v3
	s_delay_alu instid0(VALU_DEP_2) | instskip(SKIP_1) | instid1(VALU_DEP_2)
	v_add_nc_u32_e32 v6, v7, v6
	v_mul_lo_u32 v7, s0, v3
	v_add_nc_u32_e32 v6, v6, v8
	s_delay_alu instid0(VALU_DEP_2) | instskip(NEXT) | instid1(VALU_DEP_2)
	v_mul_hi_u32 v8, v3, v7
	v_mul_lo_u32 v13, v3, v6
	v_mul_hi_u32 v14, v3, v6
	v_mul_hi_u32 v15, v4, v7
	v_mul_lo_u32 v7, v4, v7
	v_mul_hi_u32 v16, v4, v6
	v_mul_lo_u32 v6, v4, v6
	v_add_co_u32 v8, vcc_lo, v8, v13
	v_add_co_ci_u32_e32 v13, vcc_lo, 0, v14, vcc_lo
	s_delay_alu instid0(VALU_DEP_2) | instskip(NEXT) | instid1(VALU_DEP_2)
	v_add_co_u32 v7, vcc_lo, v8, v7
	v_add_co_ci_u32_e32 v7, vcc_lo, v13, v15, vcc_lo
	v_add_co_ci_u32_e32 v8, vcc_lo, 0, v16, vcc_lo
	s_delay_alu instid0(VALU_DEP_2) | instskip(NEXT) | instid1(VALU_DEP_2)
	v_add_co_u32 v6, vcc_lo, v7, v6
	v_add_co_ci_u32_e32 v7, vcc_lo, 0, v8, vcc_lo
	s_delay_alu instid0(VALU_DEP_2) | instskip(NEXT) | instid1(VALU_DEP_2)
	v_add_co_u32 v3, vcc_lo, v3, v6
	v_add_co_ci_u32_e32 v4, vcc_lo, v4, v7, vcc_lo
	s_delay_alu instid0(VALU_DEP_2) | instskip(SKIP_1) | instid1(VALU_DEP_3)
	v_mul_hi_u32 v6, s0, v3
	v_mul_lo_u32 v8, s11, v3
	v_mul_lo_u32 v7, s0, v4
	s_delay_alu instid0(VALU_DEP_1) | instskip(SKIP_1) | instid1(VALU_DEP_2)
	v_add_nc_u32_e32 v6, v6, v7
	v_mul_lo_u32 v7, s0, v3
	v_add_nc_u32_e32 v6, v6, v8
	s_delay_alu instid0(VALU_DEP_2) | instskip(NEXT) | instid1(VALU_DEP_2)
	v_mul_hi_u32 v8, v3, v7
	v_mul_lo_u32 v13, v3, v6
	v_mul_hi_u32 v14, v3, v6
	v_mul_hi_u32 v15, v4, v7
	v_mul_lo_u32 v7, v4, v7
	v_mul_hi_u32 v16, v4, v6
	v_mul_lo_u32 v6, v4, v6
	v_add_co_u32 v8, vcc_lo, v8, v13
	v_add_co_ci_u32_e32 v13, vcc_lo, 0, v14, vcc_lo
	s_delay_alu instid0(VALU_DEP_2) | instskip(NEXT) | instid1(VALU_DEP_2)
	v_add_co_u32 v7, vcc_lo, v8, v7
	v_add_co_ci_u32_e32 v7, vcc_lo, v13, v15, vcc_lo
	v_add_co_ci_u32_e32 v8, vcc_lo, 0, v16, vcc_lo
	s_delay_alu instid0(VALU_DEP_2) | instskip(NEXT) | instid1(VALU_DEP_2)
	v_add_co_u32 v6, vcc_lo, v7, v6
	v_add_co_ci_u32_e32 v7, vcc_lo, 0, v8, vcc_lo
	s_delay_alu instid0(VALU_DEP_2) | instskip(NEXT) | instid1(VALU_DEP_2)
	v_add_co_u32 v8, vcc_lo, v3, v6
	v_add_co_ci_u32_e32 v15, vcc_lo, v4, v7, vcc_lo
	s_delay_alu instid0(VALU_DEP_2) | instskip(SKIP_1) | instid1(VALU_DEP_3)
	v_mul_hi_u32 v16, v11, v8
	v_mad_u64_u32 v[6:7], null, v12, v8, 0
	v_mad_u64_u32 v[3:4], null, v11, v15, 0
	;; [unrolled: 1-line block ×3, first 2 shown]
	s_delay_alu instid0(VALU_DEP_2) | instskip(NEXT) | instid1(VALU_DEP_3)
	v_add_co_u32 v3, vcc_lo, v16, v3
	v_add_co_ci_u32_e32 v4, vcc_lo, 0, v4, vcc_lo
	s_delay_alu instid0(VALU_DEP_2) | instskip(NEXT) | instid1(VALU_DEP_2)
	v_add_co_u32 v3, vcc_lo, v3, v6
	v_add_co_ci_u32_e32 v3, vcc_lo, v4, v7, vcc_lo
	v_add_co_ci_u32_e32 v4, vcc_lo, 0, v14, vcc_lo
	s_delay_alu instid0(VALU_DEP_2) | instskip(NEXT) | instid1(VALU_DEP_2)
	v_add_co_u32 v6, vcc_lo, v3, v13
	v_add_co_ci_u32_e32 v7, vcc_lo, 0, v4, vcc_lo
	s_delay_alu instid0(VALU_DEP_2) | instskip(SKIP_1) | instid1(VALU_DEP_3)
	v_mul_lo_u32 v8, s13, v6
	v_mad_u64_u32 v[3:4], null, s12, v6, 0
	v_mul_lo_u32 v7, s12, v7
	s_delay_alu instid0(VALU_DEP_2) | instskip(NEXT) | instid1(VALU_DEP_2)
	v_sub_co_u32 v3, vcc_lo, v11, v3
	v_add3_u32 v4, v4, v7, v8
	v_add_co_u32 v8, s0, v6, 2
	s_delay_alu instid0(VALU_DEP_2) | instskip(NEXT) | instid1(VALU_DEP_1)
	v_sub_nc_u32_e32 v7, v12, v4
	v_subrev_co_ci_u32_e64 v7, s0, s13, v7, vcc_lo
	v_sub_co_u32 v13, s0, v3, s12
	v_sub_co_ci_u32_e32 v4, vcc_lo, v12, v4, vcc_lo
	s_delay_alu instid0(VALU_DEP_3) | instskip(NEXT) | instid1(VALU_DEP_3)
	v_subrev_co_ci_u32_e64 v7, s0, 0, v7, s0
	v_cmp_le_u32_e32 vcc_lo, s12, v13
	v_cndmask_b32_e64 v12, 0, -1, vcc_lo
	s_delay_alu instid0(VALU_DEP_3)
	v_cmp_le_u32_e32 vcc_lo, s13, v7
	v_cndmask_b32_e64 v13, 0, -1, vcc_lo
	v_cmp_le_u32_e32 vcc_lo, s12, v3
	v_cndmask_b32_e64 v3, 0, -1, vcc_lo
	;; [unrolled: 2-line block ×3, first 2 shown]
	v_cmp_eq_u32_e32 vcc_lo, s13, v7
	v_cndmask_b32_e32 v7, v13, v12, vcc_lo
	v_add_co_u32 v12, vcc_lo, v6, 1
	v_cmp_eq_u32_e32 vcc_lo, s13, v4
	v_cndmask_b32_e32 v3, v14, v3, vcc_lo
	s_delay_alu instid0(VALU_DEP_4) | instskip(NEXT) | instid1(VALU_DEP_4)
	v_cmp_ne_u32_e32 vcc_lo, 0, v7
	v_cndmask_b32_e32 v4, v12, v8, vcc_lo
	s_delay_alu instid0(VALU_DEP_3) | instskip(NEXT) | instid1(VALU_DEP_2)
	v_cmp_ne_u32_e32 vcc_lo, 0, v3
	v_cndmask_b32_e32 v3, v6, v4, vcc_lo
	s_delay_alu instid0(VALU_DEP_1) | instskip(NEXT) | instid1(VALU_DEP_1)
	v_xor_b32_e32 v3, s10, v3
	v_sub_co_u32 v3, vcc_lo, v3, s10
.LBB0_21:
	s_and_not1_saveexec_b32 s0, s2
	s_cbranch_execz .LBB0_23
; %bb.22:
	v_cvt_f32_u32_e32 v3, s1
	s_sub_i32 s2, 0, s1
	s_delay_alu instid0(VALU_DEP_1) | instskip(SKIP_2) | instid1(VALU_DEP_1)
	v_rcp_iflag_f32_e32 v3, v3
	s_waitcnt_depctr 0xfff
	v_mul_f32_e32 v3, 0x4f7ffffe, v3
	v_cvt_u32_f32_e32 v3, v3
	s_delay_alu instid0(VALU_DEP_1) | instskip(NEXT) | instid1(VALU_DEP_1)
	v_mul_lo_u32 v4, s2, v3
	v_mul_hi_u32 v4, v3, v4
	s_delay_alu instid0(VALU_DEP_1) | instskip(NEXT) | instid1(VALU_DEP_1)
	v_add_nc_u32_e32 v3, v3, v4
	v_mul_hi_u32 v3, v11, v3
	s_delay_alu instid0(VALU_DEP_1) | instskip(SKIP_1) | instid1(VALU_DEP_2)
	v_mul_lo_u32 v4, v3, s1
	v_add_nc_u32_e32 v6, 1, v3
	v_sub_nc_u32_e32 v4, v11, v4
	s_delay_alu instid0(VALU_DEP_1) | instskip(SKIP_1) | instid1(VALU_DEP_2)
	v_subrev_nc_u32_e32 v7, s1, v4
	v_cmp_le_u32_e32 vcc_lo, s1, v4
	v_dual_cndmask_b32 v4, v4, v7 :: v_dual_cndmask_b32 v3, v3, v6
	s_delay_alu instid0(VALU_DEP_1) | instskip(NEXT) | instid1(VALU_DEP_2)
	v_cmp_le_u32_e32 vcc_lo, s1, v4
	v_add_nc_u32_e32 v6, 1, v3
	s_delay_alu instid0(VALU_DEP_1)
	v_cndmask_b32_e32 v3, v3, v6, vcc_lo
.LBB0_23:
	s_or_b32 exec_lo, exec_lo, s0
	s_delay_alu instid0(VALU_DEP_1) | instskip(NEXT) | instid1(VALU_DEP_1)
	v_mul_lo_u32 v4, v3, s1
	v_sub_nc_u32_e32 v4, v11, v4
	s_delay_alu instid0(VALU_DEP_1) | instskip(NEXT) | instid1(VALU_DEP_1)
	v_mad_u64_u32 v[6:7], null, v4, s3, v[3:4]
	v_ashrrev_i32_e32 v7, 31, v6
	s_delay_alu instid0(VALU_DEP_1) | instskip(SKIP_1) | instid1(VALU_DEP_1)
	v_lshlrev_b64 v[3:4], 2, v[6:7]
	s_waitcnt lgkmcnt(0)
	v_add_co_u32 v3, vcc_lo, s8, v3
	s_delay_alu instid0(VALU_DEP_2)
	v_add_co_ci_u32_e32 v4, vcc_lo, s9, v4, vcc_lo
	global_store_b32 v[3:4], v5, off
.LBB0_24:
	s_or_b32 exec_lo, exec_lo, s16
	v_dual_mov_b32 v4, 0 :: v_dual_and_b32 v3, 15, v0
	s_xor_b32 s0, s15, -1
	s_waitcnt_vscnt null, 0x0
	s_barrier
	buffer_gl0_inv
	v_cmp_ne_u64_e32 vcc_lo, 0, v[3:4]
	s_or_b32 s0, s0, vcc_lo
	s_delay_alu instid0(SALU_CYCLE_1) | instskip(NEXT) | instid1(SALU_CYCLE_1)
	s_and_saveexec_b32 s1, s0
	s_xor_b32 s8, exec_lo, s1
	s_cbranch_execz .LBB0_34
; %bb.25:
	v_sub_nc_u32_e32 v3, 0, v0
	s_mov_b32 s0, exec_lo
	s_delay_alu instid0(VALU_DEP_1) | instskip(NEXT) | instid1(VALU_DEP_1)
	v_bfe_u32 v3, v3, 2, 2
	v_min_i32_e32 v7, s14, v3
	s_delay_alu instid0(VALU_DEP_1)
	v_cmpx_gt_i32_e64 v7, v9
	s_cbranch_execz .LBB0_27
; %bb.26:
	v_lshl_add_u32 v0, v9, 2, v0
	ds_load_b32 v0, v0
	s_waitcnt lgkmcnt(0)
	v_div_scale_f32 v3, null, v5, v5, v0
	v_div_scale_f32 v8, vcc_lo, v0, v5, v0
	s_delay_alu instid0(VALU_DEP_2) | instskip(SKIP_2) | instid1(VALU_DEP_1)
	v_rcp_f32_e32 v4, v3
	s_waitcnt_depctr 0xfff
	v_fma_f32 v6, -v3, v4, 1.0
	v_fmac_f32_e32 v4, v6, v4
	s_delay_alu instid0(VALU_DEP_1) | instskip(NEXT) | instid1(VALU_DEP_1)
	v_mul_f32_e32 v6, v8, v4
	v_fma_f32 v11, -v3, v6, v8
	s_delay_alu instid0(VALU_DEP_1) | instskip(NEXT) | instid1(VALU_DEP_1)
	v_fmac_f32_e32 v6, v11, v4
	v_fma_f32 v3, -v3, v6, v8
	s_delay_alu instid0(VALU_DEP_1) | instskip(SKIP_3) | instid1(VALU_DEP_4)
	v_div_fmas_f32 v3, v3, v4, v6
	v_max_f32_e64 v4, s6, s6
	v_add_co_u32 v6, vcc_lo, s4, v1
	v_add_co_ci_u32_e32 v8, vcc_lo, s5, v2, vcc_lo
	v_div_fixup_f32 v0, v3, v5, v0
	v_max_f32_e64 v3, s7, s7
	s_delay_alu instid0(VALU_DEP_1) | instskip(SKIP_2) | instid1(VALU_DEP_3)
	v_maxmin_f32 v0, v0, v4, v3
	v_add_co_u32 v3, vcc_lo, v6, v9
	v_add_co_ci_u32_e32 v4, vcc_lo, 0, v8, vcc_lo
	v_cvt_i32_f32_e32 v0, v0
	global_store_b8 v[3:4], v0, off
.LBB0_27:
	s_or_b32 exec_lo, exec_lo, s0
	v_sub_nc_u32_e32 v6, s14, v7
	v_lshlrev_b32_e32 v11, 2, v7
	s_mov_b32 s9, exec_lo
	s_delay_alu instid0(VALU_DEP_2) | instskip(NEXT) | instid1(VALU_DEP_1)
	v_ashrrev_i32_e32 v0, 31, v6
	v_lshrrev_b32_e32 v0, 30, v0
	s_delay_alu instid0(VALU_DEP_1) | instskip(NEXT) | instid1(VALU_DEP_1)
	v_add_nc_u32_e32 v0, v6, v0
	v_ashrrev_i32_e32 v8, 2, v0
	v_ashrrev_i32_e32 v0, 31, v7
	s_delay_alu instid0(VALU_DEP_2)
	v_cmpx_gt_i32_e64 v8, v9
	s_cbranch_execz .LBB0_30
; %bb.28:
	v_lshlrev_b32_e32 v3, 4, v9
	v_dual_mov_b32 v15, v9 :: v_dual_lshlrev_b32 v4, 2, v9
	v_add_co_u32 v12, vcc_lo, v7, v1
	v_add_co_ci_u32_e32 v13, vcc_lo, v0, v2, vcc_lo
	s_delay_alu instid0(VALU_DEP_4) | instskip(NEXT) | instid1(VALU_DEP_3)
	v_lshl_add_u32 v3, v10, 2, v3
	v_add_co_u32 v4, vcc_lo, v12, v4
	s_delay_alu instid0(VALU_DEP_3) | instskip(NEXT) | instid1(VALU_DEP_3)
	v_add_co_ci_u32_e32 v13, vcc_lo, 0, v13, vcc_lo
	v_add3_u32 v12, v3, v11, 0
	s_delay_alu instid0(VALU_DEP_3) | instskip(NEXT) | instid1(VALU_DEP_3)
	v_add_co_u32 v3, vcc_lo, s4, v4
	v_add_co_ci_u32_e32 v4, vcc_lo, s5, v13, vcc_lo
	v_max_f32_e64 v13, s6, s6
	v_max_f32_e64 v14, s7, s7
	s_mov_b32 s10, 0
.LBB0_29:                               ; =>This Inner Loop Header: Depth=1
	ds_load_b128 v[16:19], v12
	s_waitcnt lgkmcnt(0)
	v_div_scale_f32 v20, null, v5, v5, v16
	v_div_scale_f32 v22, null, v5, v5, v17
	;; [unrolled: 1-line block ×3, first 2 shown]
	s_delay_alu instid0(VALU_DEP_3) | instskip(NEXT) | instid1(VALU_DEP_2)
	v_rcp_f32_e32 v28, v20
	v_rcp_f32_e32 v29, v22
	v_div_scale_f32 v26, null, v5, v5, v19
	s_delay_alu instid0(VALU_DEP_2) | instskip(SKIP_1) | instid1(VALU_DEP_2)
	v_rcp_f32_e32 v30, v24
	v_div_scale_f32 v21, vcc_lo, v16, v5, v16
	v_rcp_f32_e32 v31, v26
	v_div_scale_f32 v23, s1, v17, v5, v17
	v_fma_f32 v32, -v20, v28, 1.0
	s_delay_alu instid0(TRANS32_DEP_3) | instskip(SKIP_2) | instid1(TRANS32_DEP_2)
	v_fma_f32 v33, -v22, v29, 1.0
	v_add_nc_u32_e32 v15, 16, v15
	v_add_nc_u32_e32 v12, 0x100, v12
	v_fma_f32 v34, -v24, v30, 1.0
	s_delay_alu instid0(VALU_DEP_4) | instskip(SKIP_1) | instid1(TRANS32_DEP_1)
	v_dual_fmac_f32 v28, v32, v28 :: v_dual_fmac_f32 v29, v33, v29
	v_div_scale_f32 v25, s2, v18, v5, v18
	v_fma_f32 v35, -v26, v31, 1.0
	s_delay_alu instid0(VALU_DEP_4) | instskip(NEXT) | instid1(VALU_DEP_4)
	v_fmac_f32_e32 v30, v34, v30
	v_dual_mul_f32 v32, v21, v28 :: v_dual_mul_f32 v33, v23, v29
	v_div_scale_f32 v27, s3, v19, v5, v19
	s_delay_alu instid0(VALU_DEP_3) | instskip(NEXT) | instid1(VALU_DEP_3)
	v_dual_fmac_f32 v31, v35, v31 :: v_dual_mul_f32 v34, v25, v30
	v_fma_f32 v36, -v20, v32, v21
	s_delay_alu instid0(VALU_DEP_4) | instskip(SKIP_1) | instid1(VALU_DEP_4)
	v_fma_f32 v37, -v22, v33, v23
	v_cmp_ge_i32_e64 s0, v15, v8
	v_mul_f32_e32 v35, v27, v31
	v_fma_f32 v38, -v24, v34, v25
	s_delay_alu instid0(VALU_DEP_4) | instskip(NEXT) | instid1(VALU_DEP_4)
	v_dual_fmac_f32 v32, v36, v28 :: v_dual_fmac_f32 v33, v37, v29
	s_or_b32 s10, s0, s10
	s_delay_alu instid0(VALU_DEP_3) | instskip(NEXT) | instid1(VALU_DEP_3)
	v_fma_f32 v39, -v26, v35, v27
	v_fmac_f32_e32 v34, v38, v30
	s_delay_alu instid0(VALU_DEP_3) | instskip(SKIP_1) | instid1(VALU_DEP_4)
	v_fma_f32 v20, -v20, v32, v21
	v_fma_f32 v21, -v22, v33, v23
	v_fmac_f32_e32 v35, v39, v31
	s_delay_alu instid0(VALU_DEP_4) | instskip(NEXT) | instid1(VALU_DEP_4)
	v_fma_f32 v22, -v24, v34, v25
	v_div_fmas_f32 v20, v20, v28, v32
	s_mov_b32 vcc_lo, s1
	v_div_fmas_f32 v21, v21, v29, v33
	s_mov_b32 vcc_lo, s2
	v_fma_f32 v23, -v26, v35, v27
	v_div_fmas_f32 v22, v22, v30, v34
	s_mov_b32 vcc_lo, s3
	v_div_fixup_f32 v16, v20, v5, v16
	v_div_fixup_f32 v17, v21, v5, v17
	v_div_fmas_f32 v20, v23, v31, v35
	v_div_fixup_f32 v18, v22, v5, v18
	s_delay_alu instid0(VALU_DEP_4) | instskip(NEXT) | instid1(VALU_DEP_4)
	v_maxmin_f32 v16, v16, v13, v14
	v_maxmin_f32 v17, v17, v13, v14
	s_delay_alu instid0(VALU_DEP_4) | instskip(NEXT) | instid1(VALU_DEP_4)
	v_div_fixup_f32 v19, v20, v5, v19
	v_maxmin_f32 v18, v18, v13, v14
	s_delay_alu instid0(VALU_DEP_4) | instskip(NEXT) | instid1(VALU_DEP_4)
	v_cvt_i32_f32_e32 v16, v16
	v_cvt_i32_f32_e32 v17, v17
	s_delay_alu instid0(VALU_DEP_4) | instskip(NEXT) | instid1(VALU_DEP_4)
	v_maxmin_f32 v19, v19, v13, v14
	v_cvt_i32_f32_e32 v18, v18
	s_delay_alu instid0(VALU_DEP_4) | instskip(NEXT) | instid1(VALU_DEP_4)
	v_and_b32_e32 v16, 0xff, v16
	v_and_b32_e32 v17, 0xff, v17
	s_delay_alu instid0(VALU_DEP_4) | instskip(NEXT) | instid1(VALU_DEP_4)
	v_cvt_i32_f32_e32 v19, v19
	v_and_b32_e32 v18, 0xff, v18
	s_delay_alu instid0(VALU_DEP_3) | instskip(NEXT) | instid1(VALU_DEP_2)
	v_lshlrev_b32_e32 v17, 8, v17
	v_lshlrev_b32_e32 v18, 16, v18
	s_delay_alu instid0(VALU_DEP_1) | instskip(NEXT) | instid1(VALU_DEP_1)
	v_lshl_or_b32 v18, v19, 24, v18
	v_or3_b32 v16, v18, v17, v16
	global_store_b32 v[3:4], v16, off
	v_add_co_u32 v3, vcc_lo, v3, 64
	v_add_co_ci_u32_e32 v4, vcc_lo, 0, v4, vcc_lo
	s_and_not1_b32 exec_lo, exec_lo, s10
	s_cbranch_execnz .LBB0_29
.LBB0_30:
	s_or_b32 exec_lo, exec_lo, s9
	v_lshl_add_u32 v3, v8, 2, v9
	s_mov_b32 s1, exec_lo
	s_delay_alu instid0(VALU_DEP_1)
	v_cmpx_lt_i32_e64 v3, v6
	s_cbranch_execz .LBB0_33
; %bb.31:
	v_add_co_u32 v1, vcc_lo, v7, v1
	v_lshlrev_b32_e32 v4, 2, v10
	v_lshlrev_b32_e32 v8, 4, v8
	v_add_co_ci_u32_e32 v0, vcc_lo, v0, v2, vcc_lo
	v_ashrrev_i32_e32 v2, 31, v3
	v_add_co_u32 v1, vcc_lo, v1, v3
	s_delay_alu instid0(VALU_DEP_4) | instskip(SKIP_1) | instid1(VALU_DEP_4)
	v_add3_u32 v4, v4, v8, v11
	v_lshlrev_b32_e32 v7, 2, v9
	v_add_co_ci_u32_e32 v8, vcc_lo, v0, v2, vcc_lo
	s_delay_alu instid0(VALU_DEP_4) | instskip(NEXT) | instid1(VALU_DEP_3)
	v_add_co_u32 v0, vcc_lo, s4, v1
	v_add3_u32 v2, v4, v7, 0
	s_delay_alu instid0(VALU_DEP_3)
	v_add_co_ci_u32_e32 v1, vcc_lo, s5, v8, vcc_lo
	v_max_f32_e64 v4, s6, s6
	v_max_f32_e64 v7, s7, s7
	s_mov_b32 s2, 0
	s_set_inst_prefetch_distance 0x1
	.p2align	6
.LBB0_32:                               ; =>This Inner Loop Header: Depth=1
	ds_load_b32 v8, v2
	v_add_nc_u32_e32 v2, 64, v2
	s_waitcnt lgkmcnt(0)
	v_div_scale_f32 v9, null, v5, v5, v8
	v_div_scale_f32 v11, vcc_lo, v8, v5, v8
	s_delay_alu instid0(VALU_DEP_2) | instskip(SKIP_2) | instid1(VALU_DEP_1)
	v_rcp_f32_e32 v10, v9
	s_waitcnt_depctr 0xfff
	v_fma_f32 v12, -v9, v10, 1.0
	v_dual_fmac_f32 v10, v12, v10 :: v_dual_add_nc_u32 v3, 16, v3
	s_delay_alu instid0(VALU_DEP_1) | instskip(NEXT) | instid1(VALU_DEP_2)
	v_cmp_ge_i32_e64 s0, v3, v6
	v_mul_f32_e32 v12, v11, v10
	s_delay_alu instid0(VALU_DEP_2) | instskip(NEXT) | instid1(VALU_DEP_1)
	s_or_b32 s2, s0, s2
	v_fma_f32 v13, -v9, v12, v11
	s_delay_alu instid0(VALU_DEP_1) | instskip(NEXT) | instid1(VALU_DEP_1)
	v_fmac_f32_e32 v12, v13, v10
	v_fma_f32 v9, -v9, v12, v11
	s_delay_alu instid0(VALU_DEP_1) | instskip(NEXT) | instid1(VALU_DEP_1)
	v_div_fmas_f32 v9, v9, v10, v12
	v_div_fixup_f32 v8, v9, v5, v8
	s_delay_alu instid0(VALU_DEP_1) | instskip(NEXT) | instid1(VALU_DEP_1)
	v_maxmin_f32 v8, v8, v4, v7
	v_cvt_i32_f32_e32 v8, v8
	global_store_b8 v[0:1], v8, off
	v_add_co_u32 v0, vcc_lo, v0, 16
	v_add_co_ci_u32_e32 v1, vcc_lo, 0, v1, vcc_lo
	s_and_not1_b32 exec_lo, exec_lo, s2
	s_cbranch_execnz .LBB0_32
.LBB0_33:
	s_set_inst_prefetch_distance 0x2
	s_or_b32 exec_lo, exec_lo, s1
                                        ; implicit-def: $vgpr9
                                        ; implicit-def: $vgpr5
                                        ; implicit-def: $vgpr10
                                        ; implicit-def: $vgpr1_vgpr2
.LBB0_34:
	s_and_not1_saveexec_b32 s0, s8
	s_cbranch_execz .LBB0_38
; %bb.35:
	s_ashr_i32 s8, s14, 2
	s_mov_b32 s0, exec_lo
	v_cmpx_gt_i32_e64 s8, v9
	s_cbranch_execz .LBB0_38
; %bb.36:
	v_lshlrev_b32_e32 v0, 2, v9
	v_lshlrev_b32_e32 v3, 2, v10
	;; [unrolled: 1-line block ×3, first 2 shown]
	s_delay_alu instid0(VALU_DEP_3) | instskip(SKIP_1) | instid1(VALU_DEP_3)
	v_add_co_u32 v0, vcc_lo, v1, v0
	v_add_co_ci_u32_e32 v1, vcc_lo, 0, v2, vcc_lo
	v_add3_u32 v2, v3, v4, 0
	s_delay_alu instid0(VALU_DEP_3) | instskip(NEXT) | instid1(VALU_DEP_3)
	v_add_co_u32 v0, vcc_lo, s4, v0
	v_add_co_ci_u32_e32 v1, vcc_lo, s5, v1, vcc_lo
	v_max_f32_e64 v3, s6, s6
	v_max_f32_e64 v4, s7, s7
	s_mov_b32 s4, 0
.LBB0_37:                               ; =>This Inner Loop Header: Depth=1
	ds_load_b128 v[10:13], v2
	s_waitcnt lgkmcnt(0)
	v_div_scale_f32 v6, null, v5, v5, v10
	v_div_scale_f32 v8, null, v5, v5, v11
	;; [unrolled: 1-line block ×3, first 2 shown]
	s_delay_alu instid0(VALU_DEP_3) | instskip(NEXT) | instid1(VALU_DEP_2)
	v_rcp_f32_e32 v19, v6
	v_rcp_f32_e32 v20, v8
	v_div_scale_f32 v17, null, v5, v5, v13
	s_delay_alu instid0(VALU_DEP_2) | instskip(SKIP_1) | instid1(VALU_DEP_2)
	v_rcp_f32_e32 v21, v15
	v_div_scale_f32 v7, vcc_lo, v10, v5, v10
	v_rcp_f32_e32 v22, v17
	v_div_scale_f32 v14, s1, v11, v5, v11
	v_fma_f32 v23, -v6, v19, 1.0
	s_delay_alu instid0(TRANS32_DEP_3) | instskip(SKIP_2) | instid1(TRANS32_DEP_2)
	v_fma_f32 v24, -v8, v20, 1.0
	v_add_nc_u32_e32 v2, 0x100, v2
	v_add_nc_u32_e32 v9, 16, v9
	v_fma_f32 v25, -v15, v21, 1.0
	s_delay_alu instid0(VALU_DEP_4) | instskip(SKIP_1) | instid1(TRANS32_DEP_1)
	v_dual_fmac_f32 v19, v23, v19 :: v_dual_fmac_f32 v20, v24, v20
	v_div_scale_f32 v16, s2, v12, v5, v12
	v_fma_f32 v26, -v17, v22, 1.0
	s_delay_alu instid0(VALU_DEP_4) | instskip(NEXT) | instid1(VALU_DEP_4)
	v_fmac_f32_e32 v21, v25, v21
	v_dual_mul_f32 v23, v7, v19 :: v_dual_mul_f32 v24, v14, v20
	v_div_scale_f32 v18, s3, v13, v5, v13
	s_delay_alu instid0(VALU_DEP_3) | instskip(NEXT) | instid1(VALU_DEP_3)
	v_dual_fmac_f32 v22, v26, v22 :: v_dual_mul_f32 v25, v16, v21
	v_fma_f32 v27, -v6, v23, v7
	s_delay_alu instid0(VALU_DEP_4) | instskip(SKIP_1) | instid1(VALU_DEP_4)
	v_fma_f32 v28, -v8, v24, v14
	v_cmp_le_i32_e64 s0, s8, v9
	v_mul_f32_e32 v26, v18, v22
	v_fma_f32 v29, -v15, v25, v16
	s_delay_alu instid0(VALU_DEP_4) | instskip(NEXT) | instid1(VALU_DEP_4)
	v_dual_fmac_f32 v23, v27, v19 :: v_dual_fmac_f32 v24, v28, v20
	s_or_b32 s4, s0, s4
	s_delay_alu instid0(VALU_DEP_3) | instskip(NEXT) | instid1(VALU_DEP_3)
	v_fma_f32 v30, -v17, v26, v18
	v_fmac_f32_e32 v25, v29, v21
	s_delay_alu instid0(VALU_DEP_3) | instskip(SKIP_1) | instid1(VALU_DEP_4)
	v_fma_f32 v6, -v6, v23, v7
	v_fma_f32 v7, -v8, v24, v14
	v_fmac_f32_e32 v26, v30, v22
	s_delay_alu instid0(VALU_DEP_4) | instskip(NEXT) | instid1(VALU_DEP_4)
	v_fma_f32 v8, -v15, v25, v16
	v_div_fmas_f32 v6, v6, v19, v23
	s_mov_b32 vcc_lo, s1
	v_div_fmas_f32 v7, v7, v20, v24
	s_mov_b32 vcc_lo, s2
	v_fma_f32 v14, -v17, v26, v18
	v_div_fmas_f32 v8, v8, v21, v25
	s_mov_b32 vcc_lo, s3
	v_div_fixup_f32 v6, v6, v5, v10
	v_div_fixup_f32 v7, v7, v5, v11
	v_div_fmas_f32 v10, v14, v22, v26
	v_div_fixup_f32 v8, v8, v5, v12
	s_delay_alu instid0(VALU_DEP_4) | instskip(NEXT) | instid1(VALU_DEP_4)
	v_maxmin_f32 v6, v6, v3, v4
	v_maxmin_f32 v7, v7, v3, v4
	s_delay_alu instid0(VALU_DEP_4) | instskip(NEXT) | instid1(VALU_DEP_4)
	v_div_fixup_f32 v10, v10, v5, v13
	v_maxmin_f32 v8, v8, v3, v4
	s_delay_alu instid0(VALU_DEP_4) | instskip(NEXT) | instid1(VALU_DEP_4)
	v_cvt_i32_f32_e32 v6, v6
	v_cvt_i32_f32_e32 v7, v7
	s_delay_alu instid0(VALU_DEP_4) | instskip(NEXT) | instid1(VALU_DEP_4)
	v_maxmin_f32 v10, v10, v3, v4
	v_cvt_i32_f32_e32 v8, v8
	s_delay_alu instid0(VALU_DEP_4) | instskip(NEXT) | instid1(VALU_DEP_4)
	v_and_b32_e32 v6, 0xff, v6
	v_and_b32_e32 v7, 0xff, v7
	s_delay_alu instid0(VALU_DEP_4) | instskip(NEXT) | instid1(VALU_DEP_4)
	v_cvt_i32_f32_e32 v10, v10
	v_and_b32_e32 v8, 0xff, v8
	s_delay_alu instid0(VALU_DEP_3) | instskip(NEXT) | instid1(VALU_DEP_2)
	v_lshlrev_b32_e32 v7, 8, v7
	v_lshlrev_b32_e32 v8, 16, v8
	s_delay_alu instid0(VALU_DEP_1) | instskip(NEXT) | instid1(VALU_DEP_1)
	v_lshl_or_b32 v8, v10, 24, v8
	v_or3_b32 v6, v8, v7, v6
	global_store_b32 v[0:1], v6, off
	v_add_co_u32 v0, vcc_lo, v0, 64
	v_add_co_ci_u32_e32 v1, vcc_lo, 0, v1, vcc_lo
	s_and_not1_b32 exec_lo, exec_lo, s4
	s_cbranch_execnz .LBB0_37
.LBB0_38:
	s_nop 0
	s_sendmsg sendmsg(MSG_DEALLOC_VGPRS)
	s_endpgm
	.section	.rodata,"a",@progbits
	.p2align	6, 0x0
	.amdhsa_kernel _Z33per_token_group_quant_8bit_kernelIfaLb1ELb1EfEvPKT_PvPT3_iiifffii
		.amdhsa_group_segment_fixed_size 0
		.amdhsa_private_segment_fixed_size 0
		.amdhsa_kernarg_size 56
		.amdhsa_user_sgpr_count 15
		.amdhsa_user_sgpr_dispatch_ptr 0
		.amdhsa_user_sgpr_queue_ptr 0
		.amdhsa_user_sgpr_kernarg_segment_ptr 1
		.amdhsa_user_sgpr_dispatch_id 0
		.amdhsa_user_sgpr_private_segment_size 0
		.amdhsa_wavefront_size32 1
		.amdhsa_uses_dynamic_stack 0
		.amdhsa_enable_private_segment 0
		.amdhsa_system_sgpr_workgroup_id_x 1
		.amdhsa_system_sgpr_workgroup_id_y 0
		.amdhsa_system_sgpr_workgroup_id_z 0
		.amdhsa_system_sgpr_workgroup_info 0
		.amdhsa_system_vgpr_workitem_id 0
		.amdhsa_next_free_vgpr 40
		.amdhsa_next_free_sgpr 17
		.amdhsa_reserve_vcc 1
		.amdhsa_float_round_mode_32 0
		.amdhsa_float_round_mode_16_64 0
		.amdhsa_float_denorm_mode_32 3
		.amdhsa_float_denorm_mode_16_64 3
		.amdhsa_dx10_clamp 1
		.amdhsa_ieee_mode 1
		.amdhsa_fp16_overflow 0
		.amdhsa_workgroup_processor_mode 1
		.amdhsa_memory_ordered 1
		.amdhsa_forward_progress 0
		.amdhsa_shared_vgpr_count 0
		.amdhsa_exception_fp_ieee_invalid_op 0
		.amdhsa_exception_fp_denorm_src 0
		.amdhsa_exception_fp_ieee_div_zero 0
		.amdhsa_exception_fp_ieee_overflow 0
		.amdhsa_exception_fp_ieee_underflow 0
		.amdhsa_exception_fp_ieee_inexact 0
		.amdhsa_exception_int_div_zero 0
	.end_amdhsa_kernel
	.section	.text._Z33per_token_group_quant_8bit_kernelIfaLb1ELb1EfEvPKT_PvPT3_iiifffii,"axG",@progbits,_Z33per_token_group_quant_8bit_kernelIfaLb1ELb1EfEvPKT_PvPT3_iiifffii,comdat
.Lfunc_end0:
	.size	_Z33per_token_group_quant_8bit_kernelIfaLb1ELb1EfEvPKT_PvPT3_iiifffii, .Lfunc_end0-_Z33per_token_group_quant_8bit_kernelIfaLb1ELb1EfEvPKT_PvPT3_iiifffii
                                        ; -- End function
	.section	.AMDGPU.csdata,"",@progbits
; Kernel info:
; codeLenInByte = 4360
; NumSgprs: 19
; NumVgprs: 40
; ScratchSize: 0
; MemoryBound: 0
; FloatMode: 240
; IeeeMode: 1
; LDSByteSize: 0 bytes/workgroup (compile time only)
; SGPRBlocks: 2
; VGPRBlocks: 4
; NumSGPRsForWavesPerEU: 19
; NumVGPRsForWavesPerEU: 40
; Occupancy: 16
; WaveLimiterHint : 0
; COMPUTE_PGM_RSRC2:SCRATCH_EN: 0
; COMPUTE_PGM_RSRC2:USER_SGPR: 15
; COMPUTE_PGM_RSRC2:TRAP_HANDLER: 0
; COMPUTE_PGM_RSRC2:TGID_X_EN: 1
; COMPUTE_PGM_RSRC2:TGID_Y_EN: 0
; COMPUTE_PGM_RSRC2:TGID_Z_EN: 0
; COMPUTE_PGM_RSRC2:TIDIG_COMP_CNT: 0
	.section	.text._Z33per_token_group_quant_8bit_kernelIfaLb1ELb0EfEvPKT_PvPT3_iiifffii,"axG",@progbits,_Z33per_token_group_quant_8bit_kernelIfaLb1ELb0EfEvPKT_PvPT3_iiifffii,comdat
	.protected	_Z33per_token_group_quant_8bit_kernelIfaLb1ELb0EfEvPKT_PvPT3_iiifffii ; -- Begin function _Z33per_token_group_quant_8bit_kernelIfaLb1ELb0EfEvPKT_PvPT3_iiifffii
	.globl	_Z33per_token_group_quant_8bit_kernelIfaLb1ELb0EfEvPKT_PvPT3_iiifffii
	.p2align	8
	.type	_Z33per_token_group_quant_8bit_kernelIfaLb1ELb0EfEvPKT_PvPT3_iiifffii,@function
_Z33per_token_group_quant_8bit_kernelIfaLb1ELb0EfEvPKT_PvPT3_iiifffii: ; @_Z33per_token_group_quant_8bit_kernelIfaLb1ELb0EfEvPKT_PvPT3_iiifffii
; %bb.0:
	s_clause 0x1
	s_load_b128 s[4:7], s[0:1], 0x20
	s_load_b32 s14, s[0:1], 0x18
	v_lshrrev_b32_e32 v7, 4, v0
	s_clause 0x1
	s_load_b64 s[2:3], s[0:1], 0x30
	s_load_b64 s[8:9], s[0:1], 0x0
	v_and_b32_e32 v9, 15, v0
                                        ; implicit-def: $vgpr13
	s_waitcnt lgkmcnt(0)
	s_mul_i32 s15, s15, s4
	v_mul_lo_u32 v10, v7, s14
	v_add_co_u32 v11, s4, s15, v7
	s_delay_alu instid0(VALU_DEP_1) | instskip(SKIP_1) | instid1(VALU_DEP_2)
	v_add_co_ci_u32_e64 v12, null, 0, 0, s4
	s_ashr_i32 s4, s14, 31
	v_mad_u64_u32 v[1:2], null, v11, s14, 0
	s_delay_alu instid0(VALU_DEP_2)
	v_mul_lo_u32 v3, v12, s14
	v_mul_lo_u32 v4, v11, s4
	s_and_b32 s4, s14, 3
	v_lshl_add_u32 v0, v10, 2, 0
	s_cmp_eq_u32 s4, 0
	s_cselect_b32 s15, -1, 0
	s_cmp_lg_u32 s4, 0
	s_delay_alu instid0(VALU_DEP_2) | instskip(SKIP_1) | instid1(VALU_DEP_1)
	v_add3_u32 v2, v2, v4, v3
	s_cselect_b32 s4, -1, 0
	v_lshlrev_b64 v[3:4], 2, v[1:2]
	s_delay_alu instid0(VALU_DEP_1) | instskip(SKIP_1) | instid1(VALU_DEP_3)
	v_add_co_u32 v5, vcc_lo, s8, v3
	v_mov_b32_e32 v8, 0
	v_add_co_ci_u32_e32 v6, vcc_lo, s9, v4, vcc_lo
	s_delay_alu instid0(VALU_DEP_3) | instskip(NEXT) | instid1(VALU_DEP_1)
	v_and_b32_e32 v7, 15, v5
	v_cmp_ne_u64_e32 vcc_lo, 0, v[7:8]
	s_or_b32 s4, s4, vcc_lo
	s_delay_alu instid0(SALU_CYCLE_1) | instskip(NEXT) | instid1(SALU_CYCLE_1)
	s_and_saveexec_b32 s10, s4
	s_xor_b32 s4, exec_lo, s10
	s_cbranch_execz .LBB1_12
; %bb.1:
	v_sub_nc_u32_e32 v7, 0, v5
	v_mov_b32_e32 v13, s5
	s_mov_b32 s10, exec_lo
	s_delay_alu instid0(VALU_DEP_2) | instskip(NEXT) | instid1(VALU_DEP_1)
	v_bfe_u32 v7, v7, 2, 2
	v_min_i32_e32 v7, s14, v7
	s_delay_alu instid0(VALU_DEP_1)
	v_cmpx_gt_i32_e64 v7, v9
	s_cbranch_execz .LBB1_3
; %bb.2:
	v_max_f32_e64 v13, s5, s5
	v_lshlrev_b32_e32 v8, 2, v9
	s_delay_alu instid0(VALU_DEP_1) | instskip(SKIP_4) | instid1(VALU_DEP_1)
	v_add_co_u32 v5, vcc_lo, v5, v8
	v_add_co_ci_u32_e32 v6, vcc_lo, 0, v6, vcc_lo
	global_load_b32 v5, v[5:6], off
	s_waitcnt vmcnt(0)
	v_max_f32_e64 v6, |v5|, |v5|
	v_dual_max_f32 v13, v13, v6 :: v_dual_add_nc_u32 v8, v0, v8
	ds_store_b32 v8, v5
.LBB1_3:
	s_or_b32 exec_lo, exec_lo, s10
	v_sub_nc_u32_e32 v14, s14, v7
	v_ashrrev_i32_e32 v8, 31, v7
	v_lshlrev_b32_e32 v15, 2, v7
	s_mov_b32 s10, exec_lo
	s_delay_alu instid0(VALU_DEP_3) | instskip(NEXT) | instid1(VALU_DEP_1)
	v_ashrrev_i32_e32 v5, 31, v14
	v_lshrrev_b32_e32 v5, 30, v5
	s_delay_alu instid0(VALU_DEP_1) | instskip(NEXT) | instid1(VALU_DEP_1)
	v_add_nc_u32_e32 v5, v14, v5
	v_ashrrev_i32_e32 v16, 2, v5
	v_lshlrev_b64 v[5:6], 2, v[7:8]
	s_delay_alu instid0(VALU_DEP_2)
	v_cmpx_gt_i32_e64 v16, v9
	s_cbranch_execz .LBB1_7
; %bb.4:
	v_lshlrev_b32_e32 v7, 4, v9
	s_mov_b32 s11, 0
	s_delay_alu instid0(VALU_DEP_1) | instskip(SKIP_2) | instid1(VALU_DEP_3)
	v_add_co_u32 v8, vcc_lo, v3, v7
	v_add_co_ci_u32_e32 v17, vcc_lo, 0, v4, vcc_lo
	v_lshl_add_u32 v7, v10, 2, v7
	v_add_co_u32 v8, vcc_lo, v8, v5
	s_delay_alu instid0(VALU_DEP_3) | instskip(NEXT) | instid1(VALU_DEP_2)
	v_add_co_ci_u32_e32 v17, vcc_lo, v17, v6, vcc_lo
	v_add_co_u32 v8, vcc_lo, v8, s8
	s_delay_alu instid0(VALU_DEP_2) | instskip(SKIP_1) | instid1(VALU_DEP_3)
	v_add_co_ci_u32_e32 v18, vcc_lo, s9, v17, vcc_lo
	v_add3_u32 v17, v7, v15, 0
	v_add_co_u32 v7, vcc_lo, v8, 8
	s_delay_alu instid0(VALU_DEP_3)
	v_add_co_ci_u32_e32 v8, vcc_lo, 0, v18, vcc_lo
	v_mov_b32_e32 v18, v9
	.p2align	6
.LBB1_5:                                ; =>This Inner Loop Header: Depth=1
	global_load_b128 v[19:22], v[7:8], off offset:-8
	v_add_nc_u32_e32 v18, 16, v18
	v_add_co_u32 v7, vcc_lo, 0x100, v7
	v_add_co_ci_u32_e32 v8, vcc_lo, 0, v8, vcc_lo
	s_delay_alu instid0(VALU_DEP_3)
	v_cmp_ge_i32_e32 vcc_lo, v18, v16
	s_or_b32 s11, vcc_lo, s11
	s_waitcnt vmcnt(0)
	v_max3_f32 v13, v13, |v19|, |v20|
	ds_store_b128 v17, v[19:22]
	v_add_nc_u32_e32 v17, 0x100, v17
	v_max3_f32 v13, v13, |v21|, |v22|
	s_and_not1_b32 exec_lo, exec_lo, s11
	s_cbranch_execnz .LBB1_5
; %bb.6:
	s_or_b32 exec_lo, exec_lo, s11
.LBB1_7:
	s_delay_alu instid0(SALU_CYCLE_1) | instskip(SKIP_2) | instid1(VALU_DEP_1)
	s_or_b32 exec_lo, exec_lo, s10
	v_lshl_add_u32 v7, v16, 2, v9
	s_mov_b32 s10, exec_lo
	v_cmpx_lt_i32_e64 v7, v14
	s_cbranch_execz .LBB1_11
; %bb.8:
	v_ashrrev_i32_e32 v8, 31, v7
	v_lshlrev_b32_e32 v19, 4, v16
	v_add_co_u32 v3, vcc_lo, v3, v5
	v_lshlrev_b32_e32 v18, 2, v10
	s_delay_alu instid0(VALU_DEP_4) | instskip(SKIP_2) | instid1(VALU_DEP_4)
	v_lshlrev_b64 v[16:17], 2, v[7:8]
	v_add_co_ci_u32_e32 v4, vcc_lo, v4, v6, vcc_lo
	v_lshlrev_b32_e32 v20, 2, v9
	v_add3_u32 v5, v18, v19, v15
	s_mov_b32 s11, 0
	s_delay_alu instid0(VALU_DEP_4) | instskip(SKIP_1) | instid1(VALU_DEP_3)
	v_add_co_u32 v3, vcc_lo, v3, v16
	v_add_co_ci_u32_e32 v4, vcc_lo, v4, v17, vcc_lo
	v_add3_u32 v5, v5, v20, 0
	s_delay_alu instid0(VALU_DEP_3) | instskip(NEXT) | instid1(VALU_DEP_3)
	v_add_co_u32 v3, vcc_lo, s8, v3
	v_add_co_ci_u32_e32 v4, vcc_lo, s9, v4, vcc_lo
	.p2align	6
.LBB1_9:                                ; =>This Inner Loop Header: Depth=1
	global_load_b32 v6, v[3:4], off
	v_dual_max_f32 v8, v13, v13 :: v_dual_add_nc_u32 v7, 16, v7
	v_add_co_u32 v3, vcc_lo, v3, 64
	v_add_co_ci_u32_e32 v4, vcc_lo, 0, v4, vcc_lo
	s_delay_alu instid0(VALU_DEP_3)
	v_cmp_ge_i32_e32 vcc_lo, v7, v14
	s_or_b32 s11, vcc_lo, s11
	s_waitcnt vmcnt(0)
	v_max_f32_e64 v13, |v6|, |v6|
	ds_store_b32 v5, v6
	v_add_nc_u32_e32 v5, 64, v5
	v_max_f32_e32 v13, v8, v13
	s_and_not1_b32 exec_lo, exec_lo, s11
	s_cbranch_execnz .LBB1_9
; %bb.10:
	s_or_b32 exec_lo, exec_lo, s11
.LBB1_11:
	s_delay_alu instid0(SALU_CYCLE_1)
	s_or_b32 exec_lo, exec_lo, s10
                                        ; implicit-def: $vgpr3_vgpr4
.LBB1_12:
	s_and_not1_saveexec_b32 s4, s4
	s_cbranch_execz .LBB1_18
; %bb.13:
	v_mov_b32_e32 v13, s5
	s_ashr_i32 s11, s14, 2
	s_mov_b32 s10, exec_lo
	v_cmpx_gt_i32_e64 s11, v9
	s_cbranch_execz .LBB1_17
; %bb.14:
	v_lshlrev_b32_e32 v5, 4, v9
	v_dual_mov_b32 v13, s5 :: v_dual_lshlrev_b32 v6, 2, v10
	s_mov_b32 s5, 0
	s_delay_alu instid0(VALU_DEP_2) | instskip(SKIP_1) | instid1(VALU_DEP_3)
	v_add_co_u32 v3, vcc_lo, v3, v5
	v_add_co_ci_u32_e32 v4, vcc_lo, 0, v4, vcc_lo
	v_add3_u32 v5, v6, v5, 0
	s_delay_alu instid0(VALU_DEP_3) | instskip(NEXT) | instid1(VALU_DEP_3)
	v_add_co_u32 v3, vcc_lo, v3, s8
	v_add_co_ci_u32_e32 v4, vcc_lo, s9, v4, vcc_lo
	v_mov_b32_e32 v6, v9
	s_delay_alu instid0(VALU_DEP_3) | instskip(NEXT) | instid1(VALU_DEP_3)
	v_add_co_u32 v3, vcc_lo, v3, 8
	v_add_co_ci_u32_e32 v4, vcc_lo, 0, v4, vcc_lo
	.p2align	6
.LBB1_15:                               ; =>This Inner Loop Header: Depth=1
	global_load_b128 v[14:17], v[3:4], off offset:-8
	v_add_nc_u32_e32 v6, 16, v6
	v_add_co_u32 v3, vcc_lo, 0x100, v3
	v_add_co_ci_u32_e32 v4, vcc_lo, 0, v4, vcc_lo
	s_delay_alu instid0(VALU_DEP_3)
	v_cmp_le_i32_e32 vcc_lo, s11, v6
	s_or_b32 s5, vcc_lo, s5
	s_waitcnt vmcnt(0)
	v_max3_f32 v7, v13, |v14|, |v15|
	ds_store_b128 v5, v[14:17]
	v_add_nc_u32_e32 v5, 0x100, v5
	v_max3_f32 v13, v7, |v16|, |v17|
	s_and_not1_b32 exec_lo, exec_lo, s5
	s_cbranch_execnz .LBB1_15
; %bb.16:
	s_or_b32 exec_lo, exec_lo, s5
.LBB1_17:
	s_delay_alu instid0(SALU_CYCLE_1)
	s_or_b32 exec_lo, exec_lo, s10
.LBB1_18:
	s_delay_alu instid0(SALU_CYCLE_1) | instskip(SKIP_4) | instid1(VALU_DEP_2)
	s_or_b32 exec_lo, exec_lo, s4
	v_mbcnt_lo_u32_b32 v3, -1, 0
	s_load_b64 s[4:5], s[0:1], 0x8
	s_mov_b32 s16, exec_lo
	v_max_f32_e32 v7, v13, v13
	v_xor_b32_e32 v5, 8, v3
	v_and_b32_e32 v4, 16, v3
	v_xor_b32_e32 v6, 4, v3
	s_delay_alu instid0(VALU_DEP_2) | instskip(NEXT) | instid1(VALU_DEP_1)
	v_add_nc_u32_e32 v4, 16, v4
	v_cmp_lt_i32_e32 vcc_lo, v5, v4
	v_cndmask_b32_e32 v5, v3, v5, vcc_lo
	s_delay_alu instid0(VALU_DEP_4) | instskip(NEXT) | instid1(VALU_DEP_2)
	v_cmp_lt_i32_e32 vcc_lo, v6, v4
	v_dual_cndmask_b32 v6, v3, v6 :: v_dual_lshlrev_b32 v5, 2, v5
	ds_bpermute_b32 v5, v5, v13
	s_waitcnt lgkmcnt(0)
	v_dual_max_f32 v5, v5, v5 :: v_dual_lshlrev_b32 v6, 2, v6
	s_delay_alu instid0(VALU_DEP_1)
	v_max_f32_e32 v5, v7, v5
	v_xor_b32_e32 v7, 2, v3
	ds_bpermute_b32 v6, v6, v5
	v_cmp_lt_i32_e32 vcc_lo, v7, v4
	s_waitcnt lgkmcnt(0)
	v_dual_cndmask_b32 v7, v3, v7 :: v_dual_max_f32 v6, v6, v6
	s_delay_alu instid0(VALU_DEP_1) | instskip(NEXT) | instid1(VALU_DEP_2)
	v_max_f32_e32 v5, v5, v6
	v_lshlrev_b32_e32 v7, 2, v7
	ds_bpermute_b32 v6, v7, v5
	v_xor_b32_e32 v7, 1, v3
	s_delay_alu instid0(VALU_DEP_1) | instskip(SKIP_2) | instid1(VALU_DEP_1)
	v_cmp_lt_i32_e32 vcc_lo, v7, v4
	v_cndmask_b32_e32 v3, v3, v7, vcc_lo
	s_waitcnt lgkmcnt(0)
	v_dual_max_f32 v4, v6, v6 :: v_dual_lshlrev_b32 v3, 2, v3
	s_delay_alu instid0(VALU_DEP_1) | instskip(SKIP_3) | instid1(VALU_DEP_1)
	v_max_f32_e32 v4, v5, v4
	ds_bpermute_b32 v3, v3, v4
	s_waitcnt lgkmcnt(0)
	v_max_f32_e32 v3, v3, v3
	v_max_f32_e32 v3, v4, v3
	s_delay_alu instid0(VALU_DEP_1) | instskip(SKIP_1) | instid1(VALU_DEP_2)
	v_div_scale_f32 v4, null, s7, s7, v3
	v_div_scale_f32 v7, vcc_lo, v3, s7, v3
	v_rcp_f32_e32 v5, v4
	s_waitcnt_depctr 0xfff
	v_fma_f32 v6, -v4, v5, 1.0
	s_delay_alu instid0(VALU_DEP_1) | instskip(NEXT) | instid1(VALU_DEP_1)
	v_fmac_f32_e32 v5, v6, v5
	v_mul_f32_e32 v6, v7, v5
	s_delay_alu instid0(VALU_DEP_1) | instskip(NEXT) | instid1(VALU_DEP_1)
	v_fma_f32 v8, -v4, v6, v7
	v_fmac_f32_e32 v6, v8, v5
	s_delay_alu instid0(VALU_DEP_1) | instskip(NEXT) | instid1(VALU_DEP_1)
	v_fma_f32 v4, -v4, v6, v7
	v_div_fmas_f32 v4, v4, v5, v6
	s_delay_alu instid0(VALU_DEP_1)
	v_div_fixup_f32 v5, v4, s7, v3
	v_cmpx_eq_u32_e32 0, v9
	s_cbranch_execz .LBB1_24
; %bb.19:
	s_load_b64 s[8:9], s[0:1], 0x10
	s_ashr_i32 s0, s2, 31
	v_mov_b32_e32 v3, 0
	v_or_b32_e32 v4, s0, v12
	s_mov_b32 s1, s2
	s_delay_alu instid0(VALU_DEP_1) | instskip(SKIP_1) | instid1(SALU_CYCLE_1)
	v_cmp_ne_u64_e32 vcc_lo, 0, v[3:4]
                                        ; implicit-def: $vgpr3_vgpr4
	s_and_saveexec_b32 s2, vcc_lo
	s_xor_b32 s2, exec_lo, s2
	s_cbranch_execz .LBB1_21
; %bb.20:
	s_add_u32 s12, s1, s0
	s_mov_b32 s10, s0
	s_mov_b32 s11, s0
	s_addc_u32 s13, s0, s0
	s_delay_alu instid0(SALU_CYCLE_1) | instskip(NEXT) | instid1(SALU_CYCLE_1)
	s_xor_b64 s[12:13], s[12:13], s[10:11]
	v_cvt_f32_u32_e32 v3, s12
	v_cvt_f32_u32_e32 v4, s13
	s_sub_u32 s0, 0, s12
	s_subb_u32 s11, 0, s13
	s_delay_alu instid0(VALU_DEP_1) | instskip(NEXT) | instid1(VALU_DEP_1)
	v_fmamk_f32 v3, v4, 0x4f800000, v3
	v_rcp_f32_e32 v3, v3
	s_waitcnt_depctr 0xfff
	v_mul_f32_e32 v3, 0x5f7ffffc, v3
	s_delay_alu instid0(VALU_DEP_1) | instskip(NEXT) | instid1(VALU_DEP_1)
	v_mul_f32_e32 v4, 0x2f800000, v3
	v_trunc_f32_e32 v4, v4
	s_delay_alu instid0(VALU_DEP_1) | instskip(SKIP_1) | instid1(VALU_DEP_2)
	v_fmamk_f32 v3, v4, 0xcf800000, v3
	v_cvt_u32_f32_e32 v4, v4
	v_cvt_u32_f32_e32 v3, v3
	s_delay_alu instid0(VALU_DEP_2) | instskip(NEXT) | instid1(VALU_DEP_2)
	v_mul_lo_u32 v6, s0, v4
	v_mul_hi_u32 v7, s0, v3
	v_mul_lo_u32 v8, s11, v3
	s_delay_alu instid0(VALU_DEP_2) | instskip(SKIP_1) | instid1(VALU_DEP_2)
	v_add_nc_u32_e32 v6, v7, v6
	v_mul_lo_u32 v7, s0, v3
	v_add_nc_u32_e32 v6, v6, v8
	s_delay_alu instid0(VALU_DEP_2) | instskip(NEXT) | instid1(VALU_DEP_2)
	v_mul_hi_u32 v8, v3, v7
	v_mul_lo_u32 v13, v3, v6
	v_mul_hi_u32 v14, v3, v6
	v_mul_hi_u32 v15, v4, v7
	v_mul_lo_u32 v7, v4, v7
	v_mul_hi_u32 v16, v4, v6
	v_mul_lo_u32 v6, v4, v6
	v_add_co_u32 v8, vcc_lo, v8, v13
	v_add_co_ci_u32_e32 v13, vcc_lo, 0, v14, vcc_lo
	s_delay_alu instid0(VALU_DEP_2) | instskip(NEXT) | instid1(VALU_DEP_2)
	v_add_co_u32 v7, vcc_lo, v8, v7
	v_add_co_ci_u32_e32 v7, vcc_lo, v13, v15, vcc_lo
	v_add_co_ci_u32_e32 v8, vcc_lo, 0, v16, vcc_lo
	s_delay_alu instid0(VALU_DEP_2) | instskip(NEXT) | instid1(VALU_DEP_2)
	v_add_co_u32 v6, vcc_lo, v7, v6
	v_add_co_ci_u32_e32 v7, vcc_lo, 0, v8, vcc_lo
	s_delay_alu instid0(VALU_DEP_2) | instskip(NEXT) | instid1(VALU_DEP_2)
	v_add_co_u32 v3, vcc_lo, v3, v6
	v_add_co_ci_u32_e32 v4, vcc_lo, v4, v7, vcc_lo
	s_delay_alu instid0(VALU_DEP_2) | instskip(SKIP_1) | instid1(VALU_DEP_3)
	v_mul_hi_u32 v6, s0, v3
	v_mul_lo_u32 v8, s11, v3
	v_mul_lo_u32 v7, s0, v4
	s_delay_alu instid0(VALU_DEP_1) | instskip(SKIP_1) | instid1(VALU_DEP_2)
	v_add_nc_u32_e32 v6, v6, v7
	v_mul_lo_u32 v7, s0, v3
	v_add_nc_u32_e32 v6, v6, v8
	s_delay_alu instid0(VALU_DEP_2) | instskip(NEXT) | instid1(VALU_DEP_2)
	v_mul_hi_u32 v8, v3, v7
	v_mul_lo_u32 v13, v3, v6
	v_mul_hi_u32 v14, v3, v6
	v_mul_hi_u32 v15, v4, v7
	v_mul_lo_u32 v7, v4, v7
	v_mul_hi_u32 v16, v4, v6
	v_mul_lo_u32 v6, v4, v6
	v_add_co_u32 v8, vcc_lo, v8, v13
	v_add_co_ci_u32_e32 v13, vcc_lo, 0, v14, vcc_lo
	s_delay_alu instid0(VALU_DEP_2) | instskip(NEXT) | instid1(VALU_DEP_2)
	v_add_co_u32 v7, vcc_lo, v8, v7
	v_add_co_ci_u32_e32 v7, vcc_lo, v13, v15, vcc_lo
	v_add_co_ci_u32_e32 v8, vcc_lo, 0, v16, vcc_lo
	s_delay_alu instid0(VALU_DEP_2) | instskip(NEXT) | instid1(VALU_DEP_2)
	v_add_co_u32 v6, vcc_lo, v7, v6
	v_add_co_ci_u32_e32 v7, vcc_lo, 0, v8, vcc_lo
	s_delay_alu instid0(VALU_DEP_2) | instskip(NEXT) | instid1(VALU_DEP_2)
	v_add_co_u32 v8, vcc_lo, v3, v6
	v_add_co_ci_u32_e32 v15, vcc_lo, v4, v7, vcc_lo
	s_delay_alu instid0(VALU_DEP_2) | instskip(SKIP_1) | instid1(VALU_DEP_3)
	v_mul_hi_u32 v16, v11, v8
	v_mad_u64_u32 v[6:7], null, v12, v8, 0
	v_mad_u64_u32 v[3:4], null, v11, v15, 0
	;; [unrolled: 1-line block ×3, first 2 shown]
	s_delay_alu instid0(VALU_DEP_2) | instskip(NEXT) | instid1(VALU_DEP_3)
	v_add_co_u32 v3, vcc_lo, v16, v3
	v_add_co_ci_u32_e32 v4, vcc_lo, 0, v4, vcc_lo
	s_delay_alu instid0(VALU_DEP_2) | instskip(NEXT) | instid1(VALU_DEP_2)
	v_add_co_u32 v3, vcc_lo, v3, v6
	v_add_co_ci_u32_e32 v3, vcc_lo, v4, v7, vcc_lo
	v_add_co_ci_u32_e32 v4, vcc_lo, 0, v14, vcc_lo
	s_delay_alu instid0(VALU_DEP_2) | instskip(NEXT) | instid1(VALU_DEP_2)
	v_add_co_u32 v6, vcc_lo, v3, v13
	v_add_co_ci_u32_e32 v7, vcc_lo, 0, v4, vcc_lo
	s_delay_alu instid0(VALU_DEP_2) | instskip(SKIP_1) | instid1(VALU_DEP_3)
	v_mul_lo_u32 v8, s13, v6
	v_mad_u64_u32 v[3:4], null, s12, v6, 0
	v_mul_lo_u32 v7, s12, v7
	s_delay_alu instid0(VALU_DEP_2) | instskip(NEXT) | instid1(VALU_DEP_2)
	v_sub_co_u32 v3, vcc_lo, v11, v3
	v_add3_u32 v4, v4, v7, v8
	v_add_co_u32 v8, s0, v6, 2
	s_delay_alu instid0(VALU_DEP_2) | instskip(NEXT) | instid1(VALU_DEP_1)
	v_sub_nc_u32_e32 v7, v12, v4
	v_subrev_co_ci_u32_e64 v7, s0, s13, v7, vcc_lo
	v_sub_co_u32 v13, s0, v3, s12
	v_sub_co_ci_u32_e32 v4, vcc_lo, v12, v4, vcc_lo
	s_delay_alu instid0(VALU_DEP_3) | instskip(NEXT) | instid1(VALU_DEP_3)
	v_subrev_co_ci_u32_e64 v7, s0, 0, v7, s0
	v_cmp_le_u32_e32 vcc_lo, s12, v13
	v_cndmask_b32_e64 v12, 0, -1, vcc_lo
	s_delay_alu instid0(VALU_DEP_3)
	v_cmp_le_u32_e32 vcc_lo, s13, v7
	v_cndmask_b32_e64 v13, 0, -1, vcc_lo
	v_cmp_le_u32_e32 vcc_lo, s12, v3
	v_cndmask_b32_e64 v3, 0, -1, vcc_lo
	;; [unrolled: 2-line block ×3, first 2 shown]
	v_cmp_eq_u32_e32 vcc_lo, s13, v7
	v_cndmask_b32_e32 v7, v13, v12, vcc_lo
	v_add_co_u32 v12, vcc_lo, v6, 1
	v_cmp_eq_u32_e32 vcc_lo, s13, v4
	v_cndmask_b32_e32 v3, v14, v3, vcc_lo
	s_delay_alu instid0(VALU_DEP_4) | instskip(NEXT) | instid1(VALU_DEP_4)
	v_cmp_ne_u32_e32 vcc_lo, 0, v7
	v_cndmask_b32_e32 v4, v12, v8, vcc_lo
	s_delay_alu instid0(VALU_DEP_3) | instskip(NEXT) | instid1(VALU_DEP_2)
	v_cmp_ne_u32_e32 vcc_lo, 0, v3
	v_cndmask_b32_e32 v3, v6, v4, vcc_lo
	s_delay_alu instid0(VALU_DEP_1) | instskip(NEXT) | instid1(VALU_DEP_1)
	v_xor_b32_e32 v3, s10, v3
	v_sub_co_u32 v3, vcc_lo, v3, s10
.LBB1_21:
	s_and_not1_saveexec_b32 s0, s2
	s_cbranch_execz .LBB1_23
; %bb.22:
	v_cvt_f32_u32_e32 v3, s1
	s_sub_i32 s2, 0, s1
	s_delay_alu instid0(VALU_DEP_1) | instskip(SKIP_2) | instid1(VALU_DEP_1)
	v_rcp_iflag_f32_e32 v3, v3
	s_waitcnt_depctr 0xfff
	v_mul_f32_e32 v3, 0x4f7ffffe, v3
	v_cvt_u32_f32_e32 v3, v3
	s_delay_alu instid0(VALU_DEP_1) | instskip(NEXT) | instid1(VALU_DEP_1)
	v_mul_lo_u32 v4, s2, v3
	v_mul_hi_u32 v4, v3, v4
	s_delay_alu instid0(VALU_DEP_1) | instskip(NEXT) | instid1(VALU_DEP_1)
	v_add_nc_u32_e32 v3, v3, v4
	v_mul_hi_u32 v3, v11, v3
	s_delay_alu instid0(VALU_DEP_1) | instskip(SKIP_1) | instid1(VALU_DEP_2)
	v_mul_lo_u32 v4, v3, s1
	v_add_nc_u32_e32 v6, 1, v3
	v_sub_nc_u32_e32 v4, v11, v4
	s_delay_alu instid0(VALU_DEP_1) | instskip(SKIP_1) | instid1(VALU_DEP_2)
	v_subrev_nc_u32_e32 v7, s1, v4
	v_cmp_le_u32_e32 vcc_lo, s1, v4
	v_dual_cndmask_b32 v4, v4, v7 :: v_dual_cndmask_b32 v3, v3, v6
	s_delay_alu instid0(VALU_DEP_1) | instskip(NEXT) | instid1(VALU_DEP_2)
	v_cmp_le_u32_e32 vcc_lo, s1, v4
	v_add_nc_u32_e32 v6, 1, v3
	s_delay_alu instid0(VALU_DEP_1)
	v_cndmask_b32_e32 v3, v3, v6, vcc_lo
.LBB1_23:
	s_or_b32 exec_lo, exec_lo, s0
	s_delay_alu instid0(VALU_DEP_1) | instskip(NEXT) | instid1(VALU_DEP_1)
	v_mul_lo_u32 v4, v3, s1
	v_sub_nc_u32_e32 v4, v11, v4
	s_delay_alu instid0(VALU_DEP_1) | instskip(NEXT) | instid1(VALU_DEP_1)
	v_mad_u64_u32 v[6:7], null, v4, s3, v[3:4]
	v_ashrrev_i32_e32 v7, 31, v6
	s_delay_alu instid0(VALU_DEP_1) | instskip(SKIP_1) | instid1(VALU_DEP_1)
	v_lshlrev_b64 v[3:4], 2, v[6:7]
	s_waitcnt lgkmcnt(0)
	v_add_co_u32 v3, vcc_lo, s8, v3
	s_delay_alu instid0(VALU_DEP_2)
	v_add_co_ci_u32_e32 v4, vcc_lo, s9, v4, vcc_lo
	global_store_b32 v[3:4], v5, off
.LBB1_24:
	s_or_b32 exec_lo, exec_lo, s16
	v_dual_mov_b32 v4, 0 :: v_dual_and_b32 v3, 15, v0
	s_xor_b32 s0, s15, -1
	s_waitcnt_vscnt null, 0x0
	s_barrier
	buffer_gl0_inv
	v_cmp_ne_u64_e32 vcc_lo, 0, v[3:4]
	s_or_b32 s0, s0, vcc_lo
	s_delay_alu instid0(SALU_CYCLE_1) | instskip(NEXT) | instid1(SALU_CYCLE_1)
	s_and_saveexec_b32 s1, s0
	s_xor_b32 s8, exec_lo, s1
	s_cbranch_execz .LBB1_34
; %bb.25:
	v_sub_nc_u32_e32 v3, 0, v0
	s_mov_b32 s0, exec_lo
	s_delay_alu instid0(VALU_DEP_1) | instskip(NEXT) | instid1(VALU_DEP_1)
	v_bfe_u32 v3, v3, 2, 2
	v_min_i32_e32 v7, s14, v3
	s_delay_alu instid0(VALU_DEP_1)
	v_cmpx_gt_i32_e64 v7, v9
	s_cbranch_execz .LBB1_27
; %bb.26:
	v_lshl_add_u32 v0, v9, 2, v0
	ds_load_b32 v0, v0
	s_waitcnt lgkmcnt(0)
	v_div_scale_f32 v3, null, v5, v5, v0
	v_div_scale_f32 v8, vcc_lo, v0, v5, v0
	s_delay_alu instid0(VALU_DEP_2) | instskip(SKIP_2) | instid1(VALU_DEP_1)
	v_rcp_f32_e32 v4, v3
	s_waitcnt_depctr 0xfff
	v_fma_f32 v6, -v3, v4, 1.0
	v_fmac_f32_e32 v4, v6, v4
	s_delay_alu instid0(VALU_DEP_1) | instskip(NEXT) | instid1(VALU_DEP_1)
	v_mul_f32_e32 v6, v8, v4
	v_fma_f32 v11, -v3, v6, v8
	s_delay_alu instid0(VALU_DEP_1) | instskip(NEXT) | instid1(VALU_DEP_1)
	v_fmac_f32_e32 v6, v11, v4
	v_fma_f32 v3, -v3, v6, v8
	s_delay_alu instid0(VALU_DEP_1) | instskip(SKIP_3) | instid1(VALU_DEP_4)
	v_div_fmas_f32 v3, v3, v4, v6
	v_max_f32_e64 v4, s6, s6
	v_add_co_u32 v6, vcc_lo, s4, v1
	v_add_co_ci_u32_e32 v8, vcc_lo, s5, v2, vcc_lo
	v_div_fixup_f32 v0, v3, v5, v0
	v_max_f32_e64 v3, s7, s7
	s_delay_alu instid0(VALU_DEP_1) | instskip(SKIP_2) | instid1(VALU_DEP_3)
	v_maxmin_f32 v0, v0, v4, v3
	v_add_co_u32 v3, vcc_lo, v6, v9
	v_add_co_ci_u32_e32 v4, vcc_lo, 0, v8, vcc_lo
	v_cvt_i32_f32_e32 v0, v0
	global_store_b8 v[3:4], v0, off
.LBB1_27:
	s_or_b32 exec_lo, exec_lo, s0
	v_sub_nc_u32_e32 v6, s14, v7
	v_lshlrev_b32_e32 v11, 2, v7
	s_mov_b32 s9, exec_lo
	s_delay_alu instid0(VALU_DEP_2) | instskip(NEXT) | instid1(VALU_DEP_1)
	v_ashrrev_i32_e32 v0, 31, v6
	v_lshrrev_b32_e32 v0, 30, v0
	s_delay_alu instid0(VALU_DEP_1) | instskip(NEXT) | instid1(VALU_DEP_1)
	v_add_nc_u32_e32 v0, v6, v0
	v_ashrrev_i32_e32 v8, 2, v0
	v_ashrrev_i32_e32 v0, 31, v7
	s_delay_alu instid0(VALU_DEP_2)
	v_cmpx_gt_i32_e64 v8, v9
	s_cbranch_execz .LBB1_30
; %bb.28:
	v_lshlrev_b32_e32 v3, 4, v9
	v_dual_mov_b32 v15, v9 :: v_dual_lshlrev_b32 v4, 2, v9
	v_add_co_u32 v12, vcc_lo, v7, v1
	v_add_co_ci_u32_e32 v13, vcc_lo, v0, v2, vcc_lo
	s_delay_alu instid0(VALU_DEP_4) | instskip(NEXT) | instid1(VALU_DEP_3)
	v_lshl_add_u32 v3, v10, 2, v3
	v_add_co_u32 v4, vcc_lo, v12, v4
	s_delay_alu instid0(VALU_DEP_3) | instskip(NEXT) | instid1(VALU_DEP_3)
	v_add_co_ci_u32_e32 v13, vcc_lo, 0, v13, vcc_lo
	v_add3_u32 v12, v3, v11, 0
	s_delay_alu instid0(VALU_DEP_3) | instskip(NEXT) | instid1(VALU_DEP_3)
	v_add_co_u32 v3, vcc_lo, s4, v4
	v_add_co_ci_u32_e32 v4, vcc_lo, s5, v13, vcc_lo
	v_max_f32_e64 v13, s6, s6
	v_max_f32_e64 v14, s7, s7
	s_mov_b32 s10, 0
.LBB1_29:                               ; =>This Inner Loop Header: Depth=1
	ds_load_b128 v[16:19], v12
	s_waitcnt lgkmcnt(0)
	v_div_scale_f32 v20, null, v5, v5, v16
	v_div_scale_f32 v22, null, v5, v5, v17
	;; [unrolled: 1-line block ×3, first 2 shown]
	s_delay_alu instid0(VALU_DEP_3) | instskip(NEXT) | instid1(VALU_DEP_2)
	v_rcp_f32_e32 v28, v20
	v_rcp_f32_e32 v29, v22
	v_div_scale_f32 v26, null, v5, v5, v19
	s_delay_alu instid0(VALU_DEP_2) | instskip(SKIP_1) | instid1(VALU_DEP_2)
	v_rcp_f32_e32 v30, v24
	v_div_scale_f32 v21, vcc_lo, v16, v5, v16
	v_rcp_f32_e32 v31, v26
	v_div_scale_f32 v23, s1, v17, v5, v17
	v_fma_f32 v32, -v20, v28, 1.0
	s_delay_alu instid0(TRANS32_DEP_3) | instskip(SKIP_2) | instid1(TRANS32_DEP_2)
	v_fma_f32 v33, -v22, v29, 1.0
	v_add_nc_u32_e32 v15, 16, v15
	v_add_nc_u32_e32 v12, 0x100, v12
	v_fma_f32 v34, -v24, v30, 1.0
	s_delay_alu instid0(VALU_DEP_4) | instskip(SKIP_1) | instid1(TRANS32_DEP_1)
	v_dual_fmac_f32 v28, v32, v28 :: v_dual_fmac_f32 v29, v33, v29
	v_div_scale_f32 v25, s2, v18, v5, v18
	v_fma_f32 v35, -v26, v31, 1.0
	s_delay_alu instid0(VALU_DEP_4) | instskip(NEXT) | instid1(VALU_DEP_4)
	v_fmac_f32_e32 v30, v34, v30
	v_dual_mul_f32 v32, v21, v28 :: v_dual_mul_f32 v33, v23, v29
	v_div_scale_f32 v27, s3, v19, v5, v19
	s_delay_alu instid0(VALU_DEP_3) | instskip(NEXT) | instid1(VALU_DEP_3)
	v_dual_fmac_f32 v31, v35, v31 :: v_dual_mul_f32 v34, v25, v30
	v_fma_f32 v36, -v20, v32, v21
	s_delay_alu instid0(VALU_DEP_4) | instskip(SKIP_1) | instid1(VALU_DEP_4)
	v_fma_f32 v37, -v22, v33, v23
	v_cmp_ge_i32_e64 s0, v15, v8
	v_mul_f32_e32 v35, v27, v31
	v_fma_f32 v38, -v24, v34, v25
	s_delay_alu instid0(VALU_DEP_4) | instskip(NEXT) | instid1(VALU_DEP_4)
	v_dual_fmac_f32 v32, v36, v28 :: v_dual_fmac_f32 v33, v37, v29
	s_or_b32 s10, s0, s10
	s_delay_alu instid0(VALU_DEP_3) | instskip(NEXT) | instid1(VALU_DEP_3)
	v_fma_f32 v39, -v26, v35, v27
	v_fmac_f32_e32 v34, v38, v30
	s_delay_alu instid0(VALU_DEP_3) | instskip(SKIP_1) | instid1(VALU_DEP_4)
	v_fma_f32 v20, -v20, v32, v21
	v_fma_f32 v21, -v22, v33, v23
	v_fmac_f32_e32 v35, v39, v31
	s_delay_alu instid0(VALU_DEP_4) | instskip(NEXT) | instid1(VALU_DEP_4)
	v_fma_f32 v22, -v24, v34, v25
	v_div_fmas_f32 v20, v20, v28, v32
	s_mov_b32 vcc_lo, s1
	v_div_fmas_f32 v21, v21, v29, v33
	s_mov_b32 vcc_lo, s2
	v_fma_f32 v23, -v26, v35, v27
	v_div_fmas_f32 v22, v22, v30, v34
	s_mov_b32 vcc_lo, s3
	v_div_fixup_f32 v16, v20, v5, v16
	v_div_fixup_f32 v17, v21, v5, v17
	v_div_fmas_f32 v20, v23, v31, v35
	v_div_fixup_f32 v18, v22, v5, v18
	s_delay_alu instid0(VALU_DEP_4) | instskip(NEXT) | instid1(VALU_DEP_4)
	v_maxmin_f32 v16, v16, v13, v14
	v_maxmin_f32 v17, v17, v13, v14
	s_delay_alu instid0(VALU_DEP_4) | instskip(NEXT) | instid1(VALU_DEP_4)
	v_div_fixup_f32 v19, v20, v5, v19
	v_maxmin_f32 v18, v18, v13, v14
	s_delay_alu instid0(VALU_DEP_4) | instskip(NEXT) | instid1(VALU_DEP_4)
	v_cvt_i32_f32_e32 v16, v16
	v_cvt_i32_f32_e32 v17, v17
	s_delay_alu instid0(VALU_DEP_4) | instskip(NEXT) | instid1(VALU_DEP_4)
	v_maxmin_f32 v19, v19, v13, v14
	v_cvt_i32_f32_e32 v18, v18
	s_delay_alu instid0(VALU_DEP_4) | instskip(NEXT) | instid1(VALU_DEP_4)
	v_and_b32_e32 v16, 0xff, v16
	v_and_b32_e32 v17, 0xff, v17
	s_delay_alu instid0(VALU_DEP_4) | instskip(NEXT) | instid1(VALU_DEP_4)
	v_cvt_i32_f32_e32 v19, v19
	v_and_b32_e32 v18, 0xff, v18
	s_delay_alu instid0(VALU_DEP_3) | instskip(NEXT) | instid1(VALU_DEP_2)
	v_lshlrev_b32_e32 v17, 8, v17
	v_lshlrev_b32_e32 v18, 16, v18
	s_delay_alu instid0(VALU_DEP_1) | instskip(NEXT) | instid1(VALU_DEP_1)
	v_lshl_or_b32 v18, v19, 24, v18
	v_or3_b32 v16, v18, v17, v16
	global_store_b32 v[3:4], v16, off
	v_add_co_u32 v3, vcc_lo, v3, 64
	v_add_co_ci_u32_e32 v4, vcc_lo, 0, v4, vcc_lo
	s_and_not1_b32 exec_lo, exec_lo, s10
	s_cbranch_execnz .LBB1_29
.LBB1_30:
	s_or_b32 exec_lo, exec_lo, s9
	v_lshl_add_u32 v3, v8, 2, v9
	s_mov_b32 s1, exec_lo
	s_delay_alu instid0(VALU_DEP_1)
	v_cmpx_lt_i32_e64 v3, v6
	s_cbranch_execz .LBB1_33
; %bb.31:
	v_add_co_u32 v1, vcc_lo, v7, v1
	v_lshlrev_b32_e32 v4, 2, v10
	v_lshlrev_b32_e32 v8, 4, v8
	v_add_co_ci_u32_e32 v0, vcc_lo, v0, v2, vcc_lo
	v_ashrrev_i32_e32 v2, 31, v3
	v_add_co_u32 v1, vcc_lo, v1, v3
	s_delay_alu instid0(VALU_DEP_4) | instskip(SKIP_1) | instid1(VALU_DEP_4)
	v_add3_u32 v4, v4, v8, v11
	v_lshlrev_b32_e32 v7, 2, v9
	v_add_co_ci_u32_e32 v8, vcc_lo, v0, v2, vcc_lo
	s_delay_alu instid0(VALU_DEP_4) | instskip(NEXT) | instid1(VALU_DEP_3)
	v_add_co_u32 v0, vcc_lo, s4, v1
	v_add3_u32 v2, v4, v7, 0
	s_delay_alu instid0(VALU_DEP_3)
	v_add_co_ci_u32_e32 v1, vcc_lo, s5, v8, vcc_lo
	v_max_f32_e64 v4, s6, s6
	v_max_f32_e64 v7, s7, s7
	s_mov_b32 s2, 0
	s_set_inst_prefetch_distance 0x1
	.p2align	6
.LBB1_32:                               ; =>This Inner Loop Header: Depth=1
	ds_load_b32 v8, v2
	v_add_nc_u32_e32 v2, 64, v2
	s_waitcnt lgkmcnt(0)
	v_div_scale_f32 v9, null, v5, v5, v8
	v_div_scale_f32 v11, vcc_lo, v8, v5, v8
	s_delay_alu instid0(VALU_DEP_2) | instskip(SKIP_2) | instid1(VALU_DEP_1)
	v_rcp_f32_e32 v10, v9
	s_waitcnt_depctr 0xfff
	v_fma_f32 v12, -v9, v10, 1.0
	v_dual_fmac_f32 v10, v12, v10 :: v_dual_add_nc_u32 v3, 16, v3
	s_delay_alu instid0(VALU_DEP_1) | instskip(NEXT) | instid1(VALU_DEP_2)
	v_cmp_ge_i32_e64 s0, v3, v6
	v_mul_f32_e32 v12, v11, v10
	s_delay_alu instid0(VALU_DEP_2) | instskip(NEXT) | instid1(VALU_DEP_1)
	s_or_b32 s2, s0, s2
	v_fma_f32 v13, -v9, v12, v11
	s_delay_alu instid0(VALU_DEP_1) | instskip(NEXT) | instid1(VALU_DEP_1)
	v_fmac_f32_e32 v12, v13, v10
	v_fma_f32 v9, -v9, v12, v11
	s_delay_alu instid0(VALU_DEP_1) | instskip(NEXT) | instid1(VALU_DEP_1)
	v_div_fmas_f32 v9, v9, v10, v12
	v_div_fixup_f32 v8, v9, v5, v8
	s_delay_alu instid0(VALU_DEP_1) | instskip(NEXT) | instid1(VALU_DEP_1)
	v_maxmin_f32 v8, v8, v4, v7
	v_cvt_i32_f32_e32 v8, v8
	global_store_b8 v[0:1], v8, off
	v_add_co_u32 v0, vcc_lo, v0, 16
	v_add_co_ci_u32_e32 v1, vcc_lo, 0, v1, vcc_lo
	s_and_not1_b32 exec_lo, exec_lo, s2
	s_cbranch_execnz .LBB1_32
.LBB1_33:
	s_set_inst_prefetch_distance 0x2
	s_or_b32 exec_lo, exec_lo, s1
                                        ; implicit-def: $vgpr9
                                        ; implicit-def: $vgpr5
                                        ; implicit-def: $vgpr10
                                        ; implicit-def: $vgpr1_vgpr2
.LBB1_34:
	s_and_not1_saveexec_b32 s0, s8
	s_cbranch_execz .LBB1_38
; %bb.35:
	s_ashr_i32 s8, s14, 2
	s_mov_b32 s0, exec_lo
	v_cmpx_gt_i32_e64 s8, v9
	s_cbranch_execz .LBB1_38
; %bb.36:
	v_lshlrev_b32_e32 v0, 2, v9
	v_lshlrev_b32_e32 v3, 2, v10
	;; [unrolled: 1-line block ×3, first 2 shown]
	s_delay_alu instid0(VALU_DEP_3) | instskip(SKIP_1) | instid1(VALU_DEP_3)
	v_add_co_u32 v0, vcc_lo, v1, v0
	v_add_co_ci_u32_e32 v1, vcc_lo, 0, v2, vcc_lo
	v_add3_u32 v2, v3, v4, 0
	s_delay_alu instid0(VALU_DEP_3) | instskip(NEXT) | instid1(VALU_DEP_3)
	v_add_co_u32 v0, vcc_lo, s4, v0
	v_add_co_ci_u32_e32 v1, vcc_lo, s5, v1, vcc_lo
	v_max_f32_e64 v3, s6, s6
	v_max_f32_e64 v4, s7, s7
	s_mov_b32 s4, 0
.LBB1_37:                               ; =>This Inner Loop Header: Depth=1
	ds_load_b128 v[10:13], v2
	s_waitcnt lgkmcnt(0)
	v_div_scale_f32 v6, null, v5, v5, v10
	v_div_scale_f32 v8, null, v5, v5, v11
	;; [unrolled: 1-line block ×3, first 2 shown]
	s_delay_alu instid0(VALU_DEP_3) | instskip(NEXT) | instid1(VALU_DEP_2)
	v_rcp_f32_e32 v19, v6
	v_rcp_f32_e32 v20, v8
	v_div_scale_f32 v17, null, v5, v5, v13
	s_delay_alu instid0(VALU_DEP_2) | instskip(SKIP_1) | instid1(VALU_DEP_2)
	v_rcp_f32_e32 v21, v15
	v_div_scale_f32 v7, vcc_lo, v10, v5, v10
	v_rcp_f32_e32 v22, v17
	v_div_scale_f32 v14, s1, v11, v5, v11
	v_fma_f32 v23, -v6, v19, 1.0
	s_delay_alu instid0(TRANS32_DEP_3) | instskip(SKIP_2) | instid1(TRANS32_DEP_2)
	v_fma_f32 v24, -v8, v20, 1.0
	v_add_nc_u32_e32 v2, 0x100, v2
	v_add_nc_u32_e32 v9, 16, v9
	v_fma_f32 v25, -v15, v21, 1.0
	s_delay_alu instid0(VALU_DEP_4) | instskip(SKIP_1) | instid1(TRANS32_DEP_1)
	v_dual_fmac_f32 v19, v23, v19 :: v_dual_fmac_f32 v20, v24, v20
	v_div_scale_f32 v16, s2, v12, v5, v12
	v_fma_f32 v26, -v17, v22, 1.0
	s_delay_alu instid0(VALU_DEP_4) | instskip(NEXT) | instid1(VALU_DEP_4)
	v_fmac_f32_e32 v21, v25, v21
	v_dual_mul_f32 v23, v7, v19 :: v_dual_mul_f32 v24, v14, v20
	v_div_scale_f32 v18, s3, v13, v5, v13
	s_delay_alu instid0(VALU_DEP_3) | instskip(NEXT) | instid1(VALU_DEP_3)
	v_dual_fmac_f32 v22, v26, v22 :: v_dual_mul_f32 v25, v16, v21
	v_fma_f32 v27, -v6, v23, v7
	s_delay_alu instid0(VALU_DEP_4) | instskip(SKIP_1) | instid1(VALU_DEP_4)
	v_fma_f32 v28, -v8, v24, v14
	v_cmp_le_i32_e64 s0, s8, v9
	v_mul_f32_e32 v26, v18, v22
	v_fma_f32 v29, -v15, v25, v16
	s_delay_alu instid0(VALU_DEP_4) | instskip(NEXT) | instid1(VALU_DEP_4)
	v_dual_fmac_f32 v23, v27, v19 :: v_dual_fmac_f32 v24, v28, v20
	s_or_b32 s4, s0, s4
	s_delay_alu instid0(VALU_DEP_3) | instskip(NEXT) | instid1(VALU_DEP_3)
	v_fma_f32 v30, -v17, v26, v18
	v_fmac_f32_e32 v25, v29, v21
	s_delay_alu instid0(VALU_DEP_3) | instskip(SKIP_1) | instid1(VALU_DEP_4)
	v_fma_f32 v6, -v6, v23, v7
	v_fma_f32 v7, -v8, v24, v14
	v_fmac_f32_e32 v26, v30, v22
	s_delay_alu instid0(VALU_DEP_4) | instskip(NEXT) | instid1(VALU_DEP_4)
	v_fma_f32 v8, -v15, v25, v16
	v_div_fmas_f32 v6, v6, v19, v23
	s_mov_b32 vcc_lo, s1
	v_div_fmas_f32 v7, v7, v20, v24
	s_mov_b32 vcc_lo, s2
	v_fma_f32 v14, -v17, v26, v18
	v_div_fmas_f32 v8, v8, v21, v25
	s_mov_b32 vcc_lo, s3
	v_div_fixup_f32 v6, v6, v5, v10
	v_div_fixup_f32 v7, v7, v5, v11
	v_div_fmas_f32 v10, v14, v22, v26
	v_div_fixup_f32 v8, v8, v5, v12
	s_delay_alu instid0(VALU_DEP_4) | instskip(NEXT) | instid1(VALU_DEP_4)
	v_maxmin_f32 v6, v6, v3, v4
	v_maxmin_f32 v7, v7, v3, v4
	s_delay_alu instid0(VALU_DEP_4) | instskip(NEXT) | instid1(VALU_DEP_4)
	v_div_fixup_f32 v10, v10, v5, v13
	v_maxmin_f32 v8, v8, v3, v4
	s_delay_alu instid0(VALU_DEP_4) | instskip(NEXT) | instid1(VALU_DEP_4)
	v_cvt_i32_f32_e32 v6, v6
	v_cvt_i32_f32_e32 v7, v7
	s_delay_alu instid0(VALU_DEP_4) | instskip(NEXT) | instid1(VALU_DEP_4)
	v_maxmin_f32 v10, v10, v3, v4
	v_cvt_i32_f32_e32 v8, v8
	s_delay_alu instid0(VALU_DEP_4) | instskip(NEXT) | instid1(VALU_DEP_4)
	v_and_b32_e32 v6, 0xff, v6
	v_and_b32_e32 v7, 0xff, v7
	s_delay_alu instid0(VALU_DEP_4) | instskip(NEXT) | instid1(VALU_DEP_4)
	v_cvt_i32_f32_e32 v10, v10
	v_and_b32_e32 v8, 0xff, v8
	s_delay_alu instid0(VALU_DEP_3) | instskip(NEXT) | instid1(VALU_DEP_2)
	v_lshlrev_b32_e32 v7, 8, v7
	v_lshlrev_b32_e32 v8, 16, v8
	s_delay_alu instid0(VALU_DEP_1) | instskip(NEXT) | instid1(VALU_DEP_1)
	v_lshl_or_b32 v8, v10, 24, v8
	v_or3_b32 v6, v8, v7, v6
	global_store_b32 v[0:1], v6, off
	v_add_co_u32 v0, vcc_lo, v0, 64
	v_add_co_ci_u32_e32 v1, vcc_lo, 0, v1, vcc_lo
	s_and_not1_b32 exec_lo, exec_lo, s4
	s_cbranch_execnz .LBB1_37
.LBB1_38:
	s_nop 0
	s_sendmsg sendmsg(MSG_DEALLOC_VGPRS)
	s_endpgm
	.section	.rodata,"a",@progbits
	.p2align	6, 0x0
	.amdhsa_kernel _Z33per_token_group_quant_8bit_kernelIfaLb1ELb0EfEvPKT_PvPT3_iiifffii
		.amdhsa_group_segment_fixed_size 0
		.amdhsa_private_segment_fixed_size 0
		.amdhsa_kernarg_size 56
		.amdhsa_user_sgpr_count 15
		.amdhsa_user_sgpr_dispatch_ptr 0
		.amdhsa_user_sgpr_queue_ptr 0
		.amdhsa_user_sgpr_kernarg_segment_ptr 1
		.amdhsa_user_sgpr_dispatch_id 0
		.amdhsa_user_sgpr_private_segment_size 0
		.amdhsa_wavefront_size32 1
		.amdhsa_uses_dynamic_stack 0
		.amdhsa_enable_private_segment 0
		.amdhsa_system_sgpr_workgroup_id_x 1
		.amdhsa_system_sgpr_workgroup_id_y 0
		.amdhsa_system_sgpr_workgroup_id_z 0
		.amdhsa_system_sgpr_workgroup_info 0
		.amdhsa_system_vgpr_workitem_id 0
		.amdhsa_next_free_vgpr 40
		.amdhsa_next_free_sgpr 17
		.amdhsa_reserve_vcc 1
		.amdhsa_float_round_mode_32 0
		.amdhsa_float_round_mode_16_64 0
		.amdhsa_float_denorm_mode_32 3
		.amdhsa_float_denorm_mode_16_64 3
		.amdhsa_dx10_clamp 1
		.amdhsa_ieee_mode 1
		.amdhsa_fp16_overflow 0
		.amdhsa_workgroup_processor_mode 1
		.amdhsa_memory_ordered 1
		.amdhsa_forward_progress 0
		.amdhsa_shared_vgpr_count 0
		.amdhsa_exception_fp_ieee_invalid_op 0
		.amdhsa_exception_fp_denorm_src 0
		.amdhsa_exception_fp_ieee_div_zero 0
		.amdhsa_exception_fp_ieee_overflow 0
		.amdhsa_exception_fp_ieee_underflow 0
		.amdhsa_exception_fp_ieee_inexact 0
		.amdhsa_exception_int_div_zero 0
	.end_amdhsa_kernel
	.section	.text._Z33per_token_group_quant_8bit_kernelIfaLb1ELb0EfEvPKT_PvPT3_iiifffii,"axG",@progbits,_Z33per_token_group_quant_8bit_kernelIfaLb1ELb0EfEvPKT_PvPT3_iiifffii,comdat
.Lfunc_end1:
	.size	_Z33per_token_group_quant_8bit_kernelIfaLb1ELb0EfEvPKT_PvPT3_iiifffii, .Lfunc_end1-_Z33per_token_group_quant_8bit_kernelIfaLb1ELb0EfEvPKT_PvPT3_iiifffii
                                        ; -- End function
	.section	.AMDGPU.csdata,"",@progbits
; Kernel info:
; codeLenInByte = 4232
; NumSgprs: 19
; NumVgprs: 40
; ScratchSize: 0
; MemoryBound: 0
; FloatMode: 240
; IeeeMode: 1
; LDSByteSize: 0 bytes/workgroup (compile time only)
; SGPRBlocks: 2
; VGPRBlocks: 4
; NumSGPRsForWavesPerEU: 19
; NumVGPRsForWavesPerEU: 40
; Occupancy: 16
; WaveLimiterHint : 0
; COMPUTE_PGM_RSRC2:SCRATCH_EN: 0
; COMPUTE_PGM_RSRC2:USER_SGPR: 15
; COMPUTE_PGM_RSRC2:TRAP_HANDLER: 0
; COMPUTE_PGM_RSRC2:TGID_X_EN: 1
; COMPUTE_PGM_RSRC2:TGID_Y_EN: 0
; COMPUTE_PGM_RSRC2:TGID_Z_EN: 0
; COMPUTE_PGM_RSRC2:TIDIG_COMP_CNT: 0
	.section	.text._Z33per_token_group_quant_8bit_kernelIfaLb0ELb1EfEvPKT_PvPT3_iiifffii,"axG",@progbits,_Z33per_token_group_quant_8bit_kernelIfaLb0ELb1EfEvPKT_PvPT3_iiifffii,comdat
	.protected	_Z33per_token_group_quant_8bit_kernelIfaLb0ELb1EfEvPKT_PvPT3_iiifffii ; -- Begin function _Z33per_token_group_quant_8bit_kernelIfaLb0ELb1EfEvPKT_PvPT3_iiifffii
	.globl	_Z33per_token_group_quant_8bit_kernelIfaLb0ELb1EfEvPKT_PvPT3_iiifffii
	.p2align	8
	.type	_Z33per_token_group_quant_8bit_kernelIfaLb0ELb1EfEvPKT_PvPT3_iiifffii,@function
_Z33per_token_group_quant_8bit_kernelIfaLb0ELb1EfEvPKT_PvPT3_iiifffii: ; @_Z33per_token_group_quant_8bit_kernelIfaLb0ELb1EfEvPKT_PvPT3_iiifffii
; %bb.0:
	s_clause 0x1
	s_load_b128 s[4:7], s[0:1], 0x20
	s_load_b32 s8, s[0:1], 0x18
	v_lshrrev_b32_e32 v9, 4, v0
	v_and_b32_e32 v11, 15, v0
                                        ; implicit-def: $vgpr13
	s_waitcnt lgkmcnt(0)
	s_mul_i32 s15, s15, s4
	s_ashr_i32 s4, s8, 31
	v_add_co_u32 v3, s2, s15, v9
	s_delay_alu instid0(VALU_DEP_1) | instskip(SKIP_1) | instid1(VALU_DEP_2)
	v_add_co_ci_u32_e64 v4, null, 0, 0, s2
	s_load_b64 s[2:3], s[0:1], 0x0
	v_mul_lo_u32 v6, v3, s4
	v_mad_u64_u32 v[1:2], null, v3, s8, 0
	s_delay_alu instid0(VALU_DEP_3) | instskip(SKIP_2) | instid1(SALU_CYCLE_1)
	v_mul_lo_u32 v5, v4, s8
	v_mul_lo_u32 v12, v9, s8
	s_and_b32 s4, s8, 3
	s_cmp_eq_u32 s4, 0
	s_cselect_b32 s9, -1, 0
	s_cmp_lg_u32 s4, 0
	s_delay_alu instid0(VALU_DEP_2) | instskip(NEXT) | instid1(VALU_DEP_2)
	v_add3_u32 v2, v2, v6, v5
	v_lshl_add_u32 v0, v12, 2, 0
	s_cselect_b32 s4, -1, 0
	s_delay_alu instid0(VALU_DEP_2) | instskip(SKIP_1) | instid1(VALU_DEP_1)
	v_lshlrev_b64 v[5:6], 2, v[1:2]
	s_waitcnt lgkmcnt(0)
	v_add_co_u32 v7, vcc_lo, s2, v5
	v_mov_b32_e32 v10, 0
	s_delay_alu instid0(VALU_DEP_3) | instskip(NEXT) | instid1(VALU_DEP_3)
	v_add_co_ci_u32_e32 v8, vcc_lo, s3, v6, vcc_lo
	v_and_b32_e32 v9, 15, v7
	s_delay_alu instid0(VALU_DEP_1) | instskip(SKIP_1) | instid1(SALU_CYCLE_1)
	v_cmp_ne_u64_e32 vcc_lo, 0, v[9:10]
	s_or_b32 s4, s4, vcc_lo
	s_and_saveexec_b32 s10, s4
	s_delay_alu instid0(SALU_CYCLE_1)
	s_xor_b32 s4, exec_lo, s10
	s_cbranch_execz .LBB2_12
; %bb.1:
	v_sub_nc_u32_e32 v9, 0, v7
	v_mov_b32_e32 v13, s5
	s_mov_b32 s10, exec_lo
	s_delay_alu instid0(VALU_DEP_2) | instskip(NEXT) | instid1(VALU_DEP_1)
	v_bfe_u32 v9, v9, 2, 2
	v_min_i32_e32 v9, s8, v9
	s_delay_alu instid0(VALU_DEP_1)
	v_cmpx_gt_i32_e64 v9, v11
	s_cbranch_execz .LBB2_3
; %bb.2:
	v_max_f32_e64 v13, s5, s5
	v_lshlrev_b32_e32 v10, 2, v11
	s_delay_alu instid0(VALU_DEP_1) | instskip(SKIP_4) | instid1(VALU_DEP_1)
	v_add_co_u32 v7, vcc_lo, v7, v10
	v_add_co_ci_u32_e32 v8, vcc_lo, 0, v8, vcc_lo
	global_load_b32 v7, v[7:8], off
	s_waitcnt vmcnt(0)
	v_max_f32_e64 v8, |v7|, |v7|
	v_dual_max_f32 v13, v13, v8 :: v_dual_add_nc_u32 v10, v0, v10
	ds_store_b32 v10, v7
.LBB2_3:
	s_or_b32 exec_lo, exec_lo, s10
	v_sub_nc_u32_e32 v14, s8, v9
	v_ashrrev_i32_e32 v10, 31, v9
	v_lshlrev_b32_e32 v15, 2, v9
	s_mov_b32 s10, exec_lo
	s_delay_alu instid0(VALU_DEP_3) | instskip(NEXT) | instid1(VALU_DEP_1)
	v_ashrrev_i32_e32 v7, 31, v14
	v_lshrrev_b32_e32 v7, 30, v7
	s_delay_alu instid0(VALU_DEP_1) | instskip(NEXT) | instid1(VALU_DEP_1)
	v_add_nc_u32_e32 v7, v14, v7
	v_ashrrev_i32_e32 v16, 2, v7
	v_lshlrev_b64 v[7:8], 2, v[9:10]
	s_delay_alu instid0(VALU_DEP_2)
	v_cmpx_gt_i32_e64 v16, v11
	s_cbranch_execz .LBB2_7
; %bb.4:
	v_lshlrev_b32_e32 v9, 4, v11
	s_mov_b32 s11, 0
	s_delay_alu instid0(VALU_DEP_1) | instskip(SKIP_2) | instid1(VALU_DEP_3)
	v_add_co_u32 v10, vcc_lo, v5, v9
	v_add_co_ci_u32_e32 v17, vcc_lo, 0, v6, vcc_lo
	v_lshl_add_u32 v9, v12, 2, v9
	v_add_co_u32 v10, vcc_lo, v10, v7
	s_delay_alu instid0(VALU_DEP_3) | instskip(NEXT) | instid1(VALU_DEP_2)
	v_add_co_ci_u32_e32 v17, vcc_lo, v17, v8, vcc_lo
	v_add_co_u32 v10, vcc_lo, v10, s2
	s_delay_alu instid0(VALU_DEP_2) | instskip(SKIP_1) | instid1(VALU_DEP_3)
	v_add_co_ci_u32_e32 v18, vcc_lo, s3, v17, vcc_lo
	v_add3_u32 v17, v9, v15, 0
	v_add_co_u32 v9, vcc_lo, v10, 8
	s_delay_alu instid0(VALU_DEP_3)
	v_add_co_ci_u32_e32 v10, vcc_lo, 0, v18, vcc_lo
	v_mov_b32_e32 v18, v11
	.p2align	6
.LBB2_5:                                ; =>This Inner Loop Header: Depth=1
	global_load_b128 v[19:22], v[9:10], off offset:-8
	v_add_nc_u32_e32 v18, 16, v18
	v_add_co_u32 v9, vcc_lo, 0x100, v9
	v_add_co_ci_u32_e32 v10, vcc_lo, 0, v10, vcc_lo
	s_delay_alu instid0(VALU_DEP_3)
	v_cmp_ge_i32_e32 vcc_lo, v18, v16
	s_or_b32 s11, vcc_lo, s11
	s_waitcnt vmcnt(0)
	v_max3_f32 v13, v13, |v19|, |v20|
	ds_store_b128 v17, v[19:22]
	v_add_nc_u32_e32 v17, 0x100, v17
	v_max3_f32 v13, v13, |v21|, |v22|
	s_and_not1_b32 exec_lo, exec_lo, s11
	s_cbranch_execnz .LBB2_5
; %bb.6:
	s_or_b32 exec_lo, exec_lo, s11
.LBB2_7:
	s_delay_alu instid0(SALU_CYCLE_1) | instskip(SKIP_2) | instid1(VALU_DEP_1)
	s_or_b32 exec_lo, exec_lo, s10
	v_lshl_add_u32 v9, v16, 2, v11
	s_mov_b32 s10, exec_lo
	v_cmpx_lt_i32_e64 v9, v14
	s_cbranch_execz .LBB2_11
; %bb.8:
	v_ashrrev_i32_e32 v10, 31, v9
	v_lshlrev_b32_e32 v19, 4, v16
	v_add_co_u32 v5, vcc_lo, v5, v7
	v_lshlrev_b32_e32 v18, 2, v12
	s_delay_alu instid0(VALU_DEP_4) | instskip(SKIP_2) | instid1(VALU_DEP_4)
	v_lshlrev_b64 v[16:17], 2, v[9:10]
	v_add_co_ci_u32_e32 v6, vcc_lo, v6, v8, vcc_lo
	v_lshlrev_b32_e32 v20, 2, v11
	v_add3_u32 v7, v18, v19, v15
	s_mov_b32 s11, 0
	s_delay_alu instid0(VALU_DEP_4) | instskip(SKIP_1) | instid1(VALU_DEP_3)
	v_add_co_u32 v5, vcc_lo, v5, v16
	v_add_co_ci_u32_e32 v6, vcc_lo, v6, v17, vcc_lo
	v_add3_u32 v7, v7, v20, 0
	s_delay_alu instid0(VALU_DEP_3) | instskip(NEXT) | instid1(VALU_DEP_3)
	v_add_co_u32 v5, vcc_lo, s2, v5
	v_add_co_ci_u32_e32 v6, vcc_lo, s3, v6, vcc_lo
	.p2align	6
.LBB2_9:                                ; =>This Inner Loop Header: Depth=1
	global_load_b32 v8, v[5:6], off
	v_add_nc_u32_e32 v9, 16, v9
	v_max_f32_e32 v10, v13, v13
	v_add_co_u32 v5, vcc_lo, v5, 64
	v_add_co_ci_u32_e32 v6, vcc_lo, 0, v6, vcc_lo
	s_delay_alu instid0(VALU_DEP_4)
	v_cmp_ge_i32_e32 vcc_lo, v9, v14
	s_or_b32 s11, vcc_lo, s11
	s_waitcnt vmcnt(0)
	v_max_f32_e64 v13, |v8|, |v8|
	ds_store_b32 v7, v8
	v_add_nc_u32_e32 v7, 64, v7
	v_max_f32_e32 v13, v10, v13
	s_and_not1_b32 exec_lo, exec_lo, s11
	s_cbranch_execnz .LBB2_9
; %bb.10:
	s_or_b32 exec_lo, exec_lo, s11
.LBB2_11:
	s_delay_alu instid0(SALU_CYCLE_1)
	s_or_b32 exec_lo, exec_lo, s10
                                        ; implicit-def: $vgpr5_vgpr6
.LBB2_12:
	s_and_not1_saveexec_b32 s4, s4
	s_cbranch_execz .LBB2_18
; %bb.13:
	v_mov_b32_e32 v13, s5
	s_ashr_i32 s11, s8, 2
	s_mov_b32 s10, exec_lo
	v_cmpx_gt_i32_e64 s11, v11
	s_cbranch_execz .LBB2_17
; %bb.14:
	v_lshlrev_b32_e32 v7, 4, v11
	v_dual_mov_b32 v13, s5 :: v_dual_lshlrev_b32 v8, 2, v12
	s_delay_alu instid0(VALU_DEP_2) | instskip(SKIP_1) | instid1(VALU_DEP_3)
	v_add_co_u32 v5, vcc_lo, v5, v7
	v_add_co_ci_u32_e32 v6, vcc_lo, 0, v6, vcc_lo
	v_add3_u32 v7, v8, v7, 0
	s_delay_alu instid0(VALU_DEP_3) | instskip(NEXT) | instid1(VALU_DEP_3)
	v_add_co_u32 v5, vcc_lo, v5, s2
	v_add_co_ci_u32_e32 v6, vcc_lo, s3, v6, vcc_lo
	v_mov_b32_e32 v8, v11
	s_delay_alu instid0(VALU_DEP_3) | instskip(NEXT) | instid1(VALU_DEP_3)
	v_add_co_u32 v5, vcc_lo, v5, 8
	v_add_co_ci_u32_e32 v6, vcc_lo, 0, v6, vcc_lo
	s_mov_b32 s2, 0
	.p2align	6
.LBB2_15:                               ; =>This Inner Loop Header: Depth=1
	global_load_b128 v[14:17], v[5:6], off offset:-8
	v_add_nc_u32_e32 v8, 16, v8
	v_add_co_u32 v5, vcc_lo, 0x100, v5
	v_add_co_ci_u32_e32 v6, vcc_lo, 0, v6, vcc_lo
	s_delay_alu instid0(VALU_DEP_3)
	v_cmp_le_i32_e32 vcc_lo, s11, v8
	s_or_b32 s2, vcc_lo, s2
	s_waitcnt vmcnt(0)
	v_max3_f32 v9, v13, |v14|, |v15|
	ds_store_b128 v7, v[14:17]
	v_add_nc_u32_e32 v7, 0x100, v7
	v_max3_f32 v13, v9, |v16|, |v17|
	s_and_not1_b32 exec_lo, exec_lo, s2
	s_cbranch_execnz .LBB2_15
; %bb.16:
	s_or_b32 exec_lo, exec_lo, s2
.LBB2_17:
	s_delay_alu instid0(SALU_CYCLE_1)
	s_or_b32 exec_lo, exec_lo, s10
.LBB2_18:
	s_delay_alu instid0(SALU_CYCLE_1) | instskip(SKIP_4) | instid1(VALU_DEP_2)
	s_or_b32 exec_lo, exec_lo, s4
	v_mbcnt_lo_u32_b32 v5, -1, 0
	s_load_b64 s[4:5], s[0:1], 0x8
	s_mov_b32 s2, exec_lo
	v_max_f32_e32 v9, v13, v13
	v_xor_b32_e32 v7, 8, v5
	v_and_b32_e32 v6, 16, v5
	v_xor_b32_e32 v8, 4, v5
	s_delay_alu instid0(VALU_DEP_2) | instskip(NEXT) | instid1(VALU_DEP_1)
	v_add_nc_u32_e32 v6, 16, v6
	v_cmp_lt_i32_e32 vcc_lo, v7, v6
	v_cndmask_b32_e32 v7, v5, v7, vcc_lo
	s_delay_alu instid0(VALU_DEP_4) | instskip(NEXT) | instid1(VALU_DEP_2)
	v_cmp_lt_i32_e32 vcc_lo, v8, v6
	v_dual_cndmask_b32 v8, v5, v8 :: v_dual_lshlrev_b32 v7, 2, v7
	ds_bpermute_b32 v7, v7, v13
	s_waitcnt lgkmcnt(0)
	v_dual_max_f32 v7, v7, v7 :: v_dual_lshlrev_b32 v8, 2, v8
	s_delay_alu instid0(VALU_DEP_1)
	v_max_f32_e32 v7, v9, v7
	v_xor_b32_e32 v9, 2, v5
	ds_bpermute_b32 v8, v8, v7
	v_cmp_lt_i32_e32 vcc_lo, v9, v6
	s_waitcnt lgkmcnt(0)
	v_dual_cndmask_b32 v9, v5, v9 :: v_dual_max_f32 v8, v8, v8
	s_delay_alu instid0(VALU_DEP_1) | instskip(NEXT) | instid1(VALU_DEP_2)
	v_max_f32_e32 v7, v7, v8
	v_lshlrev_b32_e32 v9, 2, v9
	ds_bpermute_b32 v8, v9, v7
	v_xor_b32_e32 v9, 1, v5
	s_delay_alu instid0(VALU_DEP_1) | instskip(SKIP_2) | instid1(VALU_DEP_1)
	v_cmp_lt_i32_e32 vcc_lo, v9, v6
	v_cndmask_b32_e32 v5, v5, v9, vcc_lo
	s_waitcnt lgkmcnt(0)
	v_dual_max_f32 v6, v8, v8 :: v_dual_lshlrev_b32 v5, 2, v5
	s_delay_alu instid0(VALU_DEP_1) | instskip(SKIP_3) | instid1(VALU_DEP_1)
	v_max_f32_e32 v6, v7, v6
	ds_bpermute_b32 v5, v5, v6
	s_waitcnt lgkmcnt(0)
	v_max_f32_e32 v5, v5, v5
	v_max_f32_e32 v5, v6, v5
	s_delay_alu instid0(VALU_DEP_1) | instskip(SKIP_1) | instid1(VALU_DEP_2)
	v_div_scale_f32 v6, null, s7, s7, v5
	v_div_scale_f32 v9, vcc_lo, v5, s7, v5
	v_rcp_f32_e32 v7, v6
	s_waitcnt_depctr 0xfff
	v_fma_f32 v8, -v6, v7, 1.0
	s_delay_alu instid0(VALU_DEP_1) | instskip(NEXT) | instid1(VALU_DEP_1)
	v_fmac_f32_e32 v7, v8, v7
	v_mul_f32_e32 v8, v9, v7
	s_delay_alu instid0(VALU_DEP_1) | instskip(NEXT) | instid1(VALU_DEP_1)
	v_fma_f32 v10, -v6, v8, v9
	v_fmac_f32_e32 v8, v10, v7
	s_delay_alu instid0(VALU_DEP_1) | instskip(NEXT) | instid1(VALU_DEP_1)
	v_fma_f32 v6, -v6, v8, v9
	v_div_fmas_f32 v6, v6, v7, v8
	s_delay_alu instid0(VALU_DEP_1) | instskip(NEXT) | instid1(VALU_DEP_1)
	v_div_fixup_f32 v5, v6, s7, v5
	v_max_f32_e64 v5, 0x2edbe6ff, |v5|
	s_delay_alu instid0(VALU_DEP_1) | instskip(SKIP_1) | instid1(VALU_DEP_1)
	v_cmp_gt_f32_e32 vcc_lo, 0x800000, v5
	v_cndmask_b32_e64 v6, 1.0, 0x4f800000, vcc_lo
	v_mul_f32_e32 v5, v5, v6
	v_cndmask_b32_e64 v6, 0, 0x42000000, vcc_lo
	s_delay_alu instid0(VALU_DEP_2) | instskip(SKIP_2) | instid1(VALU_DEP_1)
	v_log_f32_e32 v5, v5
	s_waitcnt_depctr 0xfff
	v_sub_f32_e32 v5, v5, v6
	v_ceil_f32_e32 v5, v5
	s_delay_alu instid0(VALU_DEP_1) | instskip(SKIP_1) | instid1(VALU_DEP_1)
	v_cmp_gt_f32_e32 vcc_lo, 0xc2fc0000, v5
	v_cndmask_b32_e64 v6, 0, 0x42800000, vcc_lo
	v_add_f32_e32 v5, v5, v6
	v_cndmask_b32_e64 v6, 1.0, 0x1f800000, vcc_lo
	s_delay_alu instid0(VALU_DEP_2)
	v_exp_f32_e32 v5, v5
	s_waitcnt_depctr 0xfff
	v_mul_f32_e32 v5, v5, v6
	v_cmpx_eq_u32_e32 0, v11
	s_cbranch_execz .LBB2_20
; %bb.19:
	s_load_b64 s[0:1], s[0:1], 0x10
	v_lshlrev_b64 v[3:4], 2, v[3:4]
	s_waitcnt lgkmcnt(0)
	s_delay_alu instid0(VALU_DEP_1) | instskip(NEXT) | instid1(VALU_DEP_2)
	v_add_co_u32 v3, vcc_lo, s0, v3
	v_add_co_ci_u32_e32 v4, vcc_lo, s1, v4, vcc_lo
	global_store_b32 v[3:4], v5, off
.LBB2_20:
	s_or_b32 exec_lo, exec_lo, s2
	v_dual_mov_b32 v4, 0 :: v_dual_and_b32 v3, 15, v0
	s_xor_b32 s0, s9, -1
	s_waitcnt_vscnt null, 0x0
	s_barrier
	buffer_gl0_inv
	v_cmp_ne_u64_e32 vcc_lo, 0, v[3:4]
	s_or_b32 s0, s0, vcc_lo
	s_delay_alu instid0(SALU_CYCLE_1) | instskip(NEXT) | instid1(SALU_CYCLE_1)
	s_and_saveexec_b32 s1, s0
	s_xor_b32 s9, exec_lo, s1
	s_cbranch_execz .LBB2_30
; %bb.21:
	v_sub_nc_u32_e32 v3, 0, v0
	s_mov_b32 s0, exec_lo
	s_delay_alu instid0(VALU_DEP_1) | instskip(NEXT) | instid1(VALU_DEP_1)
	v_bfe_u32 v3, v3, 2, 2
	v_min_i32_e32 v7, s8, v3
	s_delay_alu instid0(VALU_DEP_1)
	v_cmpx_gt_i32_e64 v7, v11
	s_cbranch_execz .LBB2_23
; %bb.22:
	v_lshl_add_u32 v0, v11, 2, v0
	ds_load_b32 v0, v0
	s_waitcnt lgkmcnt(0)
	v_div_scale_f32 v3, null, v5, v5, v0
	v_div_scale_f32 v8, vcc_lo, v0, v5, v0
	s_delay_alu instid0(VALU_DEP_2) | instskip(SKIP_2) | instid1(VALU_DEP_1)
	v_rcp_f32_e32 v4, v3
	s_waitcnt_depctr 0xfff
	v_fma_f32 v6, -v3, v4, 1.0
	v_fmac_f32_e32 v4, v6, v4
	s_delay_alu instid0(VALU_DEP_1) | instskip(NEXT) | instid1(VALU_DEP_1)
	v_mul_f32_e32 v6, v8, v4
	v_fma_f32 v9, -v3, v6, v8
	s_delay_alu instid0(VALU_DEP_1) | instskip(NEXT) | instid1(VALU_DEP_1)
	v_fmac_f32_e32 v6, v9, v4
	v_fma_f32 v3, -v3, v6, v8
	s_delay_alu instid0(VALU_DEP_1) | instskip(SKIP_3) | instid1(VALU_DEP_4)
	v_div_fmas_f32 v3, v3, v4, v6
	v_max_f32_e64 v4, s6, s6
	v_add_co_u32 v6, vcc_lo, s4, v1
	v_add_co_ci_u32_e32 v8, vcc_lo, s5, v2, vcc_lo
	v_div_fixup_f32 v0, v3, v5, v0
	v_max_f32_e64 v3, s7, s7
	s_delay_alu instid0(VALU_DEP_1) | instskip(SKIP_2) | instid1(VALU_DEP_3)
	v_maxmin_f32 v0, v0, v4, v3
	v_add_co_u32 v3, vcc_lo, v6, v11
	v_add_co_ci_u32_e32 v4, vcc_lo, 0, v8, vcc_lo
	v_cvt_i32_f32_e32 v0, v0
	global_store_b8 v[3:4], v0, off
.LBB2_23:
	s_or_b32 exec_lo, exec_lo, s0
	v_sub_nc_u32_e32 v6, s8, v7
	v_lshlrev_b32_e32 v9, 2, v7
	s_mov_b32 s10, exec_lo
	s_delay_alu instid0(VALU_DEP_2) | instskip(NEXT) | instid1(VALU_DEP_1)
	v_ashrrev_i32_e32 v0, 31, v6
	v_lshrrev_b32_e32 v0, 30, v0
	s_delay_alu instid0(VALU_DEP_1) | instskip(NEXT) | instid1(VALU_DEP_1)
	v_add_nc_u32_e32 v0, v6, v0
	v_ashrrev_i32_e32 v8, 2, v0
	v_ashrrev_i32_e32 v0, 31, v7
	s_delay_alu instid0(VALU_DEP_2)
	v_cmpx_gt_i32_e64 v8, v11
	s_cbranch_execz .LBB2_26
; %bb.24:
	v_lshlrev_b32_e32 v3, 4, v11
	v_dual_mov_b32 v15, v11 :: v_dual_lshlrev_b32 v4, 2, v11
	v_add_co_u32 v10, vcc_lo, v7, v1
	v_add_co_ci_u32_e32 v13, vcc_lo, v0, v2, vcc_lo
	s_delay_alu instid0(VALU_DEP_4) | instskip(NEXT) | instid1(VALU_DEP_3)
	v_lshl_add_u32 v3, v12, 2, v3
	v_add_co_u32 v4, vcc_lo, v10, v4
	s_delay_alu instid0(VALU_DEP_3) | instskip(NEXT) | instid1(VALU_DEP_3)
	v_add_co_ci_u32_e32 v13, vcc_lo, 0, v13, vcc_lo
	v_add3_u32 v10, v3, v9, 0
	s_delay_alu instid0(VALU_DEP_3) | instskip(NEXT) | instid1(VALU_DEP_3)
	v_add_co_u32 v3, vcc_lo, s4, v4
	v_add_co_ci_u32_e32 v4, vcc_lo, s5, v13, vcc_lo
	v_max_f32_e64 v13, s6, s6
	v_max_f32_e64 v14, s7, s7
	s_mov_b32 s11, 0
.LBB2_25:                               ; =>This Inner Loop Header: Depth=1
	ds_load_b128 v[16:19], v10
	s_waitcnt lgkmcnt(0)
	v_div_scale_f32 v20, null, v5, v5, v16
	v_div_scale_f32 v22, null, v5, v5, v17
	;; [unrolled: 1-line block ×3, first 2 shown]
	s_delay_alu instid0(VALU_DEP_3) | instskip(NEXT) | instid1(VALU_DEP_2)
	v_rcp_f32_e32 v28, v20
	v_rcp_f32_e32 v29, v22
	v_div_scale_f32 v26, null, v5, v5, v19
	s_delay_alu instid0(VALU_DEP_2) | instskip(SKIP_1) | instid1(VALU_DEP_2)
	v_rcp_f32_e32 v30, v24
	v_div_scale_f32 v21, vcc_lo, v16, v5, v16
	v_rcp_f32_e32 v31, v26
	v_div_scale_f32 v23, s1, v17, v5, v17
	v_fma_f32 v32, -v20, v28, 1.0
	s_delay_alu instid0(TRANS32_DEP_3) | instskip(SKIP_2) | instid1(TRANS32_DEP_2)
	v_fma_f32 v33, -v22, v29, 1.0
	v_add_nc_u32_e32 v15, 16, v15
	v_add_nc_u32_e32 v10, 0x100, v10
	v_fma_f32 v34, -v24, v30, 1.0
	s_delay_alu instid0(VALU_DEP_4) | instskip(SKIP_1) | instid1(TRANS32_DEP_1)
	v_dual_fmac_f32 v28, v32, v28 :: v_dual_fmac_f32 v29, v33, v29
	v_div_scale_f32 v25, s2, v18, v5, v18
	v_fma_f32 v35, -v26, v31, 1.0
	s_delay_alu instid0(VALU_DEP_4) | instskip(NEXT) | instid1(VALU_DEP_4)
	v_fmac_f32_e32 v30, v34, v30
	v_dual_mul_f32 v32, v21, v28 :: v_dual_mul_f32 v33, v23, v29
	v_div_scale_f32 v27, s3, v19, v5, v19
	s_delay_alu instid0(VALU_DEP_3) | instskip(NEXT) | instid1(VALU_DEP_3)
	v_dual_fmac_f32 v31, v35, v31 :: v_dual_mul_f32 v34, v25, v30
	v_fma_f32 v36, -v20, v32, v21
	s_delay_alu instid0(VALU_DEP_4) | instskip(SKIP_1) | instid1(VALU_DEP_4)
	v_fma_f32 v37, -v22, v33, v23
	v_cmp_ge_i32_e64 s0, v15, v8
	v_mul_f32_e32 v35, v27, v31
	v_fma_f32 v38, -v24, v34, v25
	s_delay_alu instid0(VALU_DEP_4) | instskip(NEXT) | instid1(VALU_DEP_4)
	v_dual_fmac_f32 v32, v36, v28 :: v_dual_fmac_f32 v33, v37, v29
	s_or_b32 s11, s0, s11
	s_delay_alu instid0(VALU_DEP_3) | instskip(NEXT) | instid1(VALU_DEP_3)
	v_fma_f32 v39, -v26, v35, v27
	v_fmac_f32_e32 v34, v38, v30
	s_delay_alu instid0(VALU_DEP_3) | instskip(SKIP_1) | instid1(VALU_DEP_4)
	v_fma_f32 v20, -v20, v32, v21
	v_fma_f32 v21, -v22, v33, v23
	v_fmac_f32_e32 v35, v39, v31
	s_delay_alu instid0(VALU_DEP_4) | instskip(NEXT) | instid1(VALU_DEP_4)
	v_fma_f32 v22, -v24, v34, v25
	v_div_fmas_f32 v20, v20, v28, v32
	s_mov_b32 vcc_lo, s1
	v_div_fmas_f32 v21, v21, v29, v33
	s_mov_b32 vcc_lo, s2
	v_fma_f32 v23, -v26, v35, v27
	v_div_fmas_f32 v22, v22, v30, v34
	s_mov_b32 vcc_lo, s3
	v_div_fixup_f32 v16, v20, v5, v16
	v_div_fixup_f32 v17, v21, v5, v17
	v_div_fmas_f32 v20, v23, v31, v35
	v_div_fixup_f32 v18, v22, v5, v18
	s_delay_alu instid0(VALU_DEP_4) | instskip(NEXT) | instid1(VALU_DEP_4)
	v_maxmin_f32 v16, v16, v13, v14
	v_maxmin_f32 v17, v17, v13, v14
	s_delay_alu instid0(VALU_DEP_4) | instskip(NEXT) | instid1(VALU_DEP_4)
	v_div_fixup_f32 v19, v20, v5, v19
	v_maxmin_f32 v18, v18, v13, v14
	s_delay_alu instid0(VALU_DEP_4) | instskip(NEXT) | instid1(VALU_DEP_4)
	v_cvt_i32_f32_e32 v16, v16
	v_cvt_i32_f32_e32 v17, v17
	s_delay_alu instid0(VALU_DEP_4) | instskip(NEXT) | instid1(VALU_DEP_4)
	v_maxmin_f32 v19, v19, v13, v14
	v_cvt_i32_f32_e32 v18, v18
	s_delay_alu instid0(VALU_DEP_4) | instskip(NEXT) | instid1(VALU_DEP_4)
	v_and_b32_e32 v16, 0xff, v16
	v_and_b32_e32 v17, 0xff, v17
	s_delay_alu instid0(VALU_DEP_4) | instskip(NEXT) | instid1(VALU_DEP_4)
	v_cvt_i32_f32_e32 v19, v19
	v_and_b32_e32 v18, 0xff, v18
	s_delay_alu instid0(VALU_DEP_3) | instskip(NEXT) | instid1(VALU_DEP_2)
	v_lshlrev_b32_e32 v17, 8, v17
	v_lshlrev_b32_e32 v18, 16, v18
	s_delay_alu instid0(VALU_DEP_1) | instskip(NEXT) | instid1(VALU_DEP_1)
	v_lshl_or_b32 v18, v19, 24, v18
	v_or3_b32 v16, v18, v17, v16
	global_store_b32 v[3:4], v16, off
	v_add_co_u32 v3, vcc_lo, v3, 64
	v_add_co_ci_u32_e32 v4, vcc_lo, 0, v4, vcc_lo
	s_and_not1_b32 exec_lo, exec_lo, s11
	s_cbranch_execnz .LBB2_25
.LBB2_26:
	s_or_b32 exec_lo, exec_lo, s10
	v_lshl_add_u32 v3, v8, 2, v11
	s_mov_b32 s1, exec_lo
	s_delay_alu instid0(VALU_DEP_1)
	v_cmpx_lt_i32_e64 v3, v6
	s_cbranch_execz .LBB2_29
; %bb.27:
	v_add_co_u32 v1, vcc_lo, v7, v1
	v_lshlrev_b32_e32 v4, 2, v12
	v_lshlrev_b32_e32 v8, 4, v8
	v_add_co_ci_u32_e32 v0, vcc_lo, v0, v2, vcc_lo
	v_ashrrev_i32_e32 v2, 31, v3
	v_add_co_u32 v1, vcc_lo, v1, v3
	s_delay_alu instid0(VALU_DEP_4) | instskip(SKIP_1) | instid1(VALU_DEP_4)
	v_add3_u32 v4, v4, v8, v9
	v_lshlrev_b32_e32 v7, 2, v11
	v_add_co_ci_u32_e32 v8, vcc_lo, v0, v2, vcc_lo
	s_delay_alu instid0(VALU_DEP_4) | instskip(NEXT) | instid1(VALU_DEP_3)
	v_add_co_u32 v0, vcc_lo, s4, v1
	v_add3_u32 v2, v4, v7, 0
	s_delay_alu instid0(VALU_DEP_3)
	v_add_co_ci_u32_e32 v1, vcc_lo, s5, v8, vcc_lo
	v_max_f32_e64 v4, s6, s6
	v_max_f32_e64 v7, s7, s7
	s_mov_b32 s2, 0
	s_set_inst_prefetch_distance 0x1
	.p2align	6
.LBB2_28:                               ; =>This Inner Loop Header: Depth=1
	ds_load_b32 v8, v2
	v_add_nc_u32_e32 v2, 64, v2
	s_waitcnt lgkmcnt(0)
	v_div_scale_f32 v9, null, v5, v5, v8
	v_div_scale_f32 v11, vcc_lo, v8, v5, v8
	s_delay_alu instid0(VALU_DEP_2) | instskip(SKIP_2) | instid1(VALU_DEP_1)
	v_rcp_f32_e32 v10, v9
	s_waitcnt_depctr 0xfff
	v_fma_f32 v12, -v9, v10, 1.0
	v_dual_fmac_f32 v10, v12, v10 :: v_dual_add_nc_u32 v3, 16, v3
	s_delay_alu instid0(VALU_DEP_1) | instskip(NEXT) | instid1(VALU_DEP_2)
	v_cmp_ge_i32_e64 s0, v3, v6
	v_mul_f32_e32 v12, v11, v10
	s_delay_alu instid0(VALU_DEP_2) | instskip(NEXT) | instid1(VALU_DEP_1)
	s_or_b32 s2, s0, s2
	v_fma_f32 v13, -v9, v12, v11
	s_delay_alu instid0(VALU_DEP_1) | instskip(NEXT) | instid1(VALU_DEP_1)
	v_fmac_f32_e32 v12, v13, v10
	v_fma_f32 v9, -v9, v12, v11
	s_delay_alu instid0(VALU_DEP_1) | instskip(NEXT) | instid1(VALU_DEP_1)
	v_div_fmas_f32 v9, v9, v10, v12
	v_div_fixup_f32 v8, v9, v5, v8
	s_delay_alu instid0(VALU_DEP_1) | instskip(NEXT) | instid1(VALU_DEP_1)
	v_maxmin_f32 v8, v8, v4, v7
	v_cvt_i32_f32_e32 v8, v8
	global_store_b8 v[0:1], v8, off
	v_add_co_u32 v0, vcc_lo, v0, 16
	v_add_co_ci_u32_e32 v1, vcc_lo, 0, v1, vcc_lo
	s_and_not1_b32 exec_lo, exec_lo, s2
	s_cbranch_execnz .LBB2_28
.LBB2_29:
	s_set_inst_prefetch_distance 0x2
	s_or_b32 exec_lo, exec_lo, s1
                                        ; implicit-def: $vgpr11
                                        ; implicit-def: $vgpr5
                                        ; implicit-def: $vgpr12
                                        ; implicit-def: $vgpr1_vgpr2
.LBB2_30:
	s_and_not1_saveexec_b32 s0, s9
	s_cbranch_execz .LBB2_34
; %bb.31:
	s_ashr_i32 s8, s8, 2
	s_mov_b32 s0, exec_lo
	v_cmpx_gt_i32_e64 s8, v11
	s_cbranch_execz .LBB2_34
; %bb.32:
	v_lshlrev_b32_e32 v0, 2, v11
	v_lshlrev_b32_e32 v3, 2, v12
	;; [unrolled: 1-line block ×3, first 2 shown]
	s_delay_alu instid0(VALU_DEP_3) | instskip(SKIP_1) | instid1(VALU_DEP_3)
	v_add_co_u32 v0, vcc_lo, v1, v0
	v_add_co_ci_u32_e32 v1, vcc_lo, 0, v2, vcc_lo
	v_add3_u32 v2, v3, v4, 0
	s_delay_alu instid0(VALU_DEP_3) | instskip(NEXT) | instid1(VALU_DEP_3)
	v_add_co_u32 v0, vcc_lo, s4, v0
	v_add_co_ci_u32_e32 v1, vcc_lo, s5, v1, vcc_lo
	v_max_f32_e64 v3, s6, s6
	v_max_f32_e64 v4, s7, s7
	s_mov_b32 s4, 0
.LBB2_33:                               ; =>This Inner Loop Header: Depth=1
	ds_load_b128 v[6:9], v2
	s_waitcnt lgkmcnt(0)
	v_div_scale_f32 v10, null, v5, v5, v6
	v_div_scale_f32 v13, null, v5, v5, v7
	;; [unrolled: 1-line block ×3, first 2 shown]
	s_delay_alu instid0(VALU_DEP_3) | instskip(NEXT) | instid1(VALU_DEP_2)
	v_rcp_f32_e32 v19, v10
	v_rcp_f32_e32 v20, v13
	v_div_scale_f32 v17, null, v5, v5, v9
	s_delay_alu instid0(VALU_DEP_2) | instskip(SKIP_1) | instid1(VALU_DEP_2)
	v_rcp_f32_e32 v21, v15
	v_div_scale_f32 v12, vcc_lo, v6, v5, v6
	v_rcp_f32_e32 v22, v17
	v_div_scale_f32 v14, s1, v7, v5, v7
	v_fma_f32 v23, -v10, v19, 1.0
	s_delay_alu instid0(TRANS32_DEP_3) | instskip(SKIP_2) | instid1(TRANS32_DEP_2)
	v_fma_f32 v24, -v13, v20, 1.0
	v_add_nc_u32_e32 v2, 0x100, v2
	v_add_nc_u32_e32 v11, 16, v11
	v_fma_f32 v25, -v15, v21, 1.0
	s_delay_alu instid0(VALU_DEP_4) | instskip(SKIP_1) | instid1(TRANS32_DEP_1)
	v_dual_fmac_f32 v19, v23, v19 :: v_dual_fmac_f32 v20, v24, v20
	v_div_scale_f32 v16, s2, v8, v5, v8
	v_fma_f32 v26, -v17, v22, 1.0
	s_delay_alu instid0(VALU_DEP_4) | instskip(NEXT) | instid1(VALU_DEP_4)
	v_fmac_f32_e32 v21, v25, v21
	v_dual_mul_f32 v23, v12, v19 :: v_dual_mul_f32 v24, v14, v20
	v_div_scale_f32 v18, s3, v9, v5, v9
	s_delay_alu instid0(VALU_DEP_3) | instskip(NEXT) | instid1(VALU_DEP_3)
	v_dual_fmac_f32 v22, v26, v22 :: v_dual_mul_f32 v25, v16, v21
	v_fma_f32 v27, -v10, v23, v12
	s_delay_alu instid0(VALU_DEP_4) | instskip(SKIP_1) | instid1(VALU_DEP_4)
	v_fma_f32 v28, -v13, v24, v14
	v_cmp_le_i32_e64 s0, s8, v11
	v_mul_f32_e32 v26, v18, v22
	v_fma_f32 v29, -v15, v25, v16
	s_delay_alu instid0(VALU_DEP_4) | instskip(NEXT) | instid1(VALU_DEP_4)
	v_dual_fmac_f32 v23, v27, v19 :: v_dual_fmac_f32 v24, v28, v20
	s_or_b32 s4, s0, s4
	s_delay_alu instid0(VALU_DEP_3) | instskip(NEXT) | instid1(VALU_DEP_3)
	v_fma_f32 v30, -v17, v26, v18
	v_fmac_f32_e32 v25, v29, v21
	s_delay_alu instid0(VALU_DEP_3) | instskip(SKIP_1) | instid1(VALU_DEP_4)
	v_fma_f32 v10, -v10, v23, v12
	v_fma_f32 v12, -v13, v24, v14
	v_fmac_f32_e32 v26, v30, v22
	s_delay_alu instid0(VALU_DEP_4) | instskip(NEXT) | instid1(VALU_DEP_4)
	v_fma_f32 v13, -v15, v25, v16
	v_div_fmas_f32 v10, v10, v19, v23
	s_mov_b32 vcc_lo, s1
	v_div_fmas_f32 v12, v12, v20, v24
	s_mov_b32 vcc_lo, s2
	v_fma_f32 v14, -v17, v26, v18
	v_div_fmas_f32 v13, v13, v21, v25
	s_mov_b32 vcc_lo, s3
	v_div_fixup_f32 v6, v10, v5, v6
	v_div_fixup_f32 v7, v12, v5, v7
	v_div_fmas_f32 v10, v14, v22, v26
	v_div_fixup_f32 v8, v13, v5, v8
	s_delay_alu instid0(VALU_DEP_4) | instskip(NEXT) | instid1(VALU_DEP_4)
	v_maxmin_f32 v6, v6, v3, v4
	v_maxmin_f32 v7, v7, v3, v4
	s_delay_alu instid0(VALU_DEP_4) | instskip(NEXT) | instid1(VALU_DEP_4)
	v_div_fixup_f32 v9, v10, v5, v9
	v_maxmin_f32 v8, v8, v3, v4
	s_delay_alu instid0(VALU_DEP_4) | instskip(NEXT) | instid1(VALU_DEP_4)
	v_cvt_i32_f32_e32 v6, v6
	v_cvt_i32_f32_e32 v7, v7
	s_delay_alu instid0(VALU_DEP_4) | instskip(NEXT) | instid1(VALU_DEP_4)
	v_maxmin_f32 v9, v9, v3, v4
	v_cvt_i32_f32_e32 v8, v8
	s_delay_alu instid0(VALU_DEP_4) | instskip(NEXT) | instid1(VALU_DEP_4)
	v_and_b32_e32 v6, 0xff, v6
	v_and_b32_e32 v7, 0xff, v7
	s_delay_alu instid0(VALU_DEP_4) | instskip(NEXT) | instid1(VALU_DEP_4)
	v_cvt_i32_f32_e32 v9, v9
	v_and_b32_e32 v8, 0xff, v8
	s_delay_alu instid0(VALU_DEP_3) | instskip(NEXT) | instid1(VALU_DEP_2)
	v_lshlrev_b32_e32 v7, 8, v7
	v_lshlrev_b32_e32 v8, 16, v8
	s_delay_alu instid0(VALU_DEP_1) | instskip(NEXT) | instid1(VALU_DEP_1)
	v_lshl_or_b32 v8, v9, 24, v8
	v_or3_b32 v6, v8, v7, v6
	global_store_b32 v[0:1], v6, off
	v_add_co_u32 v0, vcc_lo, v0, 64
	v_add_co_ci_u32_e32 v1, vcc_lo, 0, v1, vcc_lo
	s_and_not1_b32 exec_lo, exec_lo, s4
	s_cbranch_execnz .LBB2_33
.LBB2_34:
	s_nop 0
	s_sendmsg sendmsg(MSG_DEALLOC_VGPRS)
	s_endpgm
	.section	.rodata,"a",@progbits
	.p2align	6, 0x0
	.amdhsa_kernel _Z33per_token_group_quant_8bit_kernelIfaLb0ELb1EfEvPKT_PvPT3_iiifffii
		.amdhsa_group_segment_fixed_size 0
		.amdhsa_private_segment_fixed_size 0
		.amdhsa_kernarg_size 56
		.amdhsa_user_sgpr_count 15
		.amdhsa_user_sgpr_dispatch_ptr 0
		.amdhsa_user_sgpr_queue_ptr 0
		.amdhsa_user_sgpr_kernarg_segment_ptr 1
		.amdhsa_user_sgpr_dispatch_id 0
		.amdhsa_user_sgpr_private_segment_size 0
		.amdhsa_wavefront_size32 1
		.amdhsa_uses_dynamic_stack 0
		.amdhsa_enable_private_segment 0
		.amdhsa_system_sgpr_workgroup_id_x 1
		.amdhsa_system_sgpr_workgroup_id_y 0
		.amdhsa_system_sgpr_workgroup_id_z 0
		.amdhsa_system_sgpr_workgroup_info 0
		.amdhsa_system_vgpr_workitem_id 0
		.amdhsa_next_free_vgpr 40
		.amdhsa_next_free_sgpr 16
		.amdhsa_reserve_vcc 1
		.amdhsa_float_round_mode_32 0
		.amdhsa_float_round_mode_16_64 0
		.amdhsa_float_denorm_mode_32 3
		.amdhsa_float_denorm_mode_16_64 3
		.amdhsa_dx10_clamp 1
		.amdhsa_ieee_mode 1
		.amdhsa_fp16_overflow 0
		.amdhsa_workgroup_processor_mode 1
		.amdhsa_memory_ordered 1
		.amdhsa_forward_progress 0
		.amdhsa_shared_vgpr_count 0
		.amdhsa_exception_fp_ieee_invalid_op 0
		.amdhsa_exception_fp_denorm_src 0
		.amdhsa_exception_fp_ieee_div_zero 0
		.amdhsa_exception_fp_ieee_overflow 0
		.amdhsa_exception_fp_ieee_underflow 0
		.amdhsa_exception_fp_ieee_inexact 0
		.amdhsa_exception_int_div_zero 0
	.end_amdhsa_kernel
	.section	.text._Z33per_token_group_quant_8bit_kernelIfaLb0ELb1EfEvPKT_PvPT3_iiifffii,"axG",@progbits,_Z33per_token_group_quant_8bit_kernelIfaLb0ELb1EfEvPKT_PvPT3_iiifffii,comdat
.Lfunc_end2:
	.size	_Z33per_token_group_quant_8bit_kernelIfaLb0ELb1EfEvPKT_PvPT3_iiifffii, .Lfunc_end2-_Z33per_token_group_quant_8bit_kernelIfaLb0ELb1EfEvPKT_PvPT3_iiifffii
                                        ; -- End function
	.section	.AMDGPU.csdata,"",@progbits
; Kernel info:
; codeLenInByte = 3396
; NumSgprs: 18
; NumVgprs: 40
; ScratchSize: 0
; MemoryBound: 0
; FloatMode: 240
; IeeeMode: 1
; LDSByteSize: 0 bytes/workgroup (compile time only)
; SGPRBlocks: 2
; VGPRBlocks: 4
; NumSGPRsForWavesPerEU: 18
; NumVGPRsForWavesPerEU: 40
; Occupancy: 16
; WaveLimiterHint : 0
; COMPUTE_PGM_RSRC2:SCRATCH_EN: 0
; COMPUTE_PGM_RSRC2:USER_SGPR: 15
; COMPUTE_PGM_RSRC2:TRAP_HANDLER: 0
; COMPUTE_PGM_RSRC2:TGID_X_EN: 1
; COMPUTE_PGM_RSRC2:TGID_Y_EN: 0
; COMPUTE_PGM_RSRC2:TGID_Z_EN: 0
; COMPUTE_PGM_RSRC2:TIDIG_COMP_CNT: 0
	.section	.text._Z33per_token_group_quant_8bit_kernelIfaLb0ELb0EfEvPKT_PvPT3_iiifffii,"axG",@progbits,_Z33per_token_group_quant_8bit_kernelIfaLb0ELb0EfEvPKT_PvPT3_iiifffii,comdat
	.protected	_Z33per_token_group_quant_8bit_kernelIfaLb0ELb0EfEvPKT_PvPT3_iiifffii ; -- Begin function _Z33per_token_group_quant_8bit_kernelIfaLb0ELb0EfEvPKT_PvPT3_iiifffii
	.globl	_Z33per_token_group_quant_8bit_kernelIfaLb0ELb0EfEvPKT_PvPT3_iiifffii
	.p2align	8
	.type	_Z33per_token_group_quant_8bit_kernelIfaLb0ELb0EfEvPKT_PvPT3_iiifffii,@function
_Z33per_token_group_quant_8bit_kernelIfaLb0ELb0EfEvPKT_PvPT3_iiifffii: ; @_Z33per_token_group_quant_8bit_kernelIfaLb0ELb0EfEvPKT_PvPT3_iiifffii
; %bb.0:
	s_clause 0x1
	s_load_b128 s[4:7], s[0:1], 0x20
	s_load_b32 s8, s[0:1], 0x18
	v_lshrrev_b32_e32 v9, 4, v0
	v_and_b32_e32 v11, 15, v0
                                        ; implicit-def: $vgpr13
	s_waitcnt lgkmcnt(0)
	s_mul_i32 s15, s15, s4
	s_ashr_i32 s4, s8, 31
	v_add_co_u32 v3, s2, s15, v9
	s_delay_alu instid0(VALU_DEP_1) | instskip(SKIP_1) | instid1(VALU_DEP_2)
	v_add_co_ci_u32_e64 v4, null, 0, 0, s2
	s_load_b64 s[2:3], s[0:1], 0x0
	v_mul_lo_u32 v6, v3, s4
	v_mad_u64_u32 v[1:2], null, v3, s8, 0
	s_delay_alu instid0(VALU_DEP_3) | instskip(SKIP_2) | instid1(SALU_CYCLE_1)
	v_mul_lo_u32 v5, v4, s8
	v_mul_lo_u32 v12, v9, s8
	s_and_b32 s4, s8, 3
	s_cmp_eq_u32 s4, 0
	s_cselect_b32 s9, -1, 0
	s_cmp_lg_u32 s4, 0
	s_delay_alu instid0(VALU_DEP_2) | instskip(NEXT) | instid1(VALU_DEP_2)
	v_add3_u32 v2, v2, v6, v5
	v_lshl_add_u32 v0, v12, 2, 0
	s_cselect_b32 s4, -1, 0
	s_delay_alu instid0(VALU_DEP_2) | instskip(SKIP_1) | instid1(VALU_DEP_1)
	v_lshlrev_b64 v[5:6], 2, v[1:2]
	s_waitcnt lgkmcnt(0)
	v_add_co_u32 v7, vcc_lo, s2, v5
	v_mov_b32_e32 v10, 0
	s_delay_alu instid0(VALU_DEP_3) | instskip(NEXT) | instid1(VALU_DEP_3)
	v_add_co_ci_u32_e32 v8, vcc_lo, s3, v6, vcc_lo
	v_and_b32_e32 v9, 15, v7
	s_delay_alu instid0(VALU_DEP_1) | instskip(SKIP_1) | instid1(SALU_CYCLE_1)
	v_cmp_ne_u64_e32 vcc_lo, 0, v[9:10]
	s_or_b32 s4, s4, vcc_lo
	s_and_saveexec_b32 s10, s4
	s_delay_alu instid0(SALU_CYCLE_1)
	s_xor_b32 s4, exec_lo, s10
	s_cbranch_execz .LBB3_12
; %bb.1:
	v_sub_nc_u32_e32 v9, 0, v7
	v_mov_b32_e32 v13, s5
	s_mov_b32 s10, exec_lo
	s_delay_alu instid0(VALU_DEP_2) | instskip(NEXT) | instid1(VALU_DEP_1)
	v_bfe_u32 v9, v9, 2, 2
	v_min_i32_e32 v9, s8, v9
	s_delay_alu instid0(VALU_DEP_1)
	v_cmpx_gt_i32_e64 v9, v11
	s_cbranch_execz .LBB3_3
; %bb.2:
	v_max_f32_e64 v13, s5, s5
	v_lshlrev_b32_e32 v10, 2, v11
	s_delay_alu instid0(VALU_DEP_1) | instskip(SKIP_4) | instid1(VALU_DEP_1)
	v_add_co_u32 v7, vcc_lo, v7, v10
	v_add_co_ci_u32_e32 v8, vcc_lo, 0, v8, vcc_lo
	global_load_b32 v7, v[7:8], off
	s_waitcnt vmcnt(0)
	v_max_f32_e64 v8, |v7|, |v7|
	v_dual_max_f32 v13, v13, v8 :: v_dual_add_nc_u32 v10, v0, v10
	ds_store_b32 v10, v7
.LBB3_3:
	s_or_b32 exec_lo, exec_lo, s10
	v_sub_nc_u32_e32 v14, s8, v9
	v_ashrrev_i32_e32 v10, 31, v9
	v_lshlrev_b32_e32 v15, 2, v9
	s_mov_b32 s10, exec_lo
	s_delay_alu instid0(VALU_DEP_3) | instskip(NEXT) | instid1(VALU_DEP_1)
	v_ashrrev_i32_e32 v7, 31, v14
	v_lshrrev_b32_e32 v7, 30, v7
	s_delay_alu instid0(VALU_DEP_1) | instskip(NEXT) | instid1(VALU_DEP_1)
	v_add_nc_u32_e32 v7, v14, v7
	v_ashrrev_i32_e32 v16, 2, v7
	v_lshlrev_b64 v[7:8], 2, v[9:10]
	s_delay_alu instid0(VALU_DEP_2)
	v_cmpx_gt_i32_e64 v16, v11
	s_cbranch_execz .LBB3_7
; %bb.4:
	v_lshlrev_b32_e32 v9, 4, v11
	s_mov_b32 s11, 0
	s_delay_alu instid0(VALU_DEP_1) | instskip(SKIP_2) | instid1(VALU_DEP_3)
	v_add_co_u32 v10, vcc_lo, v5, v9
	v_add_co_ci_u32_e32 v17, vcc_lo, 0, v6, vcc_lo
	v_lshl_add_u32 v9, v12, 2, v9
	v_add_co_u32 v10, vcc_lo, v10, v7
	s_delay_alu instid0(VALU_DEP_3) | instskip(NEXT) | instid1(VALU_DEP_2)
	v_add_co_ci_u32_e32 v17, vcc_lo, v17, v8, vcc_lo
	v_add_co_u32 v10, vcc_lo, v10, s2
	s_delay_alu instid0(VALU_DEP_2) | instskip(SKIP_1) | instid1(VALU_DEP_3)
	v_add_co_ci_u32_e32 v18, vcc_lo, s3, v17, vcc_lo
	v_add3_u32 v17, v9, v15, 0
	v_add_co_u32 v9, vcc_lo, v10, 8
	s_delay_alu instid0(VALU_DEP_3)
	v_add_co_ci_u32_e32 v10, vcc_lo, 0, v18, vcc_lo
	v_mov_b32_e32 v18, v11
	.p2align	6
.LBB3_5:                                ; =>This Inner Loop Header: Depth=1
	global_load_b128 v[19:22], v[9:10], off offset:-8
	v_add_nc_u32_e32 v18, 16, v18
	v_add_co_u32 v9, vcc_lo, 0x100, v9
	v_add_co_ci_u32_e32 v10, vcc_lo, 0, v10, vcc_lo
	s_delay_alu instid0(VALU_DEP_3)
	v_cmp_ge_i32_e32 vcc_lo, v18, v16
	s_or_b32 s11, vcc_lo, s11
	s_waitcnt vmcnt(0)
	v_max3_f32 v13, v13, |v19|, |v20|
	ds_store_b128 v17, v[19:22]
	v_add_nc_u32_e32 v17, 0x100, v17
	v_max3_f32 v13, v13, |v21|, |v22|
	s_and_not1_b32 exec_lo, exec_lo, s11
	s_cbranch_execnz .LBB3_5
; %bb.6:
	s_or_b32 exec_lo, exec_lo, s11
.LBB3_7:
	s_delay_alu instid0(SALU_CYCLE_1) | instskip(SKIP_2) | instid1(VALU_DEP_1)
	s_or_b32 exec_lo, exec_lo, s10
	v_lshl_add_u32 v9, v16, 2, v11
	s_mov_b32 s10, exec_lo
	v_cmpx_lt_i32_e64 v9, v14
	s_cbranch_execz .LBB3_11
; %bb.8:
	v_ashrrev_i32_e32 v10, 31, v9
	v_lshlrev_b32_e32 v19, 4, v16
	v_add_co_u32 v5, vcc_lo, v5, v7
	v_lshlrev_b32_e32 v18, 2, v12
	s_delay_alu instid0(VALU_DEP_4) | instskip(SKIP_2) | instid1(VALU_DEP_4)
	v_lshlrev_b64 v[16:17], 2, v[9:10]
	v_add_co_ci_u32_e32 v6, vcc_lo, v6, v8, vcc_lo
	v_lshlrev_b32_e32 v20, 2, v11
	v_add3_u32 v7, v18, v19, v15
	s_mov_b32 s11, 0
	s_delay_alu instid0(VALU_DEP_4) | instskip(SKIP_1) | instid1(VALU_DEP_3)
	v_add_co_u32 v5, vcc_lo, v5, v16
	v_add_co_ci_u32_e32 v6, vcc_lo, v6, v17, vcc_lo
	v_add3_u32 v7, v7, v20, 0
	s_delay_alu instid0(VALU_DEP_3) | instskip(NEXT) | instid1(VALU_DEP_3)
	v_add_co_u32 v5, vcc_lo, s2, v5
	v_add_co_ci_u32_e32 v6, vcc_lo, s3, v6, vcc_lo
	.p2align	6
.LBB3_9:                                ; =>This Inner Loop Header: Depth=1
	global_load_b32 v8, v[5:6], off
	v_add_nc_u32_e32 v9, 16, v9
	v_max_f32_e32 v10, v13, v13
	v_add_co_u32 v5, vcc_lo, v5, 64
	v_add_co_ci_u32_e32 v6, vcc_lo, 0, v6, vcc_lo
	s_delay_alu instid0(VALU_DEP_4)
	v_cmp_ge_i32_e32 vcc_lo, v9, v14
	s_or_b32 s11, vcc_lo, s11
	s_waitcnt vmcnt(0)
	v_max_f32_e64 v13, |v8|, |v8|
	ds_store_b32 v7, v8
	v_add_nc_u32_e32 v7, 64, v7
	v_max_f32_e32 v13, v10, v13
	s_and_not1_b32 exec_lo, exec_lo, s11
	s_cbranch_execnz .LBB3_9
; %bb.10:
	s_or_b32 exec_lo, exec_lo, s11
.LBB3_11:
	s_delay_alu instid0(SALU_CYCLE_1)
	s_or_b32 exec_lo, exec_lo, s10
                                        ; implicit-def: $vgpr5_vgpr6
.LBB3_12:
	s_and_not1_saveexec_b32 s4, s4
	s_cbranch_execz .LBB3_18
; %bb.13:
	v_mov_b32_e32 v13, s5
	s_ashr_i32 s11, s8, 2
	s_mov_b32 s10, exec_lo
	v_cmpx_gt_i32_e64 s11, v11
	s_cbranch_execz .LBB3_17
; %bb.14:
	v_lshlrev_b32_e32 v7, 4, v11
	v_dual_mov_b32 v13, s5 :: v_dual_lshlrev_b32 v8, 2, v12
	s_delay_alu instid0(VALU_DEP_2) | instskip(SKIP_1) | instid1(VALU_DEP_3)
	v_add_co_u32 v5, vcc_lo, v5, v7
	v_add_co_ci_u32_e32 v6, vcc_lo, 0, v6, vcc_lo
	v_add3_u32 v7, v8, v7, 0
	s_delay_alu instid0(VALU_DEP_3) | instskip(NEXT) | instid1(VALU_DEP_3)
	v_add_co_u32 v5, vcc_lo, v5, s2
	v_add_co_ci_u32_e32 v6, vcc_lo, s3, v6, vcc_lo
	v_mov_b32_e32 v8, v11
	s_delay_alu instid0(VALU_DEP_3) | instskip(NEXT) | instid1(VALU_DEP_3)
	v_add_co_u32 v5, vcc_lo, v5, 8
	v_add_co_ci_u32_e32 v6, vcc_lo, 0, v6, vcc_lo
	s_mov_b32 s2, 0
	.p2align	6
.LBB3_15:                               ; =>This Inner Loop Header: Depth=1
	global_load_b128 v[14:17], v[5:6], off offset:-8
	v_add_nc_u32_e32 v8, 16, v8
	v_add_co_u32 v5, vcc_lo, 0x100, v5
	v_add_co_ci_u32_e32 v6, vcc_lo, 0, v6, vcc_lo
	s_delay_alu instid0(VALU_DEP_3)
	v_cmp_le_i32_e32 vcc_lo, s11, v8
	s_or_b32 s2, vcc_lo, s2
	s_waitcnt vmcnt(0)
	v_max3_f32 v9, v13, |v14|, |v15|
	ds_store_b128 v7, v[14:17]
	v_add_nc_u32_e32 v7, 0x100, v7
	v_max3_f32 v13, v9, |v16|, |v17|
	s_and_not1_b32 exec_lo, exec_lo, s2
	s_cbranch_execnz .LBB3_15
; %bb.16:
	s_or_b32 exec_lo, exec_lo, s2
.LBB3_17:
	s_delay_alu instid0(SALU_CYCLE_1)
	s_or_b32 exec_lo, exec_lo, s10
.LBB3_18:
	s_delay_alu instid0(SALU_CYCLE_1) | instskip(SKIP_4) | instid1(VALU_DEP_2)
	s_or_b32 exec_lo, exec_lo, s4
	v_mbcnt_lo_u32_b32 v5, -1, 0
	s_load_b64 s[4:5], s[0:1], 0x8
	s_mov_b32 s2, exec_lo
	v_max_f32_e32 v9, v13, v13
	v_xor_b32_e32 v7, 8, v5
	v_and_b32_e32 v6, 16, v5
	v_xor_b32_e32 v8, 4, v5
	s_delay_alu instid0(VALU_DEP_2) | instskip(NEXT) | instid1(VALU_DEP_1)
	v_add_nc_u32_e32 v6, 16, v6
	v_cmp_lt_i32_e32 vcc_lo, v7, v6
	v_cndmask_b32_e32 v7, v5, v7, vcc_lo
	s_delay_alu instid0(VALU_DEP_4) | instskip(NEXT) | instid1(VALU_DEP_2)
	v_cmp_lt_i32_e32 vcc_lo, v8, v6
	v_dual_cndmask_b32 v8, v5, v8 :: v_dual_lshlrev_b32 v7, 2, v7
	ds_bpermute_b32 v7, v7, v13
	s_waitcnt lgkmcnt(0)
	v_dual_max_f32 v7, v7, v7 :: v_dual_lshlrev_b32 v8, 2, v8
	s_delay_alu instid0(VALU_DEP_1)
	v_max_f32_e32 v7, v9, v7
	v_xor_b32_e32 v9, 2, v5
	ds_bpermute_b32 v8, v8, v7
	v_cmp_lt_i32_e32 vcc_lo, v9, v6
	s_waitcnt lgkmcnt(0)
	v_dual_cndmask_b32 v9, v5, v9 :: v_dual_max_f32 v8, v8, v8
	s_delay_alu instid0(VALU_DEP_1) | instskip(NEXT) | instid1(VALU_DEP_2)
	v_max_f32_e32 v7, v7, v8
	v_lshlrev_b32_e32 v9, 2, v9
	ds_bpermute_b32 v8, v9, v7
	v_xor_b32_e32 v9, 1, v5
	s_delay_alu instid0(VALU_DEP_1) | instskip(SKIP_2) | instid1(VALU_DEP_1)
	v_cmp_lt_i32_e32 vcc_lo, v9, v6
	v_cndmask_b32_e32 v5, v5, v9, vcc_lo
	s_waitcnt lgkmcnt(0)
	v_dual_max_f32 v6, v8, v8 :: v_dual_lshlrev_b32 v5, 2, v5
	s_delay_alu instid0(VALU_DEP_1) | instskip(SKIP_3) | instid1(VALU_DEP_1)
	v_max_f32_e32 v6, v7, v6
	ds_bpermute_b32 v5, v5, v6
	s_waitcnt lgkmcnt(0)
	v_max_f32_e32 v5, v5, v5
	v_max_f32_e32 v5, v6, v5
	s_delay_alu instid0(VALU_DEP_1) | instskip(SKIP_1) | instid1(VALU_DEP_2)
	v_div_scale_f32 v6, null, s7, s7, v5
	v_div_scale_f32 v9, vcc_lo, v5, s7, v5
	v_rcp_f32_e32 v7, v6
	s_waitcnt_depctr 0xfff
	v_fma_f32 v8, -v6, v7, 1.0
	s_delay_alu instid0(VALU_DEP_1) | instskip(NEXT) | instid1(VALU_DEP_1)
	v_fmac_f32_e32 v7, v8, v7
	v_mul_f32_e32 v8, v9, v7
	s_delay_alu instid0(VALU_DEP_1) | instskip(NEXT) | instid1(VALU_DEP_1)
	v_fma_f32 v10, -v6, v8, v9
	v_fmac_f32_e32 v8, v10, v7
	s_delay_alu instid0(VALU_DEP_1) | instskip(NEXT) | instid1(VALU_DEP_1)
	v_fma_f32 v6, -v6, v8, v9
	v_div_fmas_f32 v6, v6, v7, v8
	s_delay_alu instid0(VALU_DEP_1)
	v_div_fixup_f32 v5, v6, s7, v5
	v_cmpx_eq_u32_e32 0, v11
	s_cbranch_execz .LBB3_20
; %bb.19:
	s_load_b64 s[0:1], s[0:1], 0x10
	v_lshlrev_b64 v[3:4], 2, v[3:4]
	s_waitcnt lgkmcnt(0)
	s_delay_alu instid0(VALU_DEP_1) | instskip(NEXT) | instid1(VALU_DEP_2)
	v_add_co_u32 v3, vcc_lo, s0, v3
	v_add_co_ci_u32_e32 v4, vcc_lo, s1, v4, vcc_lo
	global_store_b32 v[3:4], v5, off
.LBB3_20:
	s_or_b32 exec_lo, exec_lo, s2
	v_dual_mov_b32 v4, 0 :: v_dual_and_b32 v3, 15, v0
	s_xor_b32 s0, s9, -1
	s_waitcnt_vscnt null, 0x0
	s_barrier
	buffer_gl0_inv
	v_cmp_ne_u64_e32 vcc_lo, 0, v[3:4]
	s_or_b32 s0, s0, vcc_lo
	s_delay_alu instid0(SALU_CYCLE_1) | instskip(NEXT) | instid1(SALU_CYCLE_1)
	s_and_saveexec_b32 s1, s0
	s_xor_b32 s9, exec_lo, s1
	s_cbranch_execz .LBB3_30
; %bb.21:
	v_sub_nc_u32_e32 v3, 0, v0
	s_mov_b32 s0, exec_lo
	s_delay_alu instid0(VALU_DEP_1) | instskip(NEXT) | instid1(VALU_DEP_1)
	v_bfe_u32 v3, v3, 2, 2
	v_min_i32_e32 v7, s8, v3
	s_delay_alu instid0(VALU_DEP_1)
	v_cmpx_gt_i32_e64 v7, v11
	s_cbranch_execz .LBB3_23
; %bb.22:
	v_lshl_add_u32 v0, v11, 2, v0
	ds_load_b32 v0, v0
	s_waitcnt lgkmcnt(0)
	v_div_scale_f32 v3, null, v5, v5, v0
	v_div_scale_f32 v8, vcc_lo, v0, v5, v0
	s_delay_alu instid0(VALU_DEP_2) | instskip(SKIP_2) | instid1(VALU_DEP_1)
	v_rcp_f32_e32 v4, v3
	s_waitcnt_depctr 0xfff
	v_fma_f32 v6, -v3, v4, 1.0
	v_fmac_f32_e32 v4, v6, v4
	s_delay_alu instid0(VALU_DEP_1) | instskip(NEXT) | instid1(VALU_DEP_1)
	v_mul_f32_e32 v6, v8, v4
	v_fma_f32 v9, -v3, v6, v8
	s_delay_alu instid0(VALU_DEP_1) | instskip(NEXT) | instid1(VALU_DEP_1)
	v_fmac_f32_e32 v6, v9, v4
	v_fma_f32 v3, -v3, v6, v8
	s_delay_alu instid0(VALU_DEP_1) | instskip(SKIP_3) | instid1(VALU_DEP_4)
	v_div_fmas_f32 v3, v3, v4, v6
	v_max_f32_e64 v4, s6, s6
	v_add_co_u32 v6, vcc_lo, s4, v1
	v_add_co_ci_u32_e32 v8, vcc_lo, s5, v2, vcc_lo
	v_div_fixup_f32 v0, v3, v5, v0
	v_max_f32_e64 v3, s7, s7
	s_delay_alu instid0(VALU_DEP_1) | instskip(SKIP_2) | instid1(VALU_DEP_3)
	v_maxmin_f32 v0, v0, v4, v3
	v_add_co_u32 v3, vcc_lo, v6, v11
	v_add_co_ci_u32_e32 v4, vcc_lo, 0, v8, vcc_lo
	v_cvt_i32_f32_e32 v0, v0
	global_store_b8 v[3:4], v0, off
.LBB3_23:
	s_or_b32 exec_lo, exec_lo, s0
	v_sub_nc_u32_e32 v6, s8, v7
	v_lshlrev_b32_e32 v9, 2, v7
	s_mov_b32 s10, exec_lo
	s_delay_alu instid0(VALU_DEP_2) | instskip(NEXT) | instid1(VALU_DEP_1)
	v_ashrrev_i32_e32 v0, 31, v6
	v_lshrrev_b32_e32 v0, 30, v0
	s_delay_alu instid0(VALU_DEP_1) | instskip(NEXT) | instid1(VALU_DEP_1)
	v_add_nc_u32_e32 v0, v6, v0
	v_ashrrev_i32_e32 v8, 2, v0
	v_ashrrev_i32_e32 v0, 31, v7
	s_delay_alu instid0(VALU_DEP_2)
	v_cmpx_gt_i32_e64 v8, v11
	s_cbranch_execz .LBB3_26
; %bb.24:
	v_lshlrev_b32_e32 v3, 4, v11
	v_dual_mov_b32 v15, v11 :: v_dual_lshlrev_b32 v4, 2, v11
	v_add_co_u32 v10, vcc_lo, v7, v1
	v_add_co_ci_u32_e32 v13, vcc_lo, v0, v2, vcc_lo
	s_delay_alu instid0(VALU_DEP_4) | instskip(NEXT) | instid1(VALU_DEP_3)
	v_lshl_add_u32 v3, v12, 2, v3
	v_add_co_u32 v4, vcc_lo, v10, v4
	s_delay_alu instid0(VALU_DEP_3) | instskip(NEXT) | instid1(VALU_DEP_3)
	v_add_co_ci_u32_e32 v13, vcc_lo, 0, v13, vcc_lo
	v_add3_u32 v10, v3, v9, 0
	s_delay_alu instid0(VALU_DEP_3) | instskip(NEXT) | instid1(VALU_DEP_3)
	v_add_co_u32 v3, vcc_lo, s4, v4
	v_add_co_ci_u32_e32 v4, vcc_lo, s5, v13, vcc_lo
	v_max_f32_e64 v13, s6, s6
	v_max_f32_e64 v14, s7, s7
	s_mov_b32 s11, 0
.LBB3_25:                               ; =>This Inner Loop Header: Depth=1
	ds_load_b128 v[16:19], v10
	s_waitcnt lgkmcnt(0)
	v_div_scale_f32 v20, null, v5, v5, v16
	v_div_scale_f32 v22, null, v5, v5, v17
	;; [unrolled: 1-line block ×3, first 2 shown]
	s_delay_alu instid0(VALU_DEP_3) | instskip(NEXT) | instid1(VALU_DEP_2)
	v_rcp_f32_e32 v28, v20
	v_rcp_f32_e32 v29, v22
	v_div_scale_f32 v26, null, v5, v5, v19
	s_delay_alu instid0(VALU_DEP_2) | instskip(SKIP_1) | instid1(VALU_DEP_2)
	v_rcp_f32_e32 v30, v24
	v_div_scale_f32 v21, vcc_lo, v16, v5, v16
	v_rcp_f32_e32 v31, v26
	v_div_scale_f32 v23, s1, v17, v5, v17
	v_fma_f32 v32, -v20, v28, 1.0
	s_delay_alu instid0(TRANS32_DEP_3) | instskip(SKIP_2) | instid1(TRANS32_DEP_2)
	v_fma_f32 v33, -v22, v29, 1.0
	v_add_nc_u32_e32 v15, 16, v15
	v_add_nc_u32_e32 v10, 0x100, v10
	v_fma_f32 v34, -v24, v30, 1.0
	s_delay_alu instid0(VALU_DEP_4) | instskip(SKIP_1) | instid1(TRANS32_DEP_1)
	v_dual_fmac_f32 v28, v32, v28 :: v_dual_fmac_f32 v29, v33, v29
	v_div_scale_f32 v25, s2, v18, v5, v18
	v_fma_f32 v35, -v26, v31, 1.0
	s_delay_alu instid0(VALU_DEP_4) | instskip(NEXT) | instid1(VALU_DEP_4)
	v_fmac_f32_e32 v30, v34, v30
	v_dual_mul_f32 v32, v21, v28 :: v_dual_mul_f32 v33, v23, v29
	v_div_scale_f32 v27, s3, v19, v5, v19
	s_delay_alu instid0(VALU_DEP_3) | instskip(NEXT) | instid1(VALU_DEP_3)
	v_dual_fmac_f32 v31, v35, v31 :: v_dual_mul_f32 v34, v25, v30
	v_fma_f32 v36, -v20, v32, v21
	s_delay_alu instid0(VALU_DEP_4) | instskip(SKIP_1) | instid1(VALU_DEP_4)
	v_fma_f32 v37, -v22, v33, v23
	v_cmp_ge_i32_e64 s0, v15, v8
	v_mul_f32_e32 v35, v27, v31
	v_fma_f32 v38, -v24, v34, v25
	s_delay_alu instid0(VALU_DEP_4) | instskip(NEXT) | instid1(VALU_DEP_4)
	v_dual_fmac_f32 v32, v36, v28 :: v_dual_fmac_f32 v33, v37, v29
	s_or_b32 s11, s0, s11
	s_delay_alu instid0(VALU_DEP_3) | instskip(NEXT) | instid1(VALU_DEP_3)
	v_fma_f32 v39, -v26, v35, v27
	v_fmac_f32_e32 v34, v38, v30
	s_delay_alu instid0(VALU_DEP_3) | instskip(SKIP_1) | instid1(VALU_DEP_4)
	v_fma_f32 v20, -v20, v32, v21
	v_fma_f32 v21, -v22, v33, v23
	v_fmac_f32_e32 v35, v39, v31
	s_delay_alu instid0(VALU_DEP_4) | instskip(NEXT) | instid1(VALU_DEP_4)
	v_fma_f32 v22, -v24, v34, v25
	v_div_fmas_f32 v20, v20, v28, v32
	s_mov_b32 vcc_lo, s1
	v_div_fmas_f32 v21, v21, v29, v33
	s_mov_b32 vcc_lo, s2
	v_fma_f32 v23, -v26, v35, v27
	v_div_fmas_f32 v22, v22, v30, v34
	s_mov_b32 vcc_lo, s3
	v_div_fixup_f32 v16, v20, v5, v16
	v_div_fixup_f32 v17, v21, v5, v17
	v_div_fmas_f32 v20, v23, v31, v35
	v_div_fixup_f32 v18, v22, v5, v18
	s_delay_alu instid0(VALU_DEP_4) | instskip(NEXT) | instid1(VALU_DEP_4)
	v_maxmin_f32 v16, v16, v13, v14
	v_maxmin_f32 v17, v17, v13, v14
	s_delay_alu instid0(VALU_DEP_4) | instskip(NEXT) | instid1(VALU_DEP_4)
	v_div_fixup_f32 v19, v20, v5, v19
	v_maxmin_f32 v18, v18, v13, v14
	s_delay_alu instid0(VALU_DEP_4) | instskip(NEXT) | instid1(VALU_DEP_4)
	v_cvt_i32_f32_e32 v16, v16
	v_cvt_i32_f32_e32 v17, v17
	s_delay_alu instid0(VALU_DEP_4) | instskip(NEXT) | instid1(VALU_DEP_4)
	v_maxmin_f32 v19, v19, v13, v14
	v_cvt_i32_f32_e32 v18, v18
	s_delay_alu instid0(VALU_DEP_4) | instskip(NEXT) | instid1(VALU_DEP_4)
	v_and_b32_e32 v16, 0xff, v16
	v_and_b32_e32 v17, 0xff, v17
	s_delay_alu instid0(VALU_DEP_4) | instskip(NEXT) | instid1(VALU_DEP_4)
	v_cvt_i32_f32_e32 v19, v19
	v_and_b32_e32 v18, 0xff, v18
	s_delay_alu instid0(VALU_DEP_3) | instskip(NEXT) | instid1(VALU_DEP_2)
	v_lshlrev_b32_e32 v17, 8, v17
	v_lshlrev_b32_e32 v18, 16, v18
	s_delay_alu instid0(VALU_DEP_1) | instskip(NEXT) | instid1(VALU_DEP_1)
	v_lshl_or_b32 v18, v19, 24, v18
	v_or3_b32 v16, v18, v17, v16
	global_store_b32 v[3:4], v16, off
	v_add_co_u32 v3, vcc_lo, v3, 64
	v_add_co_ci_u32_e32 v4, vcc_lo, 0, v4, vcc_lo
	s_and_not1_b32 exec_lo, exec_lo, s11
	s_cbranch_execnz .LBB3_25
.LBB3_26:
	s_or_b32 exec_lo, exec_lo, s10
	v_lshl_add_u32 v3, v8, 2, v11
	s_mov_b32 s1, exec_lo
	s_delay_alu instid0(VALU_DEP_1)
	v_cmpx_lt_i32_e64 v3, v6
	s_cbranch_execz .LBB3_29
; %bb.27:
	v_add_co_u32 v1, vcc_lo, v7, v1
	v_lshlrev_b32_e32 v4, 2, v12
	v_lshlrev_b32_e32 v8, 4, v8
	v_add_co_ci_u32_e32 v0, vcc_lo, v0, v2, vcc_lo
	v_ashrrev_i32_e32 v2, 31, v3
	v_add_co_u32 v1, vcc_lo, v1, v3
	s_delay_alu instid0(VALU_DEP_4) | instskip(SKIP_1) | instid1(VALU_DEP_4)
	v_add3_u32 v4, v4, v8, v9
	v_lshlrev_b32_e32 v7, 2, v11
	v_add_co_ci_u32_e32 v8, vcc_lo, v0, v2, vcc_lo
	s_delay_alu instid0(VALU_DEP_4) | instskip(NEXT) | instid1(VALU_DEP_3)
	v_add_co_u32 v0, vcc_lo, s4, v1
	v_add3_u32 v2, v4, v7, 0
	s_delay_alu instid0(VALU_DEP_3)
	v_add_co_ci_u32_e32 v1, vcc_lo, s5, v8, vcc_lo
	v_max_f32_e64 v4, s6, s6
	v_max_f32_e64 v7, s7, s7
	s_mov_b32 s2, 0
	s_set_inst_prefetch_distance 0x1
	.p2align	6
.LBB3_28:                               ; =>This Inner Loop Header: Depth=1
	ds_load_b32 v8, v2
	v_add_nc_u32_e32 v2, 64, v2
	s_waitcnt lgkmcnt(0)
	v_div_scale_f32 v9, null, v5, v5, v8
	v_div_scale_f32 v11, vcc_lo, v8, v5, v8
	s_delay_alu instid0(VALU_DEP_2) | instskip(SKIP_2) | instid1(VALU_DEP_1)
	v_rcp_f32_e32 v10, v9
	s_waitcnt_depctr 0xfff
	v_fma_f32 v12, -v9, v10, 1.0
	v_dual_fmac_f32 v10, v12, v10 :: v_dual_add_nc_u32 v3, 16, v3
	s_delay_alu instid0(VALU_DEP_1) | instskip(NEXT) | instid1(VALU_DEP_2)
	v_cmp_ge_i32_e64 s0, v3, v6
	v_mul_f32_e32 v12, v11, v10
	s_delay_alu instid0(VALU_DEP_2) | instskip(NEXT) | instid1(VALU_DEP_1)
	s_or_b32 s2, s0, s2
	v_fma_f32 v13, -v9, v12, v11
	s_delay_alu instid0(VALU_DEP_1) | instskip(NEXT) | instid1(VALU_DEP_1)
	v_fmac_f32_e32 v12, v13, v10
	v_fma_f32 v9, -v9, v12, v11
	s_delay_alu instid0(VALU_DEP_1) | instskip(NEXT) | instid1(VALU_DEP_1)
	v_div_fmas_f32 v9, v9, v10, v12
	v_div_fixup_f32 v8, v9, v5, v8
	s_delay_alu instid0(VALU_DEP_1) | instskip(NEXT) | instid1(VALU_DEP_1)
	v_maxmin_f32 v8, v8, v4, v7
	v_cvt_i32_f32_e32 v8, v8
	global_store_b8 v[0:1], v8, off
	v_add_co_u32 v0, vcc_lo, v0, 16
	v_add_co_ci_u32_e32 v1, vcc_lo, 0, v1, vcc_lo
	s_and_not1_b32 exec_lo, exec_lo, s2
	s_cbranch_execnz .LBB3_28
.LBB3_29:
	s_set_inst_prefetch_distance 0x2
	s_or_b32 exec_lo, exec_lo, s1
                                        ; implicit-def: $vgpr11
                                        ; implicit-def: $vgpr5
                                        ; implicit-def: $vgpr12
                                        ; implicit-def: $vgpr1_vgpr2
.LBB3_30:
	s_and_not1_saveexec_b32 s0, s9
	s_cbranch_execz .LBB3_34
; %bb.31:
	s_ashr_i32 s8, s8, 2
	s_mov_b32 s0, exec_lo
	v_cmpx_gt_i32_e64 s8, v11
	s_cbranch_execz .LBB3_34
; %bb.32:
	v_lshlrev_b32_e32 v0, 2, v11
	v_lshlrev_b32_e32 v3, 2, v12
	;; [unrolled: 1-line block ×3, first 2 shown]
	s_delay_alu instid0(VALU_DEP_3) | instskip(SKIP_1) | instid1(VALU_DEP_3)
	v_add_co_u32 v0, vcc_lo, v1, v0
	v_add_co_ci_u32_e32 v1, vcc_lo, 0, v2, vcc_lo
	v_add3_u32 v2, v3, v4, 0
	s_delay_alu instid0(VALU_DEP_3) | instskip(NEXT) | instid1(VALU_DEP_3)
	v_add_co_u32 v0, vcc_lo, s4, v0
	v_add_co_ci_u32_e32 v1, vcc_lo, s5, v1, vcc_lo
	v_max_f32_e64 v3, s6, s6
	v_max_f32_e64 v4, s7, s7
	s_mov_b32 s4, 0
.LBB3_33:                               ; =>This Inner Loop Header: Depth=1
	ds_load_b128 v[6:9], v2
	s_waitcnt lgkmcnt(0)
	v_div_scale_f32 v10, null, v5, v5, v6
	v_div_scale_f32 v13, null, v5, v5, v7
	;; [unrolled: 1-line block ×3, first 2 shown]
	s_delay_alu instid0(VALU_DEP_3) | instskip(NEXT) | instid1(VALU_DEP_2)
	v_rcp_f32_e32 v19, v10
	v_rcp_f32_e32 v20, v13
	v_div_scale_f32 v17, null, v5, v5, v9
	s_delay_alu instid0(VALU_DEP_2) | instskip(SKIP_1) | instid1(VALU_DEP_2)
	v_rcp_f32_e32 v21, v15
	v_div_scale_f32 v12, vcc_lo, v6, v5, v6
	v_rcp_f32_e32 v22, v17
	v_div_scale_f32 v14, s1, v7, v5, v7
	v_fma_f32 v23, -v10, v19, 1.0
	s_delay_alu instid0(TRANS32_DEP_3) | instskip(SKIP_2) | instid1(TRANS32_DEP_2)
	v_fma_f32 v24, -v13, v20, 1.0
	v_add_nc_u32_e32 v2, 0x100, v2
	v_add_nc_u32_e32 v11, 16, v11
	v_fma_f32 v25, -v15, v21, 1.0
	s_delay_alu instid0(VALU_DEP_4) | instskip(SKIP_1) | instid1(TRANS32_DEP_1)
	v_dual_fmac_f32 v19, v23, v19 :: v_dual_fmac_f32 v20, v24, v20
	v_div_scale_f32 v16, s2, v8, v5, v8
	v_fma_f32 v26, -v17, v22, 1.0
	s_delay_alu instid0(VALU_DEP_4) | instskip(NEXT) | instid1(VALU_DEP_4)
	v_fmac_f32_e32 v21, v25, v21
	v_dual_mul_f32 v23, v12, v19 :: v_dual_mul_f32 v24, v14, v20
	v_div_scale_f32 v18, s3, v9, v5, v9
	s_delay_alu instid0(VALU_DEP_3) | instskip(NEXT) | instid1(VALU_DEP_3)
	v_dual_fmac_f32 v22, v26, v22 :: v_dual_mul_f32 v25, v16, v21
	v_fma_f32 v27, -v10, v23, v12
	s_delay_alu instid0(VALU_DEP_4) | instskip(SKIP_1) | instid1(VALU_DEP_4)
	v_fma_f32 v28, -v13, v24, v14
	v_cmp_le_i32_e64 s0, s8, v11
	v_mul_f32_e32 v26, v18, v22
	v_fma_f32 v29, -v15, v25, v16
	s_delay_alu instid0(VALU_DEP_4) | instskip(NEXT) | instid1(VALU_DEP_4)
	v_dual_fmac_f32 v23, v27, v19 :: v_dual_fmac_f32 v24, v28, v20
	s_or_b32 s4, s0, s4
	s_delay_alu instid0(VALU_DEP_3) | instskip(NEXT) | instid1(VALU_DEP_3)
	v_fma_f32 v30, -v17, v26, v18
	v_fmac_f32_e32 v25, v29, v21
	s_delay_alu instid0(VALU_DEP_3) | instskip(SKIP_1) | instid1(VALU_DEP_4)
	v_fma_f32 v10, -v10, v23, v12
	v_fma_f32 v12, -v13, v24, v14
	v_fmac_f32_e32 v26, v30, v22
	s_delay_alu instid0(VALU_DEP_4) | instskip(NEXT) | instid1(VALU_DEP_4)
	v_fma_f32 v13, -v15, v25, v16
	v_div_fmas_f32 v10, v10, v19, v23
	s_mov_b32 vcc_lo, s1
	v_div_fmas_f32 v12, v12, v20, v24
	s_mov_b32 vcc_lo, s2
	v_fma_f32 v14, -v17, v26, v18
	v_div_fmas_f32 v13, v13, v21, v25
	s_mov_b32 vcc_lo, s3
	v_div_fixup_f32 v6, v10, v5, v6
	v_div_fixup_f32 v7, v12, v5, v7
	v_div_fmas_f32 v10, v14, v22, v26
	v_div_fixup_f32 v8, v13, v5, v8
	s_delay_alu instid0(VALU_DEP_4) | instskip(NEXT) | instid1(VALU_DEP_4)
	v_maxmin_f32 v6, v6, v3, v4
	v_maxmin_f32 v7, v7, v3, v4
	s_delay_alu instid0(VALU_DEP_4) | instskip(NEXT) | instid1(VALU_DEP_4)
	v_div_fixup_f32 v9, v10, v5, v9
	v_maxmin_f32 v8, v8, v3, v4
	s_delay_alu instid0(VALU_DEP_4) | instskip(NEXT) | instid1(VALU_DEP_4)
	v_cvt_i32_f32_e32 v6, v6
	v_cvt_i32_f32_e32 v7, v7
	s_delay_alu instid0(VALU_DEP_4) | instskip(NEXT) | instid1(VALU_DEP_4)
	v_maxmin_f32 v9, v9, v3, v4
	v_cvt_i32_f32_e32 v8, v8
	s_delay_alu instid0(VALU_DEP_4) | instskip(NEXT) | instid1(VALU_DEP_4)
	v_and_b32_e32 v6, 0xff, v6
	v_and_b32_e32 v7, 0xff, v7
	s_delay_alu instid0(VALU_DEP_4) | instskip(NEXT) | instid1(VALU_DEP_4)
	v_cvt_i32_f32_e32 v9, v9
	v_and_b32_e32 v8, 0xff, v8
	s_delay_alu instid0(VALU_DEP_3) | instskip(NEXT) | instid1(VALU_DEP_2)
	v_lshlrev_b32_e32 v7, 8, v7
	v_lshlrev_b32_e32 v8, 16, v8
	s_delay_alu instid0(VALU_DEP_1) | instskip(NEXT) | instid1(VALU_DEP_1)
	v_lshl_or_b32 v8, v9, 24, v8
	v_or3_b32 v6, v8, v7, v6
	global_store_b32 v[0:1], v6, off
	v_add_co_u32 v0, vcc_lo, v0, 64
	v_add_co_ci_u32_e32 v1, vcc_lo, 0, v1, vcc_lo
	s_and_not1_b32 exec_lo, exec_lo, s4
	s_cbranch_execnz .LBB3_33
.LBB3_34:
	s_nop 0
	s_sendmsg sendmsg(MSG_DEALLOC_VGPRS)
	s_endpgm
	.section	.rodata,"a",@progbits
	.p2align	6, 0x0
	.amdhsa_kernel _Z33per_token_group_quant_8bit_kernelIfaLb0ELb0EfEvPKT_PvPT3_iiifffii
		.amdhsa_group_segment_fixed_size 0
		.amdhsa_private_segment_fixed_size 0
		.amdhsa_kernarg_size 56
		.amdhsa_user_sgpr_count 15
		.amdhsa_user_sgpr_dispatch_ptr 0
		.amdhsa_user_sgpr_queue_ptr 0
		.amdhsa_user_sgpr_kernarg_segment_ptr 1
		.amdhsa_user_sgpr_dispatch_id 0
		.amdhsa_user_sgpr_private_segment_size 0
		.amdhsa_wavefront_size32 1
		.amdhsa_uses_dynamic_stack 0
		.amdhsa_enable_private_segment 0
		.amdhsa_system_sgpr_workgroup_id_x 1
		.amdhsa_system_sgpr_workgroup_id_y 0
		.amdhsa_system_sgpr_workgroup_id_z 0
		.amdhsa_system_sgpr_workgroup_info 0
		.amdhsa_system_vgpr_workitem_id 0
		.amdhsa_next_free_vgpr 40
		.amdhsa_next_free_sgpr 16
		.amdhsa_reserve_vcc 1
		.amdhsa_float_round_mode_32 0
		.amdhsa_float_round_mode_16_64 0
		.amdhsa_float_denorm_mode_32 3
		.amdhsa_float_denorm_mode_16_64 3
		.amdhsa_dx10_clamp 1
		.amdhsa_ieee_mode 1
		.amdhsa_fp16_overflow 0
		.amdhsa_workgroup_processor_mode 1
		.amdhsa_memory_ordered 1
		.amdhsa_forward_progress 0
		.amdhsa_shared_vgpr_count 0
		.amdhsa_exception_fp_ieee_invalid_op 0
		.amdhsa_exception_fp_denorm_src 0
		.amdhsa_exception_fp_ieee_div_zero 0
		.amdhsa_exception_fp_ieee_overflow 0
		.amdhsa_exception_fp_ieee_underflow 0
		.amdhsa_exception_fp_ieee_inexact 0
		.amdhsa_exception_int_div_zero 0
	.end_amdhsa_kernel
	.section	.text._Z33per_token_group_quant_8bit_kernelIfaLb0ELb0EfEvPKT_PvPT3_iiifffii,"axG",@progbits,_Z33per_token_group_quant_8bit_kernelIfaLb0ELb0EfEvPKT_PvPT3_iiifffii,comdat
.Lfunc_end3:
	.size	_Z33per_token_group_quant_8bit_kernelIfaLb0ELb0EfEvPKT_PvPT3_iiifffii, .Lfunc_end3-_Z33per_token_group_quant_8bit_kernelIfaLb0ELb0EfEvPKT_PvPT3_iiifffii
                                        ; -- End function
	.section	.AMDGPU.csdata,"",@progbits
; Kernel info:
; codeLenInByte = 3268
; NumSgprs: 18
; NumVgprs: 40
; ScratchSize: 0
; MemoryBound: 0
; FloatMode: 240
; IeeeMode: 1
; LDSByteSize: 0 bytes/workgroup (compile time only)
; SGPRBlocks: 2
; VGPRBlocks: 4
; NumSGPRsForWavesPerEU: 18
; NumVGPRsForWavesPerEU: 40
; Occupancy: 16
; WaveLimiterHint : 0
; COMPUTE_PGM_RSRC2:SCRATCH_EN: 0
; COMPUTE_PGM_RSRC2:USER_SGPR: 15
; COMPUTE_PGM_RSRC2:TRAP_HANDLER: 0
; COMPUTE_PGM_RSRC2:TGID_X_EN: 1
; COMPUTE_PGM_RSRC2:TGID_Y_EN: 0
; COMPUTE_PGM_RSRC2:TGID_Z_EN: 0
; COMPUTE_PGM_RSRC2:TIDIG_COMP_CNT: 0
	.section	.text._Z33per_token_group_quant_8bit_kernelIfN3c1013Float8_e4m3fnELb1ELb1EfEvPKT_PvPT3_iiifffii,"axG",@progbits,_Z33per_token_group_quant_8bit_kernelIfN3c1013Float8_e4m3fnELb1ELb1EfEvPKT_PvPT3_iiifffii,comdat
	.protected	_Z33per_token_group_quant_8bit_kernelIfN3c1013Float8_e4m3fnELb1ELb1EfEvPKT_PvPT3_iiifffii ; -- Begin function _Z33per_token_group_quant_8bit_kernelIfN3c1013Float8_e4m3fnELb1ELb1EfEvPKT_PvPT3_iiifffii
	.globl	_Z33per_token_group_quant_8bit_kernelIfN3c1013Float8_e4m3fnELb1ELb1EfEvPKT_PvPT3_iiifffii
	.p2align	8
	.type	_Z33per_token_group_quant_8bit_kernelIfN3c1013Float8_e4m3fnELb1ELb1EfEvPKT_PvPT3_iiifffii,@function
_Z33per_token_group_quant_8bit_kernelIfN3c1013Float8_e4m3fnELb1ELb1EfEvPKT_PvPT3_iiifffii: ; @_Z33per_token_group_quant_8bit_kernelIfN3c1013Float8_e4m3fnELb1ELb1EfEvPKT_PvPT3_iiifffii
; %bb.0:
	s_clause 0x1
	s_load_b128 s[4:7], s[0:1], 0x20
	s_load_b32 s14, s[0:1], 0x18
	v_lshrrev_b32_e32 v3, 4, v0
	s_load_b64 s[8:9], s[0:1], 0x30
	v_and_b32_e32 v10, 15, v0
                                        ; implicit-def: $vgpr14
	s_waitcnt lgkmcnt(0)
	s_mul_i32 s15, s15, s4
	s_ashr_i32 s4, s14, 31
	v_add_co_u32 v12, s2, s15, v3
	s_delay_alu instid0(VALU_DEP_1) | instskip(SKIP_1) | instid1(VALU_DEP_2)
	v_add_co_ci_u32_e64 v13, null, 0, 0, s2
	s_load_b64 s[2:3], s[0:1], 0x0
	v_mul_lo_u32 v2, v12, s4
	v_mad_u64_u32 v[4:5], null, v12, s14, 0
	s_delay_alu instid0(VALU_DEP_3) | instskip(SKIP_2) | instid1(SALU_CYCLE_1)
	v_mul_lo_u32 v1, v13, s14
	v_mul_lo_u32 v11, v3, s14
	s_and_b32 s4, s14, 3
	s_cmp_eq_u32 s4, 0
	s_cselect_b32 s15, -1, 0
	s_cmp_lg_u32 s4, 0
	s_delay_alu instid0(VALU_DEP_2) | instskip(NEXT) | instid1(VALU_DEP_2)
	v_add3_u32 v5, v5, v2, v1
	v_lshl_add_u32 v3, v11, 2, 0
	s_cselect_b32 s4, -1, 0
	s_delay_alu instid0(VALU_DEP_2) | instskip(SKIP_1) | instid1(VALU_DEP_1)
	v_lshlrev_b64 v[1:2], 2, v[4:5]
	s_waitcnt lgkmcnt(0)
	v_add_co_u32 v6, vcc_lo, s2, v1
	v_mov_b32_e32 v9, 0
	s_delay_alu instid0(VALU_DEP_3) | instskip(NEXT) | instid1(VALU_DEP_3)
	v_add_co_ci_u32_e32 v7, vcc_lo, s3, v2, vcc_lo
	v_and_b32_e32 v8, 15, v6
	s_delay_alu instid0(VALU_DEP_1) | instskip(SKIP_1) | instid1(SALU_CYCLE_1)
	v_cmp_ne_u64_e32 vcc_lo, 0, v[8:9]
	s_or_b32 s4, s4, vcc_lo
	s_and_saveexec_b32 s10, s4
	s_delay_alu instid0(SALU_CYCLE_1)
	s_xor_b32 s4, exec_lo, s10
	s_cbranch_execz .LBB4_12
; %bb.1:
	v_sub_nc_u32_e32 v0, 0, v6
	v_mov_b32_e32 v14, s5
	s_mov_b32 s10, exec_lo
	s_delay_alu instid0(VALU_DEP_2) | instskip(NEXT) | instid1(VALU_DEP_1)
	v_bfe_u32 v0, v0, 2, 2
	v_min_i32_e32 v8, s14, v0
	s_delay_alu instid0(VALU_DEP_1)
	v_cmpx_gt_i32_e64 v8, v10
	s_cbranch_execz .LBB4_3
; %bb.2:
	v_lshlrev_b32_e32 v0, 2, v10
	v_max_f32_e64 v9, s5, s5
	s_delay_alu instid0(VALU_DEP_2)
	v_add_co_u32 v6, vcc_lo, v6, v0
	v_add_co_ci_u32_e32 v7, vcc_lo, 0, v7, vcc_lo
	v_add_nc_u32_e32 v0, v3, v0
	global_load_b32 v6, v[6:7], off
	s_waitcnt vmcnt(0)
	v_max_f32_e64 v7, |v6|, |v6|
	ds_store_b32 v0, v6
	v_max_f32_e32 v14, v9, v7
.LBB4_3:
	s_or_b32 exec_lo, exec_lo, s10
	v_sub_nc_u32_e32 v15, s14, v8
	v_ashrrev_i32_e32 v9, 31, v8
	s_mov_b32 s10, exec_lo
	s_delay_alu instid0(VALU_DEP_2) | instskip(NEXT) | instid1(VALU_DEP_2)
	v_ashrrev_i32_e32 v0, 31, v15
	v_lshlrev_b64 v[6:7], 2, v[8:9]
	s_delay_alu instid0(VALU_DEP_2) | instskip(NEXT) | instid1(VALU_DEP_1)
	v_lshrrev_b32_e32 v0, 30, v0
	v_add_nc_u32_e32 v0, v15, v0
	s_delay_alu instid0(VALU_DEP_1) | instskip(SKIP_1) | instid1(VALU_DEP_2)
	v_ashrrev_i32_e32 v16, 2, v0
	v_lshlrev_b32_e32 v0, 2, v8
	v_cmpx_gt_i32_e64 v16, v10
	s_cbranch_execz .LBB4_7
; %bb.4:
	v_lshlrev_b32_e32 v8, 4, v10
	s_mov_b32 s11, 0
	s_delay_alu instid0(VALU_DEP_1) | instskip(SKIP_2) | instid1(VALU_DEP_3)
	v_add_co_u32 v9, vcc_lo, v1, v8
	v_add_co_ci_u32_e32 v17, vcc_lo, 0, v2, vcc_lo
	v_lshl_add_u32 v8, v11, 2, v8
	v_add_co_u32 v9, vcc_lo, v9, v6
	s_delay_alu instid0(VALU_DEP_3) | instskip(NEXT) | instid1(VALU_DEP_2)
	v_add_co_ci_u32_e32 v17, vcc_lo, v17, v7, vcc_lo
	v_add_co_u32 v9, vcc_lo, v9, s2
	s_delay_alu instid0(VALU_DEP_2) | instskip(SKIP_1) | instid1(VALU_DEP_3)
	v_add_co_ci_u32_e32 v18, vcc_lo, s3, v17, vcc_lo
	v_add3_u32 v17, v8, v0, 0
	v_add_co_u32 v8, vcc_lo, v9, 8
	s_delay_alu instid0(VALU_DEP_3)
	v_add_co_ci_u32_e32 v9, vcc_lo, 0, v18, vcc_lo
	v_mov_b32_e32 v18, v10
	.p2align	6
.LBB4_5:                                ; =>This Inner Loop Header: Depth=1
	global_load_b128 v[19:22], v[8:9], off offset:-8
	v_add_nc_u32_e32 v18, 16, v18
	v_add_co_u32 v8, vcc_lo, 0x100, v8
	v_add_co_ci_u32_e32 v9, vcc_lo, 0, v9, vcc_lo
	s_delay_alu instid0(VALU_DEP_3)
	v_cmp_ge_i32_e32 vcc_lo, v18, v16
	s_or_b32 s11, vcc_lo, s11
	s_waitcnt vmcnt(0)
	v_max3_f32 v14, v14, |v19|, |v20|
	ds_store_b128 v17, v[19:22]
	v_add_nc_u32_e32 v17, 0x100, v17
	v_max3_f32 v14, v14, |v21|, |v22|
	s_and_not1_b32 exec_lo, exec_lo, s11
	s_cbranch_execnz .LBB4_5
; %bb.6:
	s_or_b32 exec_lo, exec_lo, s11
.LBB4_7:
	s_delay_alu instid0(SALU_CYCLE_1) | instskip(SKIP_2) | instid1(VALU_DEP_1)
	s_or_b32 exec_lo, exec_lo, s10
	v_lshl_add_u32 v8, v16, 2, v10
	s_mov_b32 s10, exec_lo
	v_cmpx_lt_i32_e64 v8, v15
	s_cbranch_execz .LBB4_11
; %bb.8:
	v_ashrrev_i32_e32 v9, 31, v8
	v_lshlrev_b32_e32 v19, 4, v16
	v_lshlrev_b32_e32 v18, 2, v11
	v_add_co_u32 v1, vcc_lo, v1, v6
	s_delay_alu instid0(VALU_DEP_4) | instskip(SKIP_4) | instid1(VALU_DEP_4)
	v_lshlrev_b64 v[16:17], 2, v[8:9]
	v_add_co_ci_u32_e32 v2, vcc_lo, v2, v7, vcc_lo
	v_lshlrev_b32_e32 v20, 2, v10
	v_add3_u32 v0, v18, v19, v0
	s_mov_b32 s11, 0
	v_add_co_u32 v1, vcc_lo, v1, v16
	v_add_co_ci_u32_e32 v6, vcc_lo, v2, v17, vcc_lo
	s_delay_alu instid0(VALU_DEP_3) | instskip(NEXT) | instid1(VALU_DEP_3)
	v_add3_u32 v2, v0, v20, 0
	v_add_co_u32 v0, vcc_lo, s2, v1
	s_delay_alu instid0(VALU_DEP_3)
	v_add_co_ci_u32_e32 v1, vcc_lo, s3, v6, vcc_lo
	.p2align	6
.LBB4_9:                                ; =>This Inner Loop Header: Depth=1
	global_load_b32 v6, v[0:1], off
	v_dual_max_f32 v7, v14, v14 :: v_dual_add_nc_u32 v8, 16, v8
	v_add_co_u32 v0, vcc_lo, v0, 64
	v_add_co_ci_u32_e32 v1, vcc_lo, 0, v1, vcc_lo
	s_delay_alu instid0(VALU_DEP_3)
	v_cmp_ge_i32_e32 vcc_lo, v8, v15
	s_or_b32 s11, vcc_lo, s11
	s_waitcnt vmcnt(0)
	v_max_f32_e64 v9, |v6|, |v6|
	ds_store_b32 v2, v6
	v_add_nc_u32_e32 v2, 64, v2
	v_max_f32_e32 v14, v7, v9
	s_and_not1_b32 exec_lo, exec_lo, s11
	s_cbranch_execnz .LBB4_9
; %bb.10:
	s_or_b32 exec_lo, exec_lo, s11
.LBB4_11:
	s_delay_alu instid0(SALU_CYCLE_1)
	s_or_b32 exec_lo, exec_lo, s10
                                        ; implicit-def: $vgpr1_vgpr2
.LBB4_12:
	s_and_not1_saveexec_b32 s4, s4
	s_cbranch_execz .LBB4_18
; %bb.13:
	v_mov_b32_e32 v14, s5
	s_ashr_i32 s11, s14, 2
	s_mov_b32 s10, exec_lo
	v_cmpx_gt_i32_e64 s11, v10
	s_cbranch_execz .LBB4_17
; %bb.14:
	v_lshlrev_b32_e32 v0, 4, v10
	v_lshlrev_b32_e32 v6, 2, v11
	v_mov_b32_e32 v14, s5
	s_delay_alu instid0(VALU_DEP_3) | instskip(SKIP_1) | instid1(VALU_DEP_2)
	v_add_co_u32 v1, vcc_lo, v1, v0
	v_add_co_ci_u32_e32 v2, vcc_lo, 0, v2, vcc_lo
	v_add_co_u32 v1, vcc_lo, v1, s2
	s_delay_alu instid0(VALU_DEP_2) | instskip(SKIP_1) | instid1(VALU_DEP_3)
	v_add_co_ci_u32_e32 v7, vcc_lo, s3, v2, vcc_lo
	v_add3_u32 v2, v6, v0, 0
	v_add_co_u32 v0, vcc_lo, v1, 8
	s_delay_alu instid0(VALU_DEP_3)
	v_add_co_ci_u32_e32 v1, vcc_lo, 0, v7, vcc_lo
	v_mov_b32_e32 v6, v10
	s_mov_b32 s2, 0
	.p2align	6
.LBB4_15:                               ; =>This Inner Loop Header: Depth=1
	global_load_b128 v[15:18], v[0:1], off offset:-8
	v_add_nc_u32_e32 v6, 16, v6
	v_add_co_u32 v0, vcc_lo, 0x100, v0
	v_add_co_ci_u32_e32 v1, vcc_lo, 0, v1, vcc_lo
	s_delay_alu instid0(VALU_DEP_3)
	v_cmp_le_i32_e32 vcc_lo, s11, v6
	s_or_b32 s2, vcc_lo, s2
	s_waitcnt vmcnt(0)
	v_max3_f32 v7, v14, |v15|, |v16|
	ds_store_b128 v2, v[15:18]
	v_add_nc_u32_e32 v2, 0x100, v2
	v_max3_f32 v14, v7, |v17|, |v18|
	s_and_not1_b32 exec_lo, exec_lo, s2
	s_cbranch_execnz .LBB4_15
; %bb.16:
	s_or_b32 exec_lo, exec_lo, s2
.LBB4_17:
	s_delay_alu instid0(SALU_CYCLE_1)
	s_or_b32 exec_lo, exec_lo, s10
.LBB4_18:
	s_delay_alu instid0(SALU_CYCLE_1) | instskip(SKIP_4) | instid1(VALU_DEP_2)
	s_or_b32 exec_lo, exec_lo, s4
	v_mbcnt_lo_u32_b32 v0, -1, 0
	v_max_f32_e32 v7, v14, v14
	s_load_b64 s[2:3], s[0:1], 0x8
	s_mov_b32 s16, exec_lo
	v_xor_b32_e32 v2, 8, v0
	v_and_b32_e32 v1, 16, v0
	v_xor_b32_e32 v6, 4, v0
	s_delay_alu instid0(VALU_DEP_2) | instskip(NEXT) | instid1(VALU_DEP_1)
	v_add_nc_u32_e32 v1, 16, v1
	v_cmp_lt_i32_e32 vcc_lo, v2, v1
	v_cndmask_b32_e32 v2, v0, v2, vcc_lo
	s_delay_alu instid0(VALU_DEP_4) | instskip(NEXT) | instid1(VALU_DEP_2)
	v_cmp_lt_i32_e32 vcc_lo, v6, v1
	v_lshlrev_b32_e32 v2, 2, v2
	v_cndmask_b32_e32 v6, v0, v6, vcc_lo
	ds_bpermute_b32 v2, v2, v14
	v_lshlrev_b32_e32 v6, 2, v6
	s_waitcnt lgkmcnt(0)
	v_max_f32_e32 v2, v2, v2
	s_delay_alu instid0(VALU_DEP_1)
	v_max_f32_e32 v2, v7, v2
	v_xor_b32_e32 v7, 2, v0
	ds_bpermute_b32 v6, v6, v2
	v_cmp_lt_i32_e32 vcc_lo, v7, v1
	v_cndmask_b32_e32 v7, v0, v7, vcc_lo
	s_waitcnt lgkmcnt(0)
	s_delay_alu instid0(VALU_DEP_1) | instskip(NEXT) | instid1(VALU_DEP_1)
	v_dual_max_f32 v6, v6, v6 :: v_dual_lshlrev_b32 v7, 2, v7
	v_max_f32_e32 v2, v2, v6
	ds_bpermute_b32 v6, v7, v2
	v_xor_b32_e32 v7, 1, v0
	s_delay_alu instid0(VALU_DEP_1) | instskip(SKIP_2) | instid1(VALU_DEP_1)
	v_cmp_lt_i32_e32 vcc_lo, v7, v1
	s_waitcnt lgkmcnt(0)
	v_dual_cndmask_b32 v0, v0, v7 :: v_dual_max_f32 v1, v6, v6
	v_dual_max_f32 v1, v2, v1 :: v_dual_lshlrev_b32 v0, 2, v0
	ds_bpermute_b32 v0, v0, v1
	s_waitcnt lgkmcnt(0)
	v_max_f32_e32 v0, v0, v0
	s_delay_alu instid0(VALU_DEP_1) | instskip(NEXT) | instid1(VALU_DEP_1)
	v_max_f32_e32 v0, v1, v0
	v_div_scale_f32 v1, null, s7, s7, v0
	v_div_scale_f32 v7, vcc_lo, v0, s7, v0
	s_delay_alu instid0(VALU_DEP_2) | instskip(SKIP_2) | instid1(VALU_DEP_1)
	v_rcp_f32_e32 v2, v1
	s_waitcnt_depctr 0xfff
	v_fma_f32 v6, -v1, v2, 1.0
	v_fmac_f32_e32 v2, v6, v2
	s_delay_alu instid0(VALU_DEP_1) | instskip(NEXT) | instid1(VALU_DEP_1)
	v_mul_f32_e32 v6, v7, v2
	v_fma_f32 v8, -v1, v6, v7
	s_delay_alu instid0(VALU_DEP_1) | instskip(NEXT) | instid1(VALU_DEP_1)
	v_fmac_f32_e32 v6, v8, v2
	v_fma_f32 v1, -v1, v6, v7
	s_delay_alu instid0(VALU_DEP_1) | instskip(NEXT) | instid1(VALU_DEP_1)
	v_div_fmas_f32 v1, v1, v2, v6
	v_div_fixup_f32 v0, v1, s7, v0
	s_delay_alu instid0(VALU_DEP_1) | instskip(NEXT) | instid1(VALU_DEP_1)
	v_max_f32_e64 v0, 0x2edbe6ff, |v0|
	v_cmp_gt_f32_e32 vcc_lo, 0x800000, v0
	v_cndmask_b32_e64 v1, 1.0, 0x4f800000, vcc_lo
	s_delay_alu instid0(VALU_DEP_1) | instskip(SKIP_1) | instid1(VALU_DEP_2)
	v_mul_f32_e32 v0, v0, v1
	v_cndmask_b32_e64 v1, 0, 0x42000000, vcc_lo
	v_log_f32_e32 v0, v0
	s_waitcnt_depctr 0xfff
	v_sub_f32_e32 v0, v0, v1
	s_delay_alu instid0(VALU_DEP_1) | instskip(NEXT) | instid1(VALU_DEP_1)
	v_ceil_f32_e32 v0, v0
	v_cmp_gt_f32_e32 vcc_lo, 0xc2fc0000, v0
	v_cndmask_b32_e64 v1, 0, 0x42800000, vcc_lo
	s_delay_alu instid0(VALU_DEP_1) | instskip(SKIP_1) | instid1(VALU_DEP_2)
	v_add_f32_e32 v0, v0, v1
	v_cndmask_b32_e64 v1, 1.0, 0x1f800000, vcc_lo
	v_exp_f32_e32 v0, v0
	s_waitcnt_depctr 0xfff
	v_mul_f32_e32 v8, v0, v1
	v_cmpx_eq_u32_e32 0, v10
	s_cbranch_execz .LBB4_24
; %bb.19:
	s_load_b64 s[4:5], s[0:1], 0x10
	s_ashr_i32 s0, s8, 31
	v_mov_b32_e32 v0, 0
	v_or_b32_e32 v1, s0, v13
	s_mov_b32 s1, s8
	s_delay_alu instid0(VALU_DEP_1) | instskip(SKIP_1) | instid1(SALU_CYCLE_1)
	v_cmp_ne_u64_e32 vcc_lo, 0, v[0:1]
                                        ; implicit-def: $vgpr0_vgpr1
	s_and_saveexec_b32 s8, vcc_lo
	s_xor_b32 s8, exec_lo, s8
	s_cbranch_execz .LBB4_21
; %bb.20:
	s_add_u32 s12, s1, s0
	s_mov_b32 s10, s0
	s_mov_b32 s11, s0
	s_addc_u32 s13, s0, s0
	s_delay_alu instid0(SALU_CYCLE_1) | instskip(NEXT) | instid1(SALU_CYCLE_1)
	s_xor_b64 s[12:13], s[12:13], s[10:11]
	v_cvt_f32_u32_e32 v0, s12
	v_cvt_f32_u32_e32 v1, s13
	s_sub_u32 s0, 0, s12
	s_subb_u32 s11, 0, s13
	s_delay_alu instid0(VALU_DEP_1) | instskip(NEXT) | instid1(VALU_DEP_1)
	v_fmamk_f32 v0, v1, 0x4f800000, v0
	v_rcp_f32_e32 v0, v0
	s_waitcnt_depctr 0xfff
	v_mul_f32_e32 v0, 0x5f7ffffc, v0
	s_delay_alu instid0(VALU_DEP_1) | instskip(NEXT) | instid1(VALU_DEP_1)
	v_mul_f32_e32 v1, 0x2f800000, v0
	v_trunc_f32_e32 v1, v1
	s_delay_alu instid0(VALU_DEP_1) | instskip(SKIP_1) | instid1(VALU_DEP_2)
	v_fmamk_f32 v0, v1, 0xcf800000, v0
	v_cvt_u32_f32_e32 v1, v1
	v_cvt_u32_f32_e32 v0, v0
	s_delay_alu instid0(VALU_DEP_2) | instskip(NEXT) | instid1(VALU_DEP_2)
	v_mul_lo_u32 v2, s0, v1
	v_mul_hi_u32 v6, s0, v0
	v_mul_lo_u32 v7, s11, v0
	s_delay_alu instid0(VALU_DEP_2) | instskip(SKIP_1) | instid1(VALU_DEP_2)
	v_add_nc_u32_e32 v2, v6, v2
	v_mul_lo_u32 v6, s0, v0
	v_add_nc_u32_e32 v2, v2, v7
	s_delay_alu instid0(VALU_DEP_2) | instskip(NEXT) | instid1(VALU_DEP_2)
	v_mul_hi_u32 v7, v0, v6
	v_mul_lo_u32 v9, v0, v2
	v_mul_hi_u32 v14, v0, v2
	v_mul_hi_u32 v15, v1, v6
	v_mul_lo_u32 v6, v1, v6
	v_mul_hi_u32 v16, v1, v2
	v_mul_lo_u32 v2, v1, v2
	v_add_co_u32 v7, vcc_lo, v7, v9
	v_add_co_ci_u32_e32 v9, vcc_lo, 0, v14, vcc_lo
	s_delay_alu instid0(VALU_DEP_2) | instskip(NEXT) | instid1(VALU_DEP_2)
	v_add_co_u32 v6, vcc_lo, v7, v6
	v_add_co_ci_u32_e32 v6, vcc_lo, v9, v15, vcc_lo
	v_add_co_ci_u32_e32 v7, vcc_lo, 0, v16, vcc_lo
	s_delay_alu instid0(VALU_DEP_2) | instskip(NEXT) | instid1(VALU_DEP_2)
	v_add_co_u32 v2, vcc_lo, v6, v2
	v_add_co_ci_u32_e32 v6, vcc_lo, 0, v7, vcc_lo
	s_delay_alu instid0(VALU_DEP_2) | instskip(NEXT) | instid1(VALU_DEP_2)
	v_add_co_u32 v0, vcc_lo, v0, v2
	v_add_co_ci_u32_e32 v1, vcc_lo, v1, v6, vcc_lo
	s_delay_alu instid0(VALU_DEP_2) | instskip(SKIP_1) | instid1(VALU_DEP_3)
	v_mul_hi_u32 v2, s0, v0
	v_mul_lo_u32 v7, s11, v0
	v_mul_lo_u32 v6, s0, v1
	s_delay_alu instid0(VALU_DEP_1) | instskip(SKIP_1) | instid1(VALU_DEP_2)
	v_add_nc_u32_e32 v2, v2, v6
	v_mul_lo_u32 v6, s0, v0
	v_add_nc_u32_e32 v2, v2, v7
	s_delay_alu instid0(VALU_DEP_2) | instskip(NEXT) | instid1(VALU_DEP_2)
	v_mul_hi_u32 v7, v0, v6
	v_mul_lo_u32 v9, v0, v2
	v_mul_hi_u32 v14, v0, v2
	v_mul_hi_u32 v15, v1, v6
	v_mul_lo_u32 v6, v1, v6
	v_mul_hi_u32 v16, v1, v2
	v_mul_lo_u32 v2, v1, v2
	v_add_co_u32 v7, vcc_lo, v7, v9
	v_add_co_ci_u32_e32 v9, vcc_lo, 0, v14, vcc_lo
	s_delay_alu instid0(VALU_DEP_2) | instskip(NEXT) | instid1(VALU_DEP_2)
	v_add_co_u32 v6, vcc_lo, v7, v6
	v_add_co_ci_u32_e32 v6, vcc_lo, v9, v15, vcc_lo
	v_add_co_ci_u32_e32 v7, vcc_lo, 0, v16, vcc_lo
	s_delay_alu instid0(VALU_DEP_2) | instskip(NEXT) | instid1(VALU_DEP_2)
	v_add_co_u32 v2, vcc_lo, v6, v2
	v_add_co_ci_u32_e32 v6, vcc_lo, 0, v7, vcc_lo
	s_delay_alu instid0(VALU_DEP_2) | instskip(NEXT) | instid1(VALU_DEP_2)
	v_add_co_u32 v2, vcc_lo, v0, v2
	v_add_co_ci_u32_e32 v9, vcc_lo, v1, v6, vcc_lo
	s_delay_alu instid0(VALU_DEP_2) | instskip(SKIP_1) | instid1(VALU_DEP_3)
	v_mul_hi_u32 v16, v12, v2
	v_mad_u64_u32 v[6:7], null, v13, v2, 0
	v_mad_u64_u32 v[0:1], null, v12, v9, 0
	;; [unrolled: 1-line block ×3, first 2 shown]
	s_delay_alu instid0(VALU_DEP_2) | instskip(NEXT) | instid1(VALU_DEP_3)
	v_add_co_u32 v0, vcc_lo, v16, v0
	v_add_co_ci_u32_e32 v1, vcc_lo, 0, v1, vcc_lo
	s_delay_alu instid0(VALU_DEP_2) | instskip(NEXT) | instid1(VALU_DEP_2)
	v_add_co_u32 v0, vcc_lo, v0, v6
	v_add_co_ci_u32_e32 v0, vcc_lo, v1, v7, vcc_lo
	v_add_co_ci_u32_e32 v1, vcc_lo, 0, v15, vcc_lo
	s_delay_alu instid0(VALU_DEP_2) | instskip(NEXT) | instid1(VALU_DEP_2)
	v_add_co_u32 v2, vcc_lo, v0, v14
	v_add_co_ci_u32_e32 v6, vcc_lo, 0, v1, vcc_lo
	s_delay_alu instid0(VALU_DEP_2) | instskip(SKIP_1) | instid1(VALU_DEP_3)
	v_mul_lo_u32 v7, s13, v2
	v_mad_u64_u32 v[0:1], null, s12, v2, 0
	v_mul_lo_u32 v6, s12, v6
	s_delay_alu instid0(VALU_DEP_2) | instskip(NEXT) | instid1(VALU_DEP_2)
	v_sub_co_u32 v0, vcc_lo, v12, v0
	v_add3_u32 v1, v1, v6, v7
	v_add_co_u32 v7, s0, v2, 2
	s_delay_alu instid0(VALU_DEP_2) | instskip(NEXT) | instid1(VALU_DEP_1)
	v_sub_nc_u32_e32 v6, v13, v1
	v_subrev_co_ci_u32_e64 v6, s0, s13, v6, vcc_lo
	v_sub_co_u32 v9, s0, v0, s12
	v_sub_co_ci_u32_e32 v1, vcc_lo, v13, v1, vcc_lo
	s_delay_alu instid0(VALU_DEP_3) | instskip(NEXT) | instid1(VALU_DEP_3)
	v_subrev_co_ci_u32_e64 v6, s0, 0, v6, s0
	v_cmp_le_u32_e32 vcc_lo, s12, v9
	v_cndmask_b32_e64 v9, 0, -1, vcc_lo
	s_delay_alu instid0(VALU_DEP_3)
	v_cmp_le_u32_e32 vcc_lo, s13, v6
	v_cndmask_b32_e64 v13, 0, -1, vcc_lo
	v_cmp_le_u32_e32 vcc_lo, s12, v0
	v_cndmask_b32_e64 v0, 0, -1, vcc_lo
	v_cmp_le_u32_e32 vcc_lo, s13, v1
	v_cndmask_b32_e64 v14, 0, -1, vcc_lo
	v_cmp_eq_u32_e32 vcc_lo, s13, v6
	v_cndmask_b32_e32 v6, v13, v9, vcc_lo
	v_add_co_u32 v9, vcc_lo, v2, 1
	v_cmp_eq_u32_e32 vcc_lo, s13, v1
	v_cndmask_b32_e32 v0, v14, v0, vcc_lo
	s_delay_alu instid0(VALU_DEP_4) | instskip(NEXT) | instid1(VALU_DEP_4)
	v_cmp_ne_u32_e32 vcc_lo, 0, v6
	v_cndmask_b32_e32 v1, v9, v7, vcc_lo
	s_delay_alu instid0(VALU_DEP_3) | instskip(NEXT) | instid1(VALU_DEP_2)
	v_cmp_ne_u32_e32 vcc_lo, 0, v0
	v_cndmask_b32_e32 v0, v2, v1, vcc_lo
	s_delay_alu instid0(VALU_DEP_1) | instskip(NEXT) | instid1(VALU_DEP_1)
	v_xor_b32_e32 v0, s10, v0
	v_sub_co_u32 v0, vcc_lo, v0, s10
.LBB4_21:
	s_and_not1_saveexec_b32 s0, s8
	s_cbranch_execz .LBB4_23
; %bb.22:
	v_cvt_f32_u32_e32 v0, s1
	s_sub_i32 s8, 0, s1
	s_delay_alu instid0(VALU_DEP_1) | instskip(SKIP_2) | instid1(VALU_DEP_1)
	v_rcp_iflag_f32_e32 v0, v0
	s_waitcnt_depctr 0xfff
	v_mul_f32_e32 v0, 0x4f7ffffe, v0
	v_cvt_u32_f32_e32 v0, v0
	s_delay_alu instid0(VALU_DEP_1) | instskip(NEXT) | instid1(VALU_DEP_1)
	v_mul_lo_u32 v1, s8, v0
	v_mul_hi_u32 v1, v0, v1
	s_delay_alu instid0(VALU_DEP_1) | instskip(NEXT) | instid1(VALU_DEP_1)
	v_add_nc_u32_e32 v0, v0, v1
	v_mul_hi_u32 v0, v12, v0
	s_delay_alu instid0(VALU_DEP_1) | instskip(SKIP_1) | instid1(VALU_DEP_2)
	v_mul_lo_u32 v1, v0, s1
	v_add_nc_u32_e32 v2, 1, v0
	v_sub_nc_u32_e32 v1, v12, v1
	s_delay_alu instid0(VALU_DEP_1) | instskip(SKIP_1) | instid1(VALU_DEP_2)
	v_subrev_nc_u32_e32 v6, s1, v1
	v_cmp_le_u32_e32 vcc_lo, s1, v1
	v_cndmask_b32_e32 v1, v1, v6, vcc_lo
	v_cndmask_b32_e32 v0, v0, v2, vcc_lo
	s_delay_alu instid0(VALU_DEP_2) | instskip(NEXT) | instid1(VALU_DEP_2)
	v_cmp_le_u32_e32 vcc_lo, s1, v1
	v_add_nc_u32_e32 v2, 1, v0
	s_delay_alu instid0(VALU_DEP_1)
	v_cndmask_b32_e32 v0, v0, v2, vcc_lo
.LBB4_23:
	s_or_b32 exec_lo, exec_lo, s0
	s_delay_alu instid0(VALU_DEP_1) | instskip(NEXT) | instid1(VALU_DEP_1)
	v_mul_lo_u32 v1, v0, s1
	v_sub_nc_u32_e32 v6, v12, v1
	s_delay_alu instid0(VALU_DEP_1) | instskip(NEXT) | instid1(VALU_DEP_1)
	v_mad_u64_u32 v[1:2], null, v6, s9, v[0:1]
	v_ashrrev_i32_e32 v2, 31, v1
	s_delay_alu instid0(VALU_DEP_1) | instskip(SKIP_1) | instid1(VALU_DEP_1)
	v_lshlrev_b64 v[0:1], 2, v[1:2]
	s_waitcnt lgkmcnt(0)
	v_add_co_u32 v0, vcc_lo, s4, v0
	s_delay_alu instid0(VALU_DEP_2)
	v_add_co_ci_u32_e32 v1, vcc_lo, s5, v1, vcc_lo
	global_store_b32 v[0:1], v8, off
.LBB4_24:
	s_or_b32 exec_lo, exec_lo, s16
	v_dual_mov_b32 v1, 0 :: v_dual_and_b32 v0, 15, v3
	s_xor_b32 s0, s15, -1
	s_waitcnt_vscnt null, 0x0
	s_barrier
	buffer_gl0_inv
	v_cmp_ne_u64_e32 vcc_lo, 0, v[0:1]
	s_or_b32 s0, s0, vcc_lo
	s_delay_alu instid0(SALU_CYCLE_1) | instskip(NEXT) | instid1(SALU_CYCLE_1)
	s_and_saveexec_b32 s1, s0
	s_xor_b32 s1, exec_lo, s1
	s_cbranch_execz .LBB4_70
; %bb.25:
	v_sub_nc_u32_e32 v0, 0, v3
	s_mov_b32 s0, exec_lo
	s_delay_alu instid0(VALU_DEP_1) | instskip(NEXT) | instid1(VALU_DEP_1)
	v_bfe_u32 v0, v0, 2, 2
	v_min_i32_e32 v12, s14, v0
	s_delay_alu instid0(VALU_DEP_1)
	v_cmpx_gt_i32_e64 v12, v10
	s_cbranch_execz .LBB4_33
; %bb.26:
	v_lshl_add_u32 v0, v10, 2, v3
	s_mov_b32 s4, exec_lo
	ds_load_b32 v0, v0
	s_waitcnt lgkmcnt(0)
	v_div_scale_f32 v1, null, v8, v8, v0
	v_div_scale_f32 v6, vcc_lo, v0, v8, v0
	s_delay_alu instid0(VALU_DEP_2) | instskip(SKIP_2) | instid1(VALU_DEP_1)
	v_rcp_f32_e32 v2, v1
	s_waitcnt_depctr 0xfff
	v_fma_f32 v3, -v1, v2, 1.0
	v_fmac_f32_e32 v2, v3, v2
	s_delay_alu instid0(VALU_DEP_1) | instskip(NEXT) | instid1(VALU_DEP_1)
	v_mul_f32_e32 v3, v6, v2
	v_fma_f32 v7, -v1, v3, v6
	s_delay_alu instid0(VALU_DEP_1) | instskip(NEXT) | instid1(VALU_DEP_1)
	v_fmac_f32_e32 v3, v7, v2
	v_fma_f32 v1, -v1, v3, v6
	s_delay_alu instid0(VALU_DEP_1) | instskip(SKIP_2) | instid1(VALU_DEP_3)
	v_div_fmas_f32 v1, v1, v2, v3
	v_max_f32_e64 v2, s6, s6
	v_max_f32_e64 v3, s7, s7
	v_div_fixup_f32 v0, v1, v8, v0
	v_mov_b32_e32 v1, 0x7f
	s_delay_alu instid0(VALU_DEP_2) | instskip(NEXT) | instid1(VALU_DEP_1)
	v_maxmin_f32 v0, v0, v2, v3
	v_and_b32_e32 v2, 0x7fffffff, v0
	s_delay_alu instid0(VALU_DEP_1)
	v_cmpx_gt_u32_e32 0x43f00000, v2
	s_cbranch_execz .LBB4_32
; %bb.27:
	s_mov_b32 s5, exec_lo
                                        ; implicit-def: $vgpr1
	v_cmpx_lt_u32_e32 0x3c7fffff, v2
	s_xor_b32 s5, exec_lo, s5
; %bb.28:
	v_bfe_u32 v1, v0, 20, 1
	s_delay_alu instid0(VALU_DEP_1) | instskip(NEXT) | instid1(VALU_DEP_1)
	v_add3_u32 v1, v0, v1, 0x407ffff
	v_lshrrev_b32_e32 v1, 20, v1
; %bb.29:
	s_and_not1_saveexec_b32 s5, s5
; %bb.30:
	v_add_f32_e64 v1, 0x46800000, |v0|
; %bb.31:
	s_or_b32 exec_lo, exec_lo, s5
.LBB4_32:
	s_delay_alu instid0(SALU_CYCLE_1) | instskip(SKIP_3) | instid1(VALU_DEP_3)
	s_or_b32 exec_lo, exec_lo, s4
	v_add_co_u32 v2, vcc_lo, s2, v4
	v_add_co_ci_u32_e32 v3, vcc_lo, s3, v5, vcc_lo
	v_lshrrev_b32_e32 v0, 24, v0
	v_add_co_u32 v2, vcc_lo, v2, v10
	s_delay_alu instid0(VALU_DEP_3) | instskip(NEXT) | instid1(VALU_DEP_3)
	v_add_co_ci_u32_e32 v3, vcc_lo, 0, v3, vcc_lo
	v_and_or_b32 v0, 0x80, v0, v1
	global_store_b8 v[2:3], v0, off
.LBB4_33:
	s_or_b32 exec_lo, exec_lo, s0
	v_sub_nc_u32_e32 v9, s14, v12
	v_ashrrev_i32_e32 v13, 31, v12
	v_lshlrev_b32_e32 v15, 2, v12
	s_mov_b32 s4, exec_lo
	s_delay_alu instid0(VALU_DEP_3) | instskip(NEXT) | instid1(VALU_DEP_1)
	v_ashrrev_i32_e32 v0, 31, v9
	v_lshrrev_b32_e32 v0, 30, v0
	s_delay_alu instid0(VALU_DEP_1) | instskip(NEXT) | instid1(VALU_DEP_1)
	v_add_nc_u32_e32 v0, v9, v0
	v_ashrrev_i32_e32 v14, 2, v0
	s_delay_alu instid0(VALU_DEP_1)
	v_cmpx_gt_i32_e64 v14, v10
	s_cbranch_execz .LBB4_60
; %bb.34:
	v_lshlrev_b32_e32 v1, 2, v10
	v_add_co_u32 v2, vcc_lo, v12, v4
	v_dual_mov_b32 v19, v10 :: v_dual_lshlrev_b32 v0, 4, v10
	v_add_co_ci_u32_e32 v3, vcc_lo, v13, v5, vcc_lo
	s_delay_alu instid0(VALU_DEP_3) | instskip(NEXT) | instid1(VALU_DEP_3)
	v_add_co_u32 v1, vcc_lo, v2, v1
	v_lshl_add_u32 v0, v11, 2, v0
	s_delay_alu instid0(VALU_DEP_3) | instskip(NEXT) | instid1(VALU_DEP_3)
	v_add_co_ci_u32_e32 v2, vcc_lo, 0, v3, vcc_lo
	v_add_co_u32 v6, vcc_lo, s2, v1
	s_delay_alu instid0(VALU_DEP_3) | instskip(NEXT) | instid1(VALU_DEP_3)
	v_add3_u32 v16, v0, v15, 0
	v_add_co_ci_u32_e32 v7, vcc_lo, s3, v2, vcc_lo
	v_max_f32_e64 v17, s6, s6
	v_max_f32_e64 v18, s7, s7
	s_mov_b32 s5, 0
	s_branch .LBB4_37
.LBB4_35:                               ;   in Loop: Header=BB4_37 Depth=1
	s_or_b32 exec_lo, exec_lo, s8
.LBB4_36:                               ;   in Loop: Header=BB4_37 Depth=1
	s_delay_alu instid0(SALU_CYCLE_1)
	s_or_b32 exec_lo, exec_lo, s0
	v_lshrrev_b32_e32 v22, 24, v22
	v_lshrrev_b32_e32 v1, 24, v1
	;; [unrolled: 1-line block ×3, first 2 shown]
	v_lshlrev_b32_e32 v2, 24, v2
	v_and_b32_e32 v3, 0x80000000, v3
	v_and_b32_e32 v22, 0x80, v22
	;; [unrolled: 1-line block ×4, first 2 shown]
	v_add_nc_u32_e32 v19, 16, v19
	v_add_nc_u32_e32 v16, 0x100, v16
	v_and_or_b32 v22, 0xff, v23, v22
	v_and_or_b32 v0, 0xff, v0, v1
	;; [unrolled: 1-line block ×3, first 2 shown]
	v_cmp_ge_i32_e32 vcc_lo, v19, v14
	s_delay_alu instid0(VALU_DEP_4) | instskip(NEXT) | instid1(VALU_DEP_4)
	v_lshlrev_b32_e32 v1, 16, v22
	v_lshlrev_b32_e32 v0, 8, v0
	s_or_b32 s5, vcc_lo, s5
	s_delay_alu instid0(VALU_DEP_2) | instskip(NEXT) | instid1(VALU_DEP_1)
	v_or3_b32 v1, v3, v2, v1
	v_or3_b32 v0, v1, v0, v20
	global_store_b32 v[6:7], v0, off
	v_add_co_u32 v6, s0, v6, 64
	s_delay_alu instid0(VALU_DEP_1)
	v_add_co_ci_u32_e64 v7, s0, 0, v7, s0
	s_and_not1_b32 exec_lo, exec_lo, s5
	s_cbranch_execz .LBB4_60
.LBB4_37:                               ; =>This Inner Loop Header: Depth=1
	ds_load_b128 v[0:3], v16
	s_mov_b32 s0, exec_lo
	s_waitcnt lgkmcnt(0)
	v_div_scale_f32 v20, null, v8, v8, v0
	v_div_scale_f32 v23, vcc_lo, v0, v8, v0
	s_delay_alu instid0(VALU_DEP_2) | instskip(SKIP_2) | instid1(VALU_DEP_1)
	v_rcp_f32_e32 v21, v20
	s_waitcnt_depctr 0xfff
	v_fma_f32 v22, -v20, v21, 1.0
	v_fmac_f32_e32 v21, v22, v21
	s_delay_alu instid0(VALU_DEP_1) | instskip(NEXT) | instid1(VALU_DEP_1)
	v_mul_f32_e32 v22, v23, v21
	v_fma_f32 v24, -v20, v22, v23
	s_delay_alu instid0(VALU_DEP_1) | instskip(NEXT) | instid1(VALU_DEP_1)
	v_fmac_f32_e32 v22, v24, v21
	v_fma_f32 v20, -v20, v22, v23
	s_delay_alu instid0(VALU_DEP_1) | instskip(SKIP_1) | instid1(VALU_DEP_2)
	v_div_fmas_f32 v20, v20, v21, v22
	v_mov_b32_e32 v21, 0x7f
	v_div_fixup_f32 v0, v20, v8, v0
	s_delay_alu instid0(VALU_DEP_1) | instskip(SKIP_1) | instid1(VALU_DEP_2)
	v_maxmin_f32 v20, v0, v17, v18
	v_mov_b32_e32 v0, 0x7f
	v_and_b32_e32 v22, 0x7fffffff, v20
	s_delay_alu instid0(VALU_DEP_1)
	v_cmpx_gt_u32_e32 0x43f00000, v22
	s_cbranch_execz .LBB4_43
; %bb.38:                               ;   in Loop: Header=BB4_37 Depth=1
	s_mov_b32 s8, exec_lo
                                        ; implicit-def: $vgpr21
	v_cmpx_lt_u32_e32 0x3c7fffff, v22
	s_xor_b32 s8, exec_lo, s8
; %bb.39:                               ;   in Loop: Header=BB4_37 Depth=1
	v_bfe_u32 v21, v20, 20, 1
	s_delay_alu instid0(VALU_DEP_1) | instskip(NEXT) | instid1(VALU_DEP_1)
	v_add3_u32 v21, v20, v21, 0x407ffff
	v_lshrrev_b32_e32 v21, 20, v21
; %bb.40:                               ;   in Loop: Header=BB4_37 Depth=1
	s_and_not1_saveexec_b32 s8, s8
; %bb.41:                               ;   in Loop: Header=BB4_37 Depth=1
	v_add_f32_e64 v21, 0x46800000, |v20|
; %bb.42:                               ;   in Loop: Header=BB4_37 Depth=1
	s_or_b32 exec_lo, exec_lo, s8
.LBB4_43:                               ;   in Loop: Header=BB4_37 Depth=1
	s_delay_alu instid0(SALU_CYCLE_1) | instskip(SKIP_2) | instid1(VALU_DEP_1)
	s_or_b32 exec_lo, exec_lo, s0
	v_div_scale_f32 v22, null, v8, v8, v1
	s_mov_b32 s0, exec_lo
	v_rcp_f32_e32 v23, v22
	s_waitcnt_depctr 0xfff
	v_fma_f32 v24, -v22, v23, 1.0
	s_delay_alu instid0(VALU_DEP_1) | instskip(SKIP_1) | instid1(VALU_DEP_1)
	v_fmac_f32_e32 v23, v24, v23
	v_div_scale_f32 v24, vcc_lo, v1, v8, v1
	v_mul_f32_e32 v25, v24, v23
	s_delay_alu instid0(VALU_DEP_1) | instskip(NEXT) | instid1(VALU_DEP_1)
	v_fma_f32 v26, -v22, v25, v24
	v_fmac_f32_e32 v25, v26, v23
	s_delay_alu instid0(VALU_DEP_1) | instskip(NEXT) | instid1(VALU_DEP_1)
	v_fma_f32 v22, -v22, v25, v24
	v_div_fmas_f32 v22, v22, v23, v25
	s_delay_alu instid0(VALU_DEP_1) | instskip(NEXT) | instid1(VALU_DEP_1)
	v_div_fixup_f32 v1, v22, v8, v1
	v_maxmin_f32 v1, v1, v17, v18
	s_delay_alu instid0(VALU_DEP_1) | instskip(NEXT) | instid1(VALU_DEP_1)
	v_and_b32_e32 v22, 0x7fffffff, v1
	v_cmpx_gt_u32_e32 0x43f00000, v22
	s_cbranch_execz .LBB4_49
; %bb.44:                               ;   in Loop: Header=BB4_37 Depth=1
	s_mov_b32 s8, exec_lo
                                        ; implicit-def: $vgpr0
	v_cmpx_lt_u32_e32 0x3c7fffff, v22
	s_xor_b32 s8, exec_lo, s8
; %bb.45:                               ;   in Loop: Header=BB4_37 Depth=1
	v_bfe_u32 v0, v1, 20, 1
	s_delay_alu instid0(VALU_DEP_1) | instskip(NEXT) | instid1(VALU_DEP_1)
	v_add3_u32 v0, v1, v0, 0x407ffff
	v_lshrrev_b32_e32 v0, 20, v0
; %bb.46:                               ;   in Loop: Header=BB4_37 Depth=1
	s_and_not1_saveexec_b32 s8, s8
; %bb.47:                               ;   in Loop: Header=BB4_37 Depth=1
	v_add_f32_e64 v0, 0x46800000, |v1|
; %bb.48:                               ;   in Loop: Header=BB4_37 Depth=1
	s_or_b32 exec_lo, exec_lo, s8
.LBB4_49:                               ;   in Loop: Header=BB4_37 Depth=1
	s_delay_alu instid0(SALU_CYCLE_1) | instskip(SKIP_3) | instid1(VALU_DEP_2)
	s_or_b32 exec_lo, exec_lo, s0
	v_div_scale_f32 v22, null, v8, v8, v2
	v_div_scale_f32 v25, vcc_lo, v2, v8, v2
	s_mov_b32 s0, exec_lo
	v_rcp_f32_e32 v23, v22
	s_waitcnt_depctr 0xfff
	v_fma_f32 v24, -v22, v23, 1.0
	s_delay_alu instid0(VALU_DEP_1) | instskip(NEXT) | instid1(VALU_DEP_1)
	v_fmac_f32_e32 v23, v24, v23
	v_mul_f32_e32 v24, v25, v23
	s_delay_alu instid0(VALU_DEP_1) | instskip(NEXT) | instid1(VALU_DEP_1)
	v_fma_f32 v26, -v22, v24, v25
	v_fmac_f32_e32 v24, v26, v23
	s_delay_alu instid0(VALU_DEP_1) | instskip(NEXT) | instid1(VALU_DEP_1)
	v_fma_f32 v22, -v22, v24, v25
	v_div_fmas_f32 v22, v22, v23, v24
	v_mov_b32_e32 v23, 0x7f
	s_delay_alu instid0(VALU_DEP_2) | instskip(NEXT) | instid1(VALU_DEP_1)
	v_div_fixup_f32 v2, v22, v8, v2
	v_maxmin_f32 v22, v2, v17, v18
	v_mov_b32_e32 v2, 0x7f
	s_delay_alu instid0(VALU_DEP_2) | instskip(NEXT) | instid1(VALU_DEP_1)
	v_and_b32_e32 v24, 0x7fffffff, v22
	v_cmpx_gt_u32_e32 0x43f00000, v24
	s_cbranch_execz .LBB4_55
; %bb.50:                               ;   in Loop: Header=BB4_37 Depth=1
	s_mov_b32 s8, exec_lo
                                        ; implicit-def: $vgpr23
	v_cmpx_lt_u32_e32 0x3c7fffff, v24
	s_xor_b32 s8, exec_lo, s8
; %bb.51:                               ;   in Loop: Header=BB4_37 Depth=1
	v_bfe_u32 v23, v22, 20, 1
	s_delay_alu instid0(VALU_DEP_1) | instskip(NEXT) | instid1(VALU_DEP_1)
	v_add3_u32 v23, v22, v23, 0x407ffff
	v_lshrrev_b32_e32 v23, 20, v23
; %bb.52:                               ;   in Loop: Header=BB4_37 Depth=1
	s_and_not1_saveexec_b32 s8, s8
; %bb.53:                               ;   in Loop: Header=BB4_37 Depth=1
	v_add_f32_e64 v23, 0x46800000, |v22|
; %bb.54:                               ;   in Loop: Header=BB4_37 Depth=1
	s_or_b32 exec_lo, exec_lo, s8
.LBB4_55:                               ;   in Loop: Header=BB4_37 Depth=1
	s_delay_alu instid0(SALU_CYCLE_1) | instskip(SKIP_2) | instid1(VALU_DEP_1)
	s_or_b32 exec_lo, exec_lo, s0
	v_div_scale_f32 v24, null, v8, v8, v3
	s_mov_b32 s0, exec_lo
	v_rcp_f32_e32 v25, v24
	s_waitcnt_depctr 0xfff
	v_fma_f32 v26, -v24, v25, 1.0
	s_delay_alu instid0(VALU_DEP_1) | instskip(SKIP_1) | instid1(VALU_DEP_1)
	v_fmac_f32_e32 v25, v26, v25
	v_div_scale_f32 v26, vcc_lo, v3, v8, v3
	v_mul_f32_e32 v27, v26, v25
	s_delay_alu instid0(VALU_DEP_1) | instskip(NEXT) | instid1(VALU_DEP_1)
	v_fma_f32 v28, -v24, v27, v26
	v_fmac_f32_e32 v27, v28, v25
	s_delay_alu instid0(VALU_DEP_1) | instskip(NEXT) | instid1(VALU_DEP_1)
	v_fma_f32 v24, -v24, v27, v26
	v_div_fmas_f32 v24, v24, v25, v27
	s_delay_alu instid0(VALU_DEP_1) | instskip(NEXT) | instid1(VALU_DEP_1)
	v_div_fixup_f32 v3, v24, v8, v3
	v_maxmin_f32 v3, v3, v17, v18
	s_delay_alu instid0(VALU_DEP_1) | instskip(NEXT) | instid1(VALU_DEP_1)
	v_and_b32_e32 v24, 0x7fffffff, v3
	v_cmpx_gt_u32_e32 0x43f00000, v24
	s_cbranch_execz .LBB4_36
; %bb.56:                               ;   in Loop: Header=BB4_37 Depth=1
	s_mov_b32 s8, exec_lo
                                        ; implicit-def: $vgpr2
	v_cmpx_lt_u32_e32 0x3c7fffff, v24
	s_xor_b32 s8, exec_lo, s8
; %bb.57:                               ;   in Loop: Header=BB4_37 Depth=1
	v_bfe_u32 v2, v3, 20, 1
	s_delay_alu instid0(VALU_DEP_1) | instskip(NEXT) | instid1(VALU_DEP_1)
	v_add3_u32 v2, v3, v2, 0x407ffff
	v_lshrrev_b32_e32 v2, 20, v2
; %bb.58:                               ;   in Loop: Header=BB4_37 Depth=1
	s_and_not1_saveexec_b32 s8, s8
	s_cbranch_execz .LBB4_35
; %bb.59:                               ;   in Loop: Header=BB4_37 Depth=1
	v_add_f32_e64 v2, 0x46800000, |v3|
	s_branch .LBB4_35
.LBB4_60:
	s_or_b32 exec_lo, exec_lo, s4
	v_lshl_add_u32 v2, v14, 2, v10
	s_mov_b32 s4, exec_lo
	s_delay_alu instid0(VALU_DEP_1)
	v_cmpx_lt_i32_e64 v2, v9
	s_cbranch_execz .LBB4_69
; %bb.61:
	v_lshlrev_b32_e32 v0, 2, v11
	v_lshlrev_b32_e32 v1, 4, v14
	s_mov_b32 s5, 0
	s_delay_alu instid0(VALU_DEP_1) | instskip(SKIP_4) | instid1(VALU_DEP_4)
	v_add3_u32 v0, v0, v1, v15
	v_add_co_u32 v1, vcc_lo, v12, v4
	v_add_co_ci_u32_e32 v3, vcc_lo, v13, v5, vcc_lo
	v_ashrrev_i32_e32 v4, 31, v2
	v_lshlrev_b32_e32 v5, 2, v10
	v_add_co_u32 v1, vcc_lo, v1, v2
	s_delay_alu instid0(VALU_DEP_3) | instskip(NEXT) | instid1(VALU_DEP_3)
	v_add_co_ci_u32_e32 v4, vcc_lo, v3, v4, vcc_lo
	v_add3_u32 v3, v0, v5, 0
	s_delay_alu instid0(VALU_DEP_3) | instskip(NEXT) | instid1(VALU_DEP_3)
	v_add_co_u32 v0, vcc_lo, s2, v1
	v_add_co_ci_u32_e32 v1, vcc_lo, s3, v4, vcc_lo
	v_max_f32_e64 v4, s6, s6
	v_max_f32_e64 v5, s7, s7
	s_branch .LBB4_64
.LBB4_62:                               ;   in Loop: Header=BB4_64 Depth=1
	s_or_b32 exec_lo, exec_lo, s8
.LBB4_63:                               ;   in Loop: Header=BB4_64 Depth=1
	s_delay_alu instid0(SALU_CYCLE_1) | instskip(SKIP_3) | instid1(VALU_DEP_3)
	s_or_b32 exec_lo, exec_lo, s0
	v_lshrrev_b32_e32 v6, 24, v6
	v_add_nc_u32_e32 v2, 16, v2
	v_add_nc_u32_e32 v3, 64, v3
	v_and_or_b32 v6, 0x80, v6, v7
	s_delay_alu instid0(VALU_DEP_3) | instskip(SKIP_2) | instid1(VALU_DEP_1)
	v_cmp_ge_i32_e32 vcc_lo, v2, v9
	global_store_b8 v[0:1], v6, off
	v_add_co_u32 v0, s0, v0, 16
	v_add_co_ci_u32_e64 v1, s0, 0, v1, s0
	s_or_b32 s5, vcc_lo, s5
	s_delay_alu instid0(SALU_CYCLE_1)
	s_and_not1_b32 exec_lo, exec_lo, s5
	s_cbranch_execz .LBB4_69
.LBB4_64:                               ; =>This Inner Loop Header: Depth=1
	ds_load_b32 v6, v3
	s_mov_b32 s0, exec_lo
	s_waitcnt lgkmcnt(0)
	v_div_scale_f32 v7, null, v8, v8, v6
	v_div_scale_f32 v12, vcc_lo, v6, v8, v6
	s_delay_alu instid0(VALU_DEP_2) | instskip(SKIP_2) | instid1(VALU_DEP_1)
	v_rcp_f32_e32 v10, v7
	s_waitcnt_depctr 0xfff
	v_fma_f32 v11, -v7, v10, 1.0
	v_fmac_f32_e32 v10, v11, v10
	s_delay_alu instid0(VALU_DEP_1) | instskip(NEXT) | instid1(VALU_DEP_1)
	v_mul_f32_e32 v11, v12, v10
	v_fma_f32 v13, -v7, v11, v12
	s_delay_alu instid0(VALU_DEP_1) | instskip(NEXT) | instid1(VALU_DEP_1)
	v_fmac_f32_e32 v11, v13, v10
	v_fma_f32 v7, -v7, v11, v12
	s_delay_alu instid0(VALU_DEP_1) | instskip(NEXT) | instid1(VALU_DEP_1)
	v_div_fmas_f32 v7, v7, v10, v11
	v_div_fixup_f32 v6, v7, v8, v6
	v_mov_b32_e32 v7, 0x7f
	s_delay_alu instid0(VALU_DEP_2) | instskip(NEXT) | instid1(VALU_DEP_1)
	v_maxmin_f32 v6, v6, v4, v5
	v_and_b32_e32 v10, 0x7fffffff, v6
	s_delay_alu instid0(VALU_DEP_1)
	v_cmpx_gt_u32_e32 0x43f00000, v10
	s_cbranch_execz .LBB4_63
; %bb.65:                               ;   in Loop: Header=BB4_64 Depth=1
	s_mov_b32 s8, exec_lo
                                        ; implicit-def: $vgpr7
	v_cmpx_lt_u32_e32 0x3c7fffff, v10
	s_xor_b32 s8, exec_lo, s8
; %bb.66:                               ;   in Loop: Header=BB4_64 Depth=1
	v_bfe_u32 v7, v6, 20, 1
	s_delay_alu instid0(VALU_DEP_1) | instskip(NEXT) | instid1(VALU_DEP_1)
	v_add3_u32 v7, v6, v7, 0x407ffff
	v_lshrrev_b32_e32 v7, 20, v7
; %bb.67:                               ;   in Loop: Header=BB4_64 Depth=1
	s_and_not1_saveexec_b32 s8, s8
	s_cbranch_execz .LBB4_62
; %bb.68:                               ;   in Loop: Header=BB4_64 Depth=1
	v_add_f32_e64 v7, 0x46800000, |v6|
	s_branch .LBB4_62
.LBB4_69:
	s_or_b32 exec_lo, exec_lo, s4
                                        ; implicit-def: $vgpr10
                                        ; implicit-def: $vgpr8
                                        ; implicit-def: $vgpr11
                                        ; implicit-def: $vgpr4_vgpr5
.LBB4_70:
	s_and_not1_saveexec_b32 s0, s1
	s_cbranch_execz .LBB4_98
; %bb.71:
	s_ashr_i32 s1, s14, 2
	s_mov_b32 s0, exec_lo
	v_cmpx_gt_i32_e64 s1, v10
	s_cbranch_execz .LBB4_98
; %bb.72:
	v_lshlrev_b32_e32 v0, 2, v10
	v_lshlrev_b32_e32 v1, 2, v11
	;; [unrolled: 1-line block ×3, first 2 shown]
	v_max_f32_e64 v7, s6, s6
	v_max_f32_e64 v9, s7, s7
	v_add_co_u32 v0, vcc_lo, v4, v0
	v_add_co_ci_u32_e32 v3, vcc_lo, 0, v5, vcc_lo
	v_add3_u32 v6, v1, v2, 0
	s_delay_alu instid0(VALU_DEP_3) | instskip(NEXT) | instid1(VALU_DEP_3)
	v_add_co_u32 v4, vcc_lo, s2, v0
	v_add_co_ci_u32_e32 v5, vcc_lo, s3, v3, vcc_lo
	s_mov_b32 s2, 0
	s_branch .LBB4_75
.LBB4_73:                               ;   in Loop: Header=BB4_75 Depth=1
	s_or_b32 exec_lo, exec_lo, s3
.LBB4_74:                               ;   in Loop: Header=BB4_75 Depth=1
	s_delay_alu instid0(SALU_CYCLE_1)
	s_or_b32 exec_lo, exec_lo, s0
	v_lshrrev_b32_e32 v13, 24, v13
	v_lshrrev_b32_e32 v1, 24, v1
	;; [unrolled: 1-line block ×3, first 2 shown]
	v_lshlrev_b32_e32 v2, 24, v2
	v_and_b32_e32 v3, 0x80000000, v3
	v_and_b32_e32 v13, 0x80, v13
	;; [unrolled: 1-line block ×4, first 2 shown]
	v_add_nc_u32_e32 v10, 16, v10
	v_add_nc_u32_e32 v6, 0x100, v6
	v_and_or_b32 v13, 0xff, v14, v13
	v_and_or_b32 v0, 0xff, v0, v1
	;; [unrolled: 1-line block ×3, first 2 shown]
	v_cmp_le_i32_e32 vcc_lo, s1, v10
	s_delay_alu instid0(VALU_DEP_4) | instskip(NEXT) | instid1(VALU_DEP_4)
	v_lshlrev_b32_e32 v1, 16, v13
	v_lshlrev_b32_e32 v0, 8, v0
	s_or_b32 s2, vcc_lo, s2
	s_delay_alu instid0(VALU_DEP_2) | instskip(NEXT) | instid1(VALU_DEP_1)
	v_or3_b32 v1, v3, v2, v1
	v_or3_b32 v0, v1, v0, v11
	global_store_b32 v[4:5], v0, off
	v_add_co_u32 v4, s0, v4, 64
	s_delay_alu instid0(VALU_DEP_1)
	v_add_co_ci_u32_e64 v5, s0, 0, v5, s0
	s_and_not1_b32 exec_lo, exec_lo, s2
	s_cbranch_execz .LBB4_98
.LBB4_75:                               ; =>This Inner Loop Header: Depth=1
	ds_load_b128 v[0:3], v6
	s_mov_b32 s0, exec_lo
	s_waitcnt lgkmcnt(0)
	v_div_scale_f32 v11, null, v8, v8, v0
	v_div_scale_f32 v14, vcc_lo, v0, v8, v0
	s_delay_alu instid0(VALU_DEP_2) | instskip(SKIP_2) | instid1(VALU_DEP_1)
	v_rcp_f32_e32 v12, v11
	s_waitcnt_depctr 0xfff
	v_fma_f32 v13, -v11, v12, 1.0
	v_fmac_f32_e32 v12, v13, v12
	s_delay_alu instid0(VALU_DEP_1) | instskip(NEXT) | instid1(VALU_DEP_1)
	v_mul_f32_e32 v13, v14, v12
	v_fma_f32 v15, -v11, v13, v14
	s_delay_alu instid0(VALU_DEP_1) | instskip(NEXT) | instid1(VALU_DEP_1)
	v_fmac_f32_e32 v13, v15, v12
	v_fma_f32 v11, -v11, v13, v14
	s_delay_alu instid0(VALU_DEP_1) | instskip(SKIP_1) | instid1(VALU_DEP_2)
	v_div_fmas_f32 v11, v11, v12, v13
	v_mov_b32_e32 v12, 0x7f
	v_div_fixup_f32 v0, v11, v8, v0
	s_delay_alu instid0(VALU_DEP_1) | instskip(SKIP_1) | instid1(VALU_DEP_2)
	v_maxmin_f32 v11, v0, v7, v9
	v_mov_b32_e32 v0, 0x7f
	v_and_b32_e32 v13, 0x7fffffff, v11
	s_delay_alu instid0(VALU_DEP_1)
	v_cmpx_gt_u32_e32 0x43f00000, v13
	s_cbranch_execz .LBB4_81
; %bb.76:                               ;   in Loop: Header=BB4_75 Depth=1
	s_mov_b32 s3, exec_lo
                                        ; implicit-def: $vgpr12
	v_cmpx_lt_u32_e32 0x3c7fffff, v13
	s_xor_b32 s3, exec_lo, s3
; %bb.77:                               ;   in Loop: Header=BB4_75 Depth=1
	v_bfe_u32 v12, v11, 20, 1
	s_delay_alu instid0(VALU_DEP_1) | instskip(NEXT) | instid1(VALU_DEP_1)
	v_add3_u32 v12, v11, v12, 0x407ffff
	v_lshrrev_b32_e32 v12, 20, v12
; %bb.78:                               ;   in Loop: Header=BB4_75 Depth=1
	s_and_not1_saveexec_b32 s3, s3
; %bb.79:                               ;   in Loop: Header=BB4_75 Depth=1
	v_add_f32_e64 v12, 0x46800000, |v11|
; %bb.80:                               ;   in Loop: Header=BB4_75 Depth=1
	s_or_b32 exec_lo, exec_lo, s3
.LBB4_81:                               ;   in Loop: Header=BB4_75 Depth=1
	s_delay_alu instid0(SALU_CYCLE_1) | instskip(SKIP_2) | instid1(VALU_DEP_1)
	s_or_b32 exec_lo, exec_lo, s0
	v_div_scale_f32 v13, null, v8, v8, v1
	s_mov_b32 s0, exec_lo
	v_rcp_f32_e32 v14, v13
	s_waitcnt_depctr 0xfff
	v_fma_f32 v15, -v13, v14, 1.0
	s_delay_alu instid0(VALU_DEP_1) | instskip(SKIP_1) | instid1(VALU_DEP_1)
	v_fmac_f32_e32 v14, v15, v14
	v_div_scale_f32 v15, vcc_lo, v1, v8, v1
	v_mul_f32_e32 v16, v15, v14
	s_delay_alu instid0(VALU_DEP_1) | instskip(NEXT) | instid1(VALU_DEP_1)
	v_fma_f32 v17, -v13, v16, v15
	v_fmac_f32_e32 v16, v17, v14
	s_delay_alu instid0(VALU_DEP_1) | instskip(NEXT) | instid1(VALU_DEP_1)
	v_fma_f32 v13, -v13, v16, v15
	v_div_fmas_f32 v13, v13, v14, v16
	s_delay_alu instid0(VALU_DEP_1) | instskip(NEXT) | instid1(VALU_DEP_1)
	v_div_fixup_f32 v1, v13, v8, v1
	v_maxmin_f32 v1, v1, v7, v9
	s_delay_alu instid0(VALU_DEP_1) | instskip(NEXT) | instid1(VALU_DEP_1)
	v_and_b32_e32 v13, 0x7fffffff, v1
	v_cmpx_gt_u32_e32 0x43f00000, v13
	s_cbranch_execz .LBB4_87
; %bb.82:                               ;   in Loop: Header=BB4_75 Depth=1
	s_mov_b32 s3, exec_lo
                                        ; implicit-def: $vgpr0
	v_cmpx_lt_u32_e32 0x3c7fffff, v13
	s_xor_b32 s3, exec_lo, s3
; %bb.83:                               ;   in Loop: Header=BB4_75 Depth=1
	v_bfe_u32 v0, v1, 20, 1
	s_delay_alu instid0(VALU_DEP_1) | instskip(NEXT) | instid1(VALU_DEP_1)
	v_add3_u32 v0, v1, v0, 0x407ffff
	v_lshrrev_b32_e32 v0, 20, v0
; %bb.84:                               ;   in Loop: Header=BB4_75 Depth=1
	s_and_not1_saveexec_b32 s3, s3
; %bb.85:                               ;   in Loop: Header=BB4_75 Depth=1
	v_add_f32_e64 v0, 0x46800000, |v1|
; %bb.86:                               ;   in Loop: Header=BB4_75 Depth=1
	s_or_b32 exec_lo, exec_lo, s3
.LBB4_87:                               ;   in Loop: Header=BB4_75 Depth=1
	s_delay_alu instid0(SALU_CYCLE_1) | instskip(SKIP_3) | instid1(VALU_DEP_2)
	s_or_b32 exec_lo, exec_lo, s0
	v_div_scale_f32 v13, null, v8, v8, v2
	v_div_scale_f32 v16, vcc_lo, v2, v8, v2
	s_mov_b32 s0, exec_lo
	v_rcp_f32_e32 v14, v13
	s_waitcnt_depctr 0xfff
	v_fma_f32 v15, -v13, v14, 1.0
	s_delay_alu instid0(VALU_DEP_1) | instskip(NEXT) | instid1(VALU_DEP_1)
	v_fmac_f32_e32 v14, v15, v14
	v_mul_f32_e32 v15, v16, v14
	s_delay_alu instid0(VALU_DEP_1) | instskip(NEXT) | instid1(VALU_DEP_1)
	v_fma_f32 v17, -v13, v15, v16
	v_fmac_f32_e32 v15, v17, v14
	s_delay_alu instid0(VALU_DEP_1) | instskip(NEXT) | instid1(VALU_DEP_1)
	v_fma_f32 v13, -v13, v15, v16
	v_div_fmas_f32 v13, v13, v14, v15
	v_mov_b32_e32 v14, 0x7f
	s_delay_alu instid0(VALU_DEP_2) | instskip(NEXT) | instid1(VALU_DEP_1)
	v_div_fixup_f32 v2, v13, v8, v2
	v_maxmin_f32 v13, v2, v7, v9
	v_mov_b32_e32 v2, 0x7f
	s_delay_alu instid0(VALU_DEP_2) | instskip(NEXT) | instid1(VALU_DEP_1)
	v_and_b32_e32 v15, 0x7fffffff, v13
	v_cmpx_gt_u32_e32 0x43f00000, v15
	s_cbranch_execz .LBB4_93
; %bb.88:                               ;   in Loop: Header=BB4_75 Depth=1
	s_mov_b32 s3, exec_lo
                                        ; implicit-def: $vgpr14
	v_cmpx_lt_u32_e32 0x3c7fffff, v15
	s_xor_b32 s3, exec_lo, s3
; %bb.89:                               ;   in Loop: Header=BB4_75 Depth=1
	v_bfe_u32 v14, v13, 20, 1
	s_delay_alu instid0(VALU_DEP_1) | instskip(NEXT) | instid1(VALU_DEP_1)
	v_add3_u32 v14, v13, v14, 0x407ffff
	v_lshrrev_b32_e32 v14, 20, v14
; %bb.90:                               ;   in Loop: Header=BB4_75 Depth=1
	s_and_not1_saveexec_b32 s3, s3
; %bb.91:                               ;   in Loop: Header=BB4_75 Depth=1
	v_add_f32_e64 v14, 0x46800000, |v13|
; %bb.92:                               ;   in Loop: Header=BB4_75 Depth=1
	s_or_b32 exec_lo, exec_lo, s3
.LBB4_93:                               ;   in Loop: Header=BB4_75 Depth=1
	s_delay_alu instid0(SALU_CYCLE_1) | instskip(SKIP_2) | instid1(VALU_DEP_1)
	s_or_b32 exec_lo, exec_lo, s0
	v_div_scale_f32 v15, null, v8, v8, v3
	s_mov_b32 s0, exec_lo
	v_rcp_f32_e32 v16, v15
	s_waitcnt_depctr 0xfff
	v_fma_f32 v17, -v15, v16, 1.0
	s_delay_alu instid0(VALU_DEP_1) | instskip(SKIP_1) | instid1(VALU_DEP_1)
	v_fmac_f32_e32 v16, v17, v16
	v_div_scale_f32 v17, vcc_lo, v3, v8, v3
	v_mul_f32_e32 v18, v17, v16
	s_delay_alu instid0(VALU_DEP_1) | instskip(NEXT) | instid1(VALU_DEP_1)
	v_fma_f32 v19, -v15, v18, v17
	v_fmac_f32_e32 v18, v19, v16
	s_delay_alu instid0(VALU_DEP_1) | instskip(NEXT) | instid1(VALU_DEP_1)
	v_fma_f32 v15, -v15, v18, v17
	v_div_fmas_f32 v15, v15, v16, v18
	s_delay_alu instid0(VALU_DEP_1) | instskip(NEXT) | instid1(VALU_DEP_1)
	v_div_fixup_f32 v3, v15, v8, v3
	v_maxmin_f32 v3, v3, v7, v9
	s_delay_alu instid0(VALU_DEP_1) | instskip(NEXT) | instid1(VALU_DEP_1)
	v_and_b32_e32 v15, 0x7fffffff, v3
	v_cmpx_gt_u32_e32 0x43f00000, v15
	s_cbranch_execz .LBB4_74
; %bb.94:                               ;   in Loop: Header=BB4_75 Depth=1
	s_mov_b32 s3, exec_lo
                                        ; implicit-def: $vgpr2
	v_cmpx_lt_u32_e32 0x3c7fffff, v15
	s_xor_b32 s3, exec_lo, s3
; %bb.95:                               ;   in Loop: Header=BB4_75 Depth=1
	v_bfe_u32 v2, v3, 20, 1
	s_delay_alu instid0(VALU_DEP_1) | instskip(NEXT) | instid1(VALU_DEP_1)
	v_add3_u32 v2, v3, v2, 0x407ffff
	v_lshrrev_b32_e32 v2, 20, v2
; %bb.96:                               ;   in Loop: Header=BB4_75 Depth=1
	s_and_not1_saveexec_b32 s3, s3
	s_cbranch_execz .LBB4_73
; %bb.97:                               ;   in Loop: Header=BB4_75 Depth=1
	v_add_f32_e64 v2, 0x46800000, |v3|
	s_branch .LBB4_73
.LBB4_98:
	s_nop 0
	s_sendmsg sendmsg(MSG_DEALLOC_VGPRS)
	s_endpgm
	.section	.rodata,"a",@progbits
	.p2align	6, 0x0
	.amdhsa_kernel _Z33per_token_group_quant_8bit_kernelIfN3c1013Float8_e4m3fnELb1ELb1EfEvPKT_PvPT3_iiifffii
		.amdhsa_group_segment_fixed_size 0
		.amdhsa_private_segment_fixed_size 0
		.amdhsa_kernarg_size 56
		.amdhsa_user_sgpr_count 15
		.amdhsa_user_sgpr_dispatch_ptr 0
		.amdhsa_user_sgpr_queue_ptr 0
		.amdhsa_user_sgpr_kernarg_segment_ptr 1
		.amdhsa_user_sgpr_dispatch_id 0
		.amdhsa_user_sgpr_private_segment_size 0
		.amdhsa_wavefront_size32 1
		.amdhsa_uses_dynamic_stack 0
		.amdhsa_enable_private_segment 0
		.amdhsa_system_sgpr_workgroup_id_x 1
		.amdhsa_system_sgpr_workgroup_id_y 0
		.amdhsa_system_sgpr_workgroup_id_z 0
		.amdhsa_system_sgpr_workgroup_info 0
		.amdhsa_system_vgpr_workitem_id 0
		.amdhsa_next_free_vgpr 29
		.amdhsa_next_free_sgpr 17
		.amdhsa_reserve_vcc 1
		.amdhsa_float_round_mode_32 0
		.amdhsa_float_round_mode_16_64 0
		.amdhsa_float_denorm_mode_32 3
		.amdhsa_float_denorm_mode_16_64 3
		.amdhsa_dx10_clamp 1
		.amdhsa_ieee_mode 1
		.amdhsa_fp16_overflow 0
		.amdhsa_workgroup_processor_mode 1
		.amdhsa_memory_ordered 1
		.amdhsa_forward_progress 0
		.amdhsa_shared_vgpr_count 0
		.amdhsa_exception_fp_ieee_invalid_op 0
		.amdhsa_exception_fp_denorm_src 0
		.amdhsa_exception_fp_ieee_div_zero 0
		.amdhsa_exception_fp_ieee_overflow 0
		.amdhsa_exception_fp_ieee_underflow 0
		.amdhsa_exception_fp_ieee_inexact 0
		.amdhsa_exception_int_div_zero 0
	.end_amdhsa_kernel
	.section	.text._Z33per_token_group_quant_8bit_kernelIfN3c1013Float8_e4m3fnELb1ELb1EfEvPKT_PvPT3_iiifffii,"axG",@progbits,_Z33per_token_group_quant_8bit_kernelIfN3c1013Float8_e4m3fnELb1ELb1EfEvPKT_PvPT3_iiifffii,comdat
.Lfunc_end4:
	.size	_Z33per_token_group_quant_8bit_kernelIfN3c1013Float8_e4m3fnELb1ELb1EfEvPKT_PvPT3_iiifffii, .Lfunc_end4-_Z33per_token_group_quant_8bit_kernelIfN3c1013Float8_e4m3fnELb1ELb1EfEvPKT_PvPT3_iiifffii
                                        ; -- End function
	.section	.AMDGPU.csdata,"",@progbits
; Kernel info:
; codeLenInByte = 5600
; NumSgprs: 19
; NumVgprs: 29
; ScratchSize: 0
; MemoryBound: 0
; FloatMode: 240
; IeeeMode: 1
; LDSByteSize: 0 bytes/workgroup (compile time only)
; SGPRBlocks: 2
; VGPRBlocks: 3
; NumSGPRsForWavesPerEU: 19
; NumVGPRsForWavesPerEU: 29
; Occupancy: 16
; WaveLimiterHint : 0
; COMPUTE_PGM_RSRC2:SCRATCH_EN: 0
; COMPUTE_PGM_RSRC2:USER_SGPR: 15
; COMPUTE_PGM_RSRC2:TRAP_HANDLER: 0
; COMPUTE_PGM_RSRC2:TGID_X_EN: 1
; COMPUTE_PGM_RSRC2:TGID_Y_EN: 0
; COMPUTE_PGM_RSRC2:TGID_Z_EN: 0
; COMPUTE_PGM_RSRC2:TIDIG_COMP_CNT: 0
	.section	.text._Z33per_token_group_quant_8bit_kernelIfN3c1013Float8_e4m3fnELb1ELb0EfEvPKT_PvPT3_iiifffii,"axG",@progbits,_Z33per_token_group_quant_8bit_kernelIfN3c1013Float8_e4m3fnELb1ELb0EfEvPKT_PvPT3_iiifffii,comdat
	.protected	_Z33per_token_group_quant_8bit_kernelIfN3c1013Float8_e4m3fnELb1ELb0EfEvPKT_PvPT3_iiifffii ; -- Begin function _Z33per_token_group_quant_8bit_kernelIfN3c1013Float8_e4m3fnELb1ELb0EfEvPKT_PvPT3_iiifffii
	.globl	_Z33per_token_group_quant_8bit_kernelIfN3c1013Float8_e4m3fnELb1ELb0EfEvPKT_PvPT3_iiifffii
	.p2align	8
	.type	_Z33per_token_group_quant_8bit_kernelIfN3c1013Float8_e4m3fnELb1ELb0EfEvPKT_PvPT3_iiifffii,@function
_Z33per_token_group_quant_8bit_kernelIfN3c1013Float8_e4m3fnELb1ELb0EfEvPKT_PvPT3_iiifffii: ; @_Z33per_token_group_quant_8bit_kernelIfN3c1013Float8_e4m3fnELb1ELb0EfEvPKT_PvPT3_iiifffii
; %bb.0:
	s_clause 0x1
	s_load_b128 s[4:7], s[0:1], 0x20
	s_load_b32 s14, s[0:1], 0x18
	v_lshrrev_b32_e32 v3, 4, v0
	s_load_b64 s[8:9], s[0:1], 0x30
	v_and_b32_e32 v10, 15, v0
                                        ; implicit-def: $vgpr14
	s_waitcnt lgkmcnt(0)
	s_mul_i32 s15, s15, s4
	s_ashr_i32 s4, s14, 31
	v_add_co_u32 v12, s2, s15, v3
	s_delay_alu instid0(VALU_DEP_1) | instskip(SKIP_1) | instid1(VALU_DEP_2)
	v_add_co_ci_u32_e64 v13, null, 0, 0, s2
	s_load_b64 s[2:3], s[0:1], 0x0
	v_mul_lo_u32 v2, v12, s4
	v_mad_u64_u32 v[4:5], null, v12, s14, 0
	s_delay_alu instid0(VALU_DEP_3) | instskip(SKIP_2) | instid1(SALU_CYCLE_1)
	v_mul_lo_u32 v1, v13, s14
	v_mul_lo_u32 v11, v3, s14
	s_and_b32 s4, s14, 3
	s_cmp_eq_u32 s4, 0
	s_cselect_b32 s15, -1, 0
	s_cmp_lg_u32 s4, 0
	s_delay_alu instid0(VALU_DEP_2) | instskip(NEXT) | instid1(VALU_DEP_2)
	v_add3_u32 v5, v5, v2, v1
	v_lshl_add_u32 v3, v11, 2, 0
	s_cselect_b32 s4, -1, 0
	s_delay_alu instid0(VALU_DEP_2) | instskip(SKIP_1) | instid1(VALU_DEP_1)
	v_lshlrev_b64 v[1:2], 2, v[4:5]
	s_waitcnt lgkmcnt(0)
	v_add_co_u32 v6, vcc_lo, s2, v1
	v_mov_b32_e32 v9, 0
	s_delay_alu instid0(VALU_DEP_3) | instskip(NEXT) | instid1(VALU_DEP_3)
	v_add_co_ci_u32_e32 v7, vcc_lo, s3, v2, vcc_lo
	v_and_b32_e32 v8, 15, v6
	s_delay_alu instid0(VALU_DEP_1) | instskip(SKIP_1) | instid1(SALU_CYCLE_1)
	v_cmp_ne_u64_e32 vcc_lo, 0, v[8:9]
	s_or_b32 s4, s4, vcc_lo
	s_and_saveexec_b32 s10, s4
	s_delay_alu instid0(SALU_CYCLE_1)
	s_xor_b32 s4, exec_lo, s10
	s_cbranch_execz .LBB5_12
; %bb.1:
	v_sub_nc_u32_e32 v0, 0, v6
	v_mov_b32_e32 v14, s5
	s_mov_b32 s10, exec_lo
	s_delay_alu instid0(VALU_DEP_2) | instskip(NEXT) | instid1(VALU_DEP_1)
	v_bfe_u32 v0, v0, 2, 2
	v_min_i32_e32 v8, s14, v0
	s_delay_alu instid0(VALU_DEP_1)
	v_cmpx_gt_i32_e64 v8, v10
	s_cbranch_execz .LBB5_3
; %bb.2:
	v_lshlrev_b32_e32 v0, 2, v10
	v_max_f32_e64 v9, s5, s5
	s_delay_alu instid0(VALU_DEP_2)
	v_add_co_u32 v6, vcc_lo, v6, v0
	v_add_co_ci_u32_e32 v7, vcc_lo, 0, v7, vcc_lo
	v_add_nc_u32_e32 v0, v3, v0
	global_load_b32 v6, v[6:7], off
	s_waitcnt vmcnt(0)
	v_max_f32_e64 v7, |v6|, |v6|
	ds_store_b32 v0, v6
	v_max_f32_e32 v14, v9, v7
.LBB5_3:
	s_or_b32 exec_lo, exec_lo, s10
	v_sub_nc_u32_e32 v15, s14, v8
	v_ashrrev_i32_e32 v9, 31, v8
	s_mov_b32 s10, exec_lo
	s_delay_alu instid0(VALU_DEP_2) | instskip(NEXT) | instid1(VALU_DEP_2)
	v_ashrrev_i32_e32 v0, 31, v15
	v_lshlrev_b64 v[6:7], 2, v[8:9]
	s_delay_alu instid0(VALU_DEP_2) | instskip(NEXT) | instid1(VALU_DEP_1)
	v_lshrrev_b32_e32 v0, 30, v0
	v_add_nc_u32_e32 v0, v15, v0
	s_delay_alu instid0(VALU_DEP_1) | instskip(SKIP_1) | instid1(VALU_DEP_2)
	v_ashrrev_i32_e32 v16, 2, v0
	v_lshlrev_b32_e32 v0, 2, v8
	v_cmpx_gt_i32_e64 v16, v10
	s_cbranch_execz .LBB5_7
; %bb.4:
	v_lshlrev_b32_e32 v8, 4, v10
	s_mov_b32 s11, 0
	s_delay_alu instid0(VALU_DEP_1) | instskip(SKIP_2) | instid1(VALU_DEP_3)
	v_add_co_u32 v9, vcc_lo, v1, v8
	v_add_co_ci_u32_e32 v17, vcc_lo, 0, v2, vcc_lo
	v_lshl_add_u32 v8, v11, 2, v8
	v_add_co_u32 v9, vcc_lo, v9, v6
	s_delay_alu instid0(VALU_DEP_3) | instskip(NEXT) | instid1(VALU_DEP_2)
	v_add_co_ci_u32_e32 v17, vcc_lo, v17, v7, vcc_lo
	v_add_co_u32 v9, vcc_lo, v9, s2
	s_delay_alu instid0(VALU_DEP_2) | instskip(SKIP_1) | instid1(VALU_DEP_3)
	v_add_co_ci_u32_e32 v18, vcc_lo, s3, v17, vcc_lo
	v_add3_u32 v17, v8, v0, 0
	v_add_co_u32 v8, vcc_lo, v9, 8
	s_delay_alu instid0(VALU_DEP_3)
	v_add_co_ci_u32_e32 v9, vcc_lo, 0, v18, vcc_lo
	v_mov_b32_e32 v18, v10
	.p2align	6
.LBB5_5:                                ; =>This Inner Loop Header: Depth=1
	global_load_b128 v[19:22], v[8:9], off offset:-8
	v_add_nc_u32_e32 v18, 16, v18
	v_add_co_u32 v8, vcc_lo, 0x100, v8
	v_add_co_ci_u32_e32 v9, vcc_lo, 0, v9, vcc_lo
	s_delay_alu instid0(VALU_DEP_3)
	v_cmp_ge_i32_e32 vcc_lo, v18, v16
	s_or_b32 s11, vcc_lo, s11
	s_waitcnt vmcnt(0)
	v_max3_f32 v14, v14, |v19|, |v20|
	ds_store_b128 v17, v[19:22]
	v_add_nc_u32_e32 v17, 0x100, v17
	v_max3_f32 v14, v14, |v21|, |v22|
	s_and_not1_b32 exec_lo, exec_lo, s11
	s_cbranch_execnz .LBB5_5
; %bb.6:
	s_or_b32 exec_lo, exec_lo, s11
.LBB5_7:
	s_delay_alu instid0(SALU_CYCLE_1) | instskip(SKIP_2) | instid1(VALU_DEP_1)
	s_or_b32 exec_lo, exec_lo, s10
	v_lshl_add_u32 v8, v16, 2, v10
	s_mov_b32 s10, exec_lo
	v_cmpx_lt_i32_e64 v8, v15
	s_cbranch_execz .LBB5_11
; %bb.8:
	v_ashrrev_i32_e32 v9, 31, v8
	v_lshlrev_b32_e32 v19, 4, v16
	v_lshlrev_b32_e32 v18, 2, v11
	v_add_co_u32 v1, vcc_lo, v1, v6
	s_delay_alu instid0(VALU_DEP_4) | instskip(SKIP_4) | instid1(VALU_DEP_4)
	v_lshlrev_b64 v[16:17], 2, v[8:9]
	v_add_co_ci_u32_e32 v2, vcc_lo, v2, v7, vcc_lo
	v_lshlrev_b32_e32 v20, 2, v10
	v_add3_u32 v0, v18, v19, v0
	s_mov_b32 s11, 0
	v_add_co_u32 v1, vcc_lo, v1, v16
	v_add_co_ci_u32_e32 v6, vcc_lo, v2, v17, vcc_lo
	s_delay_alu instid0(VALU_DEP_3) | instskip(NEXT) | instid1(VALU_DEP_3)
	v_add3_u32 v2, v0, v20, 0
	v_add_co_u32 v0, vcc_lo, s2, v1
	s_delay_alu instid0(VALU_DEP_3)
	v_add_co_ci_u32_e32 v1, vcc_lo, s3, v6, vcc_lo
	.p2align	6
.LBB5_9:                                ; =>This Inner Loop Header: Depth=1
	global_load_b32 v6, v[0:1], off
	v_dual_max_f32 v7, v14, v14 :: v_dual_add_nc_u32 v8, 16, v8
	v_add_co_u32 v0, vcc_lo, v0, 64
	v_add_co_ci_u32_e32 v1, vcc_lo, 0, v1, vcc_lo
	s_delay_alu instid0(VALU_DEP_3)
	v_cmp_ge_i32_e32 vcc_lo, v8, v15
	s_or_b32 s11, vcc_lo, s11
	s_waitcnt vmcnt(0)
	v_max_f32_e64 v9, |v6|, |v6|
	ds_store_b32 v2, v6
	v_add_nc_u32_e32 v2, 64, v2
	v_max_f32_e32 v14, v7, v9
	s_and_not1_b32 exec_lo, exec_lo, s11
	s_cbranch_execnz .LBB5_9
; %bb.10:
	s_or_b32 exec_lo, exec_lo, s11
.LBB5_11:
	s_delay_alu instid0(SALU_CYCLE_1)
	s_or_b32 exec_lo, exec_lo, s10
                                        ; implicit-def: $vgpr1_vgpr2
.LBB5_12:
	s_and_not1_saveexec_b32 s4, s4
	s_cbranch_execz .LBB5_18
; %bb.13:
	v_mov_b32_e32 v14, s5
	s_ashr_i32 s11, s14, 2
	s_mov_b32 s10, exec_lo
	v_cmpx_gt_i32_e64 s11, v10
	s_cbranch_execz .LBB5_17
; %bb.14:
	v_lshlrev_b32_e32 v0, 4, v10
	v_lshlrev_b32_e32 v6, 2, v11
	v_mov_b32_e32 v14, s5
	s_delay_alu instid0(VALU_DEP_3) | instskip(SKIP_1) | instid1(VALU_DEP_2)
	v_add_co_u32 v1, vcc_lo, v1, v0
	v_add_co_ci_u32_e32 v2, vcc_lo, 0, v2, vcc_lo
	v_add_co_u32 v1, vcc_lo, v1, s2
	s_delay_alu instid0(VALU_DEP_2) | instskip(SKIP_1) | instid1(VALU_DEP_3)
	v_add_co_ci_u32_e32 v7, vcc_lo, s3, v2, vcc_lo
	v_add3_u32 v2, v6, v0, 0
	v_add_co_u32 v0, vcc_lo, v1, 8
	s_delay_alu instid0(VALU_DEP_3)
	v_add_co_ci_u32_e32 v1, vcc_lo, 0, v7, vcc_lo
	v_mov_b32_e32 v6, v10
	s_mov_b32 s2, 0
	.p2align	6
.LBB5_15:                               ; =>This Inner Loop Header: Depth=1
	global_load_b128 v[15:18], v[0:1], off offset:-8
	v_add_nc_u32_e32 v6, 16, v6
	v_add_co_u32 v0, vcc_lo, 0x100, v0
	v_add_co_ci_u32_e32 v1, vcc_lo, 0, v1, vcc_lo
	s_delay_alu instid0(VALU_DEP_3)
	v_cmp_le_i32_e32 vcc_lo, s11, v6
	s_or_b32 s2, vcc_lo, s2
	s_waitcnt vmcnt(0)
	v_max3_f32 v7, v14, |v15|, |v16|
	ds_store_b128 v2, v[15:18]
	v_add_nc_u32_e32 v2, 0x100, v2
	v_max3_f32 v14, v7, |v17|, |v18|
	s_and_not1_b32 exec_lo, exec_lo, s2
	s_cbranch_execnz .LBB5_15
; %bb.16:
	s_or_b32 exec_lo, exec_lo, s2
.LBB5_17:
	s_delay_alu instid0(SALU_CYCLE_1)
	s_or_b32 exec_lo, exec_lo, s10
.LBB5_18:
	s_delay_alu instid0(SALU_CYCLE_1) | instskip(SKIP_4) | instid1(VALU_DEP_2)
	s_or_b32 exec_lo, exec_lo, s4
	v_mbcnt_lo_u32_b32 v0, -1, 0
	v_max_f32_e32 v7, v14, v14
	s_load_b64 s[2:3], s[0:1], 0x8
	s_mov_b32 s16, exec_lo
	v_xor_b32_e32 v2, 8, v0
	v_and_b32_e32 v1, 16, v0
	v_xor_b32_e32 v6, 4, v0
	s_delay_alu instid0(VALU_DEP_2) | instskip(NEXT) | instid1(VALU_DEP_1)
	v_add_nc_u32_e32 v1, 16, v1
	v_cmp_lt_i32_e32 vcc_lo, v2, v1
	v_cndmask_b32_e32 v2, v0, v2, vcc_lo
	s_delay_alu instid0(VALU_DEP_4) | instskip(NEXT) | instid1(VALU_DEP_2)
	v_cmp_lt_i32_e32 vcc_lo, v6, v1
	v_lshlrev_b32_e32 v2, 2, v2
	v_cndmask_b32_e32 v6, v0, v6, vcc_lo
	ds_bpermute_b32 v2, v2, v14
	v_lshlrev_b32_e32 v6, 2, v6
	s_waitcnt lgkmcnt(0)
	v_max_f32_e32 v2, v2, v2
	s_delay_alu instid0(VALU_DEP_1)
	v_max_f32_e32 v2, v7, v2
	v_xor_b32_e32 v7, 2, v0
	ds_bpermute_b32 v6, v6, v2
	v_cmp_lt_i32_e32 vcc_lo, v7, v1
	v_cndmask_b32_e32 v7, v0, v7, vcc_lo
	s_waitcnt lgkmcnt(0)
	s_delay_alu instid0(VALU_DEP_1) | instskip(NEXT) | instid1(VALU_DEP_1)
	v_dual_max_f32 v6, v6, v6 :: v_dual_lshlrev_b32 v7, 2, v7
	v_max_f32_e32 v2, v2, v6
	ds_bpermute_b32 v6, v7, v2
	v_xor_b32_e32 v7, 1, v0
	s_delay_alu instid0(VALU_DEP_1) | instskip(SKIP_2) | instid1(VALU_DEP_1)
	v_cmp_lt_i32_e32 vcc_lo, v7, v1
	s_waitcnt lgkmcnt(0)
	v_dual_cndmask_b32 v0, v0, v7 :: v_dual_max_f32 v1, v6, v6
	v_dual_max_f32 v1, v2, v1 :: v_dual_lshlrev_b32 v0, 2, v0
	ds_bpermute_b32 v0, v0, v1
	s_waitcnt lgkmcnt(0)
	v_max_f32_e32 v0, v0, v0
	s_delay_alu instid0(VALU_DEP_1) | instskip(NEXT) | instid1(VALU_DEP_1)
	v_max_f32_e32 v0, v1, v0
	v_div_scale_f32 v1, null, s7, s7, v0
	v_div_scale_f32 v7, vcc_lo, v0, s7, v0
	s_delay_alu instid0(VALU_DEP_2) | instskip(SKIP_2) | instid1(VALU_DEP_1)
	v_rcp_f32_e32 v2, v1
	s_waitcnt_depctr 0xfff
	v_fma_f32 v6, -v1, v2, 1.0
	v_fmac_f32_e32 v2, v6, v2
	s_delay_alu instid0(VALU_DEP_1) | instskip(NEXT) | instid1(VALU_DEP_1)
	v_mul_f32_e32 v6, v7, v2
	v_fma_f32 v8, -v1, v6, v7
	s_delay_alu instid0(VALU_DEP_1) | instskip(NEXT) | instid1(VALU_DEP_1)
	v_fmac_f32_e32 v6, v8, v2
	v_fma_f32 v1, -v1, v6, v7
	s_delay_alu instid0(VALU_DEP_1) | instskip(NEXT) | instid1(VALU_DEP_1)
	v_div_fmas_f32 v1, v1, v2, v6
	v_div_fixup_f32 v8, v1, s7, v0
	v_cmpx_eq_u32_e32 0, v10
	s_cbranch_execz .LBB5_24
; %bb.19:
	s_load_b64 s[4:5], s[0:1], 0x10
	s_ashr_i32 s0, s8, 31
	v_mov_b32_e32 v0, 0
	v_or_b32_e32 v1, s0, v13
	s_mov_b32 s1, s8
	s_delay_alu instid0(VALU_DEP_1) | instskip(SKIP_1) | instid1(SALU_CYCLE_1)
	v_cmp_ne_u64_e32 vcc_lo, 0, v[0:1]
                                        ; implicit-def: $vgpr0_vgpr1
	s_and_saveexec_b32 s8, vcc_lo
	s_xor_b32 s8, exec_lo, s8
	s_cbranch_execz .LBB5_21
; %bb.20:
	s_add_u32 s12, s1, s0
	s_mov_b32 s10, s0
	s_mov_b32 s11, s0
	s_addc_u32 s13, s0, s0
	s_delay_alu instid0(SALU_CYCLE_1) | instskip(NEXT) | instid1(SALU_CYCLE_1)
	s_xor_b64 s[12:13], s[12:13], s[10:11]
	v_cvt_f32_u32_e32 v0, s12
	v_cvt_f32_u32_e32 v1, s13
	s_sub_u32 s0, 0, s12
	s_subb_u32 s11, 0, s13
	s_delay_alu instid0(VALU_DEP_1) | instskip(NEXT) | instid1(VALU_DEP_1)
	v_fmamk_f32 v0, v1, 0x4f800000, v0
	v_rcp_f32_e32 v0, v0
	s_waitcnt_depctr 0xfff
	v_mul_f32_e32 v0, 0x5f7ffffc, v0
	s_delay_alu instid0(VALU_DEP_1) | instskip(NEXT) | instid1(VALU_DEP_1)
	v_mul_f32_e32 v1, 0x2f800000, v0
	v_trunc_f32_e32 v1, v1
	s_delay_alu instid0(VALU_DEP_1) | instskip(SKIP_1) | instid1(VALU_DEP_2)
	v_fmamk_f32 v0, v1, 0xcf800000, v0
	v_cvt_u32_f32_e32 v1, v1
	v_cvt_u32_f32_e32 v0, v0
	s_delay_alu instid0(VALU_DEP_2) | instskip(NEXT) | instid1(VALU_DEP_2)
	v_mul_lo_u32 v2, s0, v1
	v_mul_hi_u32 v6, s0, v0
	v_mul_lo_u32 v7, s11, v0
	s_delay_alu instid0(VALU_DEP_2) | instskip(SKIP_1) | instid1(VALU_DEP_2)
	v_add_nc_u32_e32 v2, v6, v2
	v_mul_lo_u32 v6, s0, v0
	v_add_nc_u32_e32 v2, v2, v7
	s_delay_alu instid0(VALU_DEP_2) | instskip(NEXT) | instid1(VALU_DEP_2)
	v_mul_hi_u32 v7, v0, v6
	v_mul_lo_u32 v9, v0, v2
	v_mul_hi_u32 v14, v0, v2
	v_mul_hi_u32 v15, v1, v6
	v_mul_lo_u32 v6, v1, v6
	v_mul_hi_u32 v16, v1, v2
	v_mul_lo_u32 v2, v1, v2
	v_add_co_u32 v7, vcc_lo, v7, v9
	v_add_co_ci_u32_e32 v9, vcc_lo, 0, v14, vcc_lo
	s_delay_alu instid0(VALU_DEP_2) | instskip(NEXT) | instid1(VALU_DEP_2)
	v_add_co_u32 v6, vcc_lo, v7, v6
	v_add_co_ci_u32_e32 v6, vcc_lo, v9, v15, vcc_lo
	v_add_co_ci_u32_e32 v7, vcc_lo, 0, v16, vcc_lo
	s_delay_alu instid0(VALU_DEP_2) | instskip(NEXT) | instid1(VALU_DEP_2)
	v_add_co_u32 v2, vcc_lo, v6, v2
	v_add_co_ci_u32_e32 v6, vcc_lo, 0, v7, vcc_lo
	s_delay_alu instid0(VALU_DEP_2) | instskip(NEXT) | instid1(VALU_DEP_2)
	v_add_co_u32 v0, vcc_lo, v0, v2
	v_add_co_ci_u32_e32 v1, vcc_lo, v1, v6, vcc_lo
	s_delay_alu instid0(VALU_DEP_2) | instskip(SKIP_1) | instid1(VALU_DEP_3)
	v_mul_hi_u32 v2, s0, v0
	v_mul_lo_u32 v7, s11, v0
	v_mul_lo_u32 v6, s0, v1
	s_delay_alu instid0(VALU_DEP_1) | instskip(SKIP_1) | instid1(VALU_DEP_2)
	v_add_nc_u32_e32 v2, v2, v6
	v_mul_lo_u32 v6, s0, v0
	v_add_nc_u32_e32 v2, v2, v7
	s_delay_alu instid0(VALU_DEP_2) | instskip(NEXT) | instid1(VALU_DEP_2)
	v_mul_hi_u32 v7, v0, v6
	v_mul_lo_u32 v9, v0, v2
	v_mul_hi_u32 v14, v0, v2
	v_mul_hi_u32 v15, v1, v6
	v_mul_lo_u32 v6, v1, v6
	v_mul_hi_u32 v16, v1, v2
	v_mul_lo_u32 v2, v1, v2
	v_add_co_u32 v7, vcc_lo, v7, v9
	v_add_co_ci_u32_e32 v9, vcc_lo, 0, v14, vcc_lo
	s_delay_alu instid0(VALU_DEP_2) | instskip(NEXT) | instid1(VALU_DEP_2)
	v_add_co_u32 v6, vcc_lo, v7, v6
	v_add_co_ci_u32_e32 v6, vcc_lo, v9, v15, vcc_lo
	v_add_co_ci_u32_e32 v7, vcc_lo, 0, v16, vcc_lo
	s_delay_alu instid0(VALU_DEP_2) | instskip(NEXT) | instid1(VALU_DEP_2)
	v_add_co_u32 v2, vcc_lo, v6, v2
	v_add_co_ci_u32_e32 v6, vcc_lo, 0, v7, vcc_lo
	s_delay_alu instid0(VALU_DEP_2) | instskip(NEXT) | instid1(VALU_DEP_2)
	v_add_co_u32 v2, vcc_lo, v0, v2
	v_add_co_ci_u32_e32 v9, vcc_lo, v1, v6, vcc_lo
	s_delay_alu instid0(VALU_DEP_2) | instskip(SKIP_1) | instid1(VALU_DEP_3)
	v_mul_hi_u32 v16, v12, v2
	v_mad_u64_u32 v[6:7], null, v13, v2, 0
	v_mad_u64_u32 v[0:1], null, v12, v9, 0
	;; [unrolled: 1-line block ×3, first 2 shown]
	s_delay_alu instid0(VALU_DEP_2) | instskip(NEXT) | instid1(VALU_DEP_3)
	v_add_co_u32 v0, vcc_lo, v16, v0
	v_add_co_ci_u32_e32 v1, vcc_lo, 0, v1, vcc_lo
	s_delay_alu instid0(VALU_DEP_2) | instskip(NEXT) | instid1(VALU_DEP_2)
	v_add_co_u32 v0, vcc_lo, v0, v6
	v_add_co_ci_u32_e32 v0, vcc_lo, v1, v7, vcc_lo
	v_add_co_ci_u32_e32 v1, vcc_lo, 0, v15, vcc_lo
	s_delay_alu instid0(VALU_DEP_2) | instskip(NEXT) | instid1(VALU_DEP_2)
	v_add_co_u32 v2, vcc_lo, v0, v14
	v_add_co_ci_u32_e32 v6, vcc_lo, 0, v1, vcc_lo
	s_delay_alu instid0(VALU_DEP_2) | instskip(SKIP_1) | instid1(VALU_DEP_3)
	v_mul_lo_u32 v7, s13, v2
	v_mad_u64_u32 v[0:1], null, s12, v2, 0
	v_mul_lo_u32 v6, s12, v6
	s_delay_alu instid0(VALU_DEP_2) | instskip(NEXT) | instid1(VALU_DEP_2)
	v_sub_co_u32 v0, vcc_lo, v12, v0
	v_add3_u32 v1, v1, v6, v7
	v_add_co_u32 v7, s0, v2, 2
	s_delay_alu instid0(VALU_DEP_2) | instskip(NEXT) | instid1(VALU_DEP_1)
	v_sub_nc_u32_e32 v6, v13, v1
	v_subrev_co_ci_u32_e64 v6, s0, s13, v6, vcc_lo
	v_sub_co_u32 v9, s0, v0, s12
	v_sub_co_ci_u32_e32 v1, vcc_lo, v13, v1, vcc_lo
	s_delay_alu instid0(VALU_DEP_3) | instskip(NEXT) | instid1(VALU_DEP_3)
	v_subrev_co_ci_u32_e64 v6, s0, 0, v6, s0
	v_cmp_le_u32_e32 vcc_lo, s12, v9
	v_cndmask_b32_e64 v9, 0, -1, vcc_lo
	s_delay_alu instid0(VALU_DEP_3)
	v_cmp_le_u32_e32 vcc_lo, s13, v6
	v_cndmask_b32_e64 v13, 0, -1, vcc_lo
	v_cmp_le_u32_e32 vcc_lo, s12, v0
	v_cndmask_b32_e64 v0, 0, -1, vcc_lo
	;; [unrolled: 2-line block ×3, first 2 shown]
	v_cmp_eq_u32_e32 vcc_lo, s13, v6
	v_cndmask_b32_e32 v6, v13, v9, vcc_lo
	v_add_co_u32 v9, vcc_lo, v2, 1
	v_cmp_eq_u32_e32 vcc_lo, s13, v1
	v_cndmask_b32_e32 v0, v14, v0, vcc_lo
	s_delay_alu instid0(VALU_DEP_4) | instskip(NEXT) | instid1(VALU_DEP_4)
	v_cmp_ne_u32_e32 vcc_lo, 0, v6
	v_cndmask_b32_e32 v1, v9, v7, vcc_lo
	s_delay_alu instid0(VALU_DEP_3) | instskip(NEXT) | instid1(VALU_DEP_2)
	v_cmp_ne_u32_e32 vcc_lo, 0, v0
	v_cndmask_b32_e32 v0, v2, v1, vcc_lo
	s_delay_alu instid0(VALU_DEP_1) | instskip(NEXT) | instid1(VALU_DEP_1)
	v_xor_b32_e32 v0, s10, v0
	v_sub_co_u32 v0, vcc_lo, v0, s10
.LBB5_21:
	s_and_not1_saveexec_b32 s0, s8
	s_cbranch_execz .LBB5_23
; %bb.22:
	v_cvt_f32_u32_e32 v0, s1
	s_sub_i32 s8, 0, s1
	s_delay_alu instid0(VALU_DEP_1) | instskip(SKIP_2) | instid1(VALU_DEP_1)
	v_rcp_iflag_f32_e32 v0, v0
	s_waitcnt_depctr 0xfff
	v_mul_f32_e32 v0, 0x4f7ffffe, v0
	v_cvt_u32_f32_e32 v0, v0
	s_delay_alu instid0(VALU_DEP_1) | instskip(NEXT) | instid1(VALU_DEP_1)
	v_mul_lo_u32 v1, s8, v0
	v_mul_hi_u32 v1, v0, v1
	s_delay_alu instid0(VALU_DEP_1) | instskip(NEXT) | instid1(VALU_DEP_1)
	v_add_nc_u32_e32 v0, v0, v1
	v_mul_hi_u32 v0, v12, v0
	s_delay_alu instid0(VALU_DEP_1) | instskip(SKIP_1) | instid1(VALU_DEP_2)
	v_mul_lo_u32 v1, v0, s1
	v_add_nc_u32_e32 v2, 1, v0
	v_sub_nc_u32_e32 v1, v12, v1
	s_delay_alu instid0(VALU_DEP_1) | instskip(SKIP_1) | instid1(VALU_DEP_2)
	v_subrev_nc_u32_e32 v6, s1, v1
	v_cmp_le_u32_e32 vcc_lo, s1, v1
	v_cndmask_b32_e32 v1, v1, v6, vcc_lo
	v_cndmask_b32_e32 v0, v0, v2, vcc_lo
	s_delay_alu instid0(VALU_DEP_2) | instskip(NEXT) | instid1(VALU_DEP_2)
	v_cmp_le_u32_e32 vcc_lo, s1, v1
	v_add_nc_u32_e32 v2, 1, v0
	s_delay_alu instid0(VALU_DEP_1)
	v_cndmask_b32_e32 v0, v0, v2, vcc_lo
.LBB5_23:
	s_or_b32 exec_lo, exec_lo, s0
	s_delay_alu instid0(VALU_DEP_1) | instskip(NEXT) | instid1(VALU_DEP_1)
	v_mul_lo_u32 v1, v0, s1
	v_sub_nc_u32_e32 v6, v12, v1
	s_delay_alu instid0(VALU_DEP_1) | instskip(NEXT) | instid1(VALU_DEP_1)
	v_mad_u64_u32 v[1:2], null, v6, s9, v[0:1]
	v_ashrrev_i32_e32 v2, 31, v1
	s_delay_alu instid0(VALU_DEP_1) | instskip(SKIP_1) | instid1(VALU_DEP_1)
	v_lshlrev_b64 v[0:1], 2, v[1:2]
	s_waitcnt lgkmcnt(0)
	v_add_co_u32 v0, vcc_lo, s4, v0
	s_delay_alu instid0(VALU_DEP_2)
	v_add_co_ci_u32_e32 v1, vcc_lo, s5, v1, vcc_lo
	global_store_b32 v[0:1], v8, off
.LBB5_24:
	s_or_b32 exec_lo, exec_lo, s16
	v_dual_mov_b32 v1, 0 :: v_dual_and_b32 v0, 15, v3
	s_xor_b32 s0, s15, -1
	s_waitcnt_vscnt null, 0x0
	s_barrier
	buffer_gl0_inv
	v_cmp_ne_u64_e32 vcc_lo, 0, v[0:1]
	s_or_b32 s0, s0, vcc_lo
	s_delay_alu instid0(SALU_CYCLE_1) | instskip(NEXT) | instid1(SALU_CYCLE_1)
	s_and_saveexec_b32 s1, s0
	s_xor_b32 s1, exec_lo, s1
	s_cbranch_execz .LBB5_70
; %bb.25:
	v_sub_nc_u32_e32 v0, 0, v3
	s_mov_b32 s0, exec_lo
	s_delay_alu instid0(VALU_DEP_1) | instskip(NEXT) | instid1(VALU_DEP_1)
	v_bfe_u32 v0, v0, 2, 2
	v_min_i32_e32 v12, s14, v0
	s_delay_alu instid0(VALU_DEP_1)
	v_cmpx_gt_i32_e64 v12, v10
	s_cbranch_execz .LBB5_33
; %bb.26:
	v_lshl_add_u32 v0, v10, 2, v3
	s_mov_b32 s4, exec_lo
	ds_load_b32 v0, v0
	s_waitcnt lgkmcnt(0)
	v_div_scale_f32 v1, null, v8, v8, v0
	v_div_scale_f32 v6, vcc_lo, v0, v8, v0
	s_delay_alu instid0(VALU_DEP_2) | instskip(SKIP_2) | instid1(VALU_DEP_1)
	v_rcp_f32_e32 v2, v1
	s_waitcnt_depctr 0xfff
	v_fma_f32 v3, -v1, v2, 1.0
	v_fmac_f32_e32 v2, v3, v2
	s_delay_alu instid0(VALU_DEP_1) | instskip(NEXT) | instid1(VALU_DEP_1)
	v_mul_f32_e32 v3, v6, v2
	v_fma_f32 v7, -v1, v3, v6
	s_delay_alu instid0(VALU_DEP_1) | instskip(NEXT) | instid1(VALU_DEP_1)
	v_fmac_f32_e32 v3, v7, v2
	v_fma_f32 v1, -v1, v3, v6
	s_delay_alu instid0(VALU_DEP_1) | instskip(SKIP_2) | instid1(VALU_DEP_3)
	v_div_fmas_f32 v1, v1, v2, v3
	v_max_f32_e64 v2, s6, s6
	v_max_f32_e64 v3, s7, s7
	v_div_fixup_f32 v0, v1, v8, v0
	v_mov_b32_e32 v1, 0x7f
	s_delay_alu instid0(VALU_DEP_2) | instskip(NEXT) | instid1(VALU_DEP_1)
	v_maxmin_f32 v0, v0, v2, v3
	v_and_b32_e32 v2, 0x7fffffff, v0
	s_delay_alu instid0(VALU_DEP_1)
	v_cmpx_gt_u32_e32 0x43f00000, v2
	s_cbranch_execz .LBB5_32
; %bb.27:
	s_mov_b32 s5, exec_lo
                                        ; implicit-def: $vgpr1
	v_cmpx_lt_u32_e32 0x3c7fffff, v2
	s_xor_b32 s5, exec_lo, s5
; %bb.28:
	v_bfe_u32 v1, v0, 20, 1
	s_delay_alu instid0(VALU_DEP_1) | instskip(NEXT) | instid1(VALU_DEP_1)
	v_add3_u32 v1, v0, v1, 0x407ffff
	v_lshrrev_b32_e32 v1, 20, v1
; %bb.29:
	s_and_not1_saveexec_b32 s5, s5
; %bb.30:
	v_add_f32_e64 v1, 0x46800000, |v0|
; %bb.31:
	s_or_b32 exec_lo, exec_lo, s5
.LBB5_32:
	s_delay_alu instid0(SALU_CYCLE_1) | instskip(SKIP_3) | instid1(VALU_DEP_3)
	s_or_b32 exec_lo, exec_lo, s4
	v_add_co_u32 v2, vcc_lo, s2, v4
	v_add_co_ci_u32_e32 v3, vcc_lo, s3, v5, vcc_lo
	v_lshrrev_b32_e32 v0, 24, v0
	v_add_co_u32 v2, vcc_lo, v2, v10
	s_delay_alu instid0(VALU_DEP_3) | instskip(NEXT) | instid1(VALU_DEP_3)
	v_add_co_ci_u32_e32 v3, vcc_lo, 0, v3, vcc_lo
	v_and_or_b32 v0, 0x80, v0, v1
	global_store_b8 v[2:3], v0, off
.LBB5_33:
	s_or_b32 exec_lo, exec_lo, s0
	v_sub_nc_u32_e32 v9, s14, v12
	v_ashrrev_i32_e32 v13, 31, v12
	v_lshlrev_b32_e32 v15, 2, v12
	s_mov_b32 s4, exec_lo
	s_delay_alu instid0(VALU_DEP_3) | instskip(NEXT) | instid1(VALU_DEP_1)
	v_ashrrev_i32_e32 v0, 31, v9
	v_lshrrev_b32_e32 v0, 30, v0
	s_delay_alu instid0(VALU_DEP_1) | instskip(NEXT) | instid1(VALU_DEP_1)
	v_add_nc_u32_e32 v0, v9, v0
	v_ashrrev_i32_e32 v14, 2, v0
	s_delay_alu instid0(VALU_DEP_1)
	v_cmpx_gt_i32_e64 v14, v10
	s_cbranch_execz .LBB5_60
; %bb.34:
	v_lshlrev_b32_e32 v1, 2, v10
	v_add_co_u32 v2, vcc_lo, v12, v4
	v_dual_mov_b32 v19, v10 :: v_dual_lshlrev_b32 v0, 4, v10
	v_add_co_ci_u32_e32 v3, vcc_lo, v13, v5, vcc_lo
	s_delay_alu instid0(VALU_DEP_3) | instskip(NEXT) | instid1(VALU_DEP_3)
	v_add_co_u32 v1, vcc_lo, v2, v1
	v_lshl_add_u32 v0, v11, 2, v0
	s_delay_alu instid0(VALU_DEP_3) | instskip(NEXT) | instid1(VALU_DEP_3)
	v_add_co_ci_u32_e32 v2, vcc_lo, 0, v3, vcc_lo
	v_add_co_u32 v6, vcc_lo, s2, v1
	s_delay_alu instid0(VALU_DEP_3) | instskip(NEXT) | instid1(VALU_DEP_3)
	v_add3_u32 v16, v0, v15, 0
	v_add_co_ci_u32_e32 v7, vcc_lo, s3, v2, vcc_lo
	v_max_f32_e64 v17, s6, s6
	v_max_f32_e64 v18, s7, s7
	s_mov_b32 s5, 0
	s_branch .LBB5_37
.LBB5_35:                               ;   in Loop: Header=BB5_37 Depth=1
	s_or_b32 exec_lo, exec_lo, s8
.LBB5_36:                               ;   in Loop: Header=BB5_37 Depth=1
	s_delay_alu instid0(SALU_CYCLE_1)
	s_or_b32 exec_lo, exec_lo, s0
	v_lshrrev_b32_e32 v22, 24, v22
	v_lshrrev_b32_e32 v1, 24, v1
	;; [unrolled: 1-line block ×3, first 2 shown]
	v_lshlrev_b32_e32 v2, 24, v2
	v_and_b32_e32 v3, 0x80000000, v3
	v_and_b32_e32 v22, 0x80, v22
	;; [unrolled: 1-line block ×4, first 2 shown]
	v_add_nc_u32_e32 v19, 16, v19
	v_add_nc_u32_e32 v16, 0x100, v16
	v_and_or_b32 v22, 0xff, v23, v22
	v_and_or_b32 v0, 0xff, v0, v1
	;; [unrolled: 1-line block ×3, first 2 shown]
	v_cmp_ge_i32_e32 vcc_lo, v19, v14
	s_delay_alu instid0(VALU_DEP_4) | instskip(NEXT) | instid1(VALU_DEP_4)
	v_lshlrev_b32_e32 v1, 16, v22
	v_lshlrev_b32_e32 v0, 8, v0
	s_or_b32 s5, vcc_lo, s5
	s_delay_alu instid0(VALU_DEP_2) | instskip(NEXT) | instid1(VALU_DEP_1)
	v_or3_b32 v1, v3, v2, v1
	v_or3_b32 v0, v1, v0, v20
	global_store_b32 v[6:7], v0, off
	v_add_co_u32 v6, s0, v6, 64
	s_delay_alu instid0(VALU_DEP_1)
	v_add_co_ci_u32_e64 v7, s0, 0, v7, s0
	s_and_not1_b32 exec_lo, exec_lo, s5
	s_cbranch_execz .LBB5_60
.LBB5_37:                               ; =>This Inner Loop Header: Depth=1
	ds_load_b128 v[0:3], v16
	s_mov_b32 s0, exec_lo
	s_waitcnt lgkmcnt(0)
	v_div_scale_f32 v20, null, v8, v8, v0
	v_div_scale_f32 v23, vcc_lo, v0, v8, v0
	s_delay_alu instid0(VALU_DEP_2) | instskip(SKIP_2) | instid1(VALU_DEP_1)
	v_rcp_f32_e32 v21, v20
	s_waitcnt_depctr 0xfff
	v_fma_f32 v22, -v20, v21, 1.0
	v_fmac_f32_e32 v21, v22, v21
	s_delay_alu instid0(VALU_DEP_1) | instskip(NEXT) | instid1(VALU_DEP_1)
	v_mul_f32_e32 v22, v23, v21
	v_fma_f32 v24, -v20, v22, v23
	s_delay_alu instid0(VALU_DEP_1) | instskip(NEXT) | instid1(VALU_DEP_1)
	v_fmac_f32_e32 v22, v24, v21
	v_fma_f32 v20, -v20, v22, v23
	s_delay_alu instid0(VALU_DEP_1) | instskip(SKIP_1) | instid1(VALU_DEP_2)
	v_div_fmas_f32 v20, v20, v21, v22
	v_mov_b32_e32 v21, 0x7f
	v_div_fixup_f32 v0, v20, v8, v0
	s_delay_alu instid0(VALU_DEP_1) | instskip(SKIP_1) | instid1(VALU_DEP_2)
	v_maxmin_f32 v20, v0, v17, v18
	v_mov_b32_e32 v0, 0x7f
	v_and_b32_e32 v22, 0x7fffffff, v20
	s_delay_alu instid0(VALU_DEP_1)
	v_cmpx_gt_u32_e32 0x43f00000, v22
	s_cbranch_execz .LBB5_43
; %bb.38:                               ;   in Loop: Header=BB5_37 Depth=1
	s_mov_b32 s8, exec_lo
                                        ; implicit-def: $vgpr21
	v_cmpx_lt_u32_e32 0x3c7fffff, v22
	s_xor_b32 s8, exec_lo, s8
; %bb.39:                               ;   in Loop: Header=BB5_37 Depth=1
	v_bfe_u32 v21, v20, 20, 1
	s_delay_alu instid0(VALU_DEP_1) | instskip(NEXT) | instid1(VALU_DEP_1)
	v_add3_u32 v21, v20, v21, 0x407ffff
	v_lshrrev_b32_e32 v21, 20, v21
; %bb.40:                               ;   in Loop: Header=BB5_37 Depth=1
	s_and_not1_saveexec_b32 s8, s8
; %bb.41:                               ;   in Loop: Header=BB5_37 Depth=1
	v_add_f32_e64 v21, 0x46800000, |v20|
; %bb.42:                               ;   in Loop: Header=BB5_37 Depth=1
	s_or_b32 exec_lo, exec_lo, s8
.LBB5_43:                               ;   in Loop: Header=BB5_37 Depth=1
	s_delay_alu instid0(SALU_CYCLE_1) | instskip(SKIP_2) | instid1(VALU_DEP_1)
	s_or_b32 exec_lo, exec_lo, s0
	v_div_scale_f32 v22, null, v8, v8, v1
	s_mov_b32 s0, exec_lo
	v_rcp_f32_e32 v23, v22
	s_waitcnt_depctr 0xfff
	v_fma_f32 v24, -v22, v23, 1.0
	s_delay_alu instid0(VALU_DEP_1) | instskip(SKIP_1) | instid1(VALU_DEP_1)
	v_fmac_f32_e32 v23, v24, v23
	v_div_scale_f32 v24, vcc_lo, v1, v8, v1
	v_mul_f32_e32 v25, v24, v23
	s_delay_alu instid0(VALU_DEP_1) | instskip(NEXT) | instid1(VALU_DEP_1)
	v_fma_f32 v26, -v22, v25, v24
	v_fmac_f32_e32 v25, v26, v23
	s_delay_alu instid0(VALU_DEP_1) | instskip(NEXT) | instid1(VALU_DEP_1)
	v_fma_f32 v22, -v22, v25, v24
	v_div_fmas_f32 v22, v22, v23, v25
	s_delay_alu instid0(VALU_DEP_1) | instskip(NEXT) | instid1(VALU_DEP_1)
	v_div_fixup_f32 v1, v22, v8, v1
	v_maxmin_f32 v1, v1, v17, v18
	s_delay_alu instid0(VALU_DEP_1) | instskip(NEXT) | instid1(VALU_DEP_1)
	v_and_b32_e32 v22, 0x7fffffff, v1
	v_cmpx_gt_u32_e32 0x43f00000, v22
	s_cbranch_execz .LBB5_49
; %bb.44:                               ;   in Loop: Header=BB5_37 Depth=1
	s_mov_b32 s8, exec_lo
                                        ; implicit-def: $vgpr0
	v_cmpx_lt_u32_e32 0x3c7fffff, v22
	s_xor_b32 s8, exec_lo, s8
; %bb.45:                               ;   in Loop: Header=BB5_37 Depth=1
	v_bfe_u32 v0, v1, 20, 1
	s_delay_alu instid0(VALU_DEP_1) | instskip(NEXT) | instid1(VALU_DEP_1)
	v_add3_u32 v0, v1, v0, 0x407ffff
	v_lshrrev_b32_e32 v0, 20, v0
; %bb.46:                               ;   in Loop: Header=BB5_37 Depth=1
	s_and_not1_saveexec_b32 s8, s8
; %bb.47:                               ;   in Loop: Header=BB5_37 Depth=1
	v_add_f32_e64 v0, 0x46800000, |v1|
; %bb.48:                               ;   in Loop: Header=BB5_37 Depth=1
	s_or_b32 exec_lo, exec_lo, s8
.LBB5_49:                               ;   in Loop: Header=BB5_37 Depth=1
	s_delay_alu instid0(SALU_CYCLE_1) | instskip(SKIP_3) | instid1(VALU_DEP_2)
	s_or_b32 exec_lo, exec_lo, s0
	v_div_scale_f32 v22, null, v8, v8, v2
	v_div_scale_f32 v25, vcc_lo, v2, v8, v2
	s_mov_b32 s0, exec_lo
	v_rcp_f32_e32 v23, v22
	s_waitcnt_depctr 0xfff
	v_fma_f32 v24, -v22, v23, 1.0
	s_delay_alu instid0(VALU_DEP_1) | instskip(NEXT) | instid1(VALU_DEP_1)
	v_fmac_f32_e32 v23, v24, v23
	v_mul_f32_e32 v24, v25, v23
	s_delay_alu instid0(VALU_DEP_1) | instskip(NEXT) | instid1(VALU_DEP_1)
	v_fma_f32 v26, -v22, v24, v25
	v_fmac_f32_e32 v24, v26, v23
	s_delay_alu instid0(VALU_DEP_1) | instskip(NEXT) | instid1(VALU_DEP_1)
	v_fma_f32 v22, -v22, v24, v25
	v_div_fmas_f32 v22, v22, v23, v24
	v_mov_b32_e32 v23, 0x7f
	s_delay_alu instid0(VALU_DEP_2) | instskip(NEXT) | instid1(VALU_DEP_1)
	v_div_fixup_f32 v2, v22, v8, v2
	v_maxmin_f32 v22, v2, v17, v18
	v_mov_b32_e32 v2, 0x7f
	s_delay_alu instid0(VALU_DEP_2) | instskip(NEXT) | instid1(VALU_DEP_1)
	v_and_b32_e32 v24, 0x7fffffff, v22
	v_cmpx_gt_u32_e32 0x43f00000, v24
	s_cbranch_execz .LBB5_55
; %bb.50:                               ;   in Loop: Header=BB5_37 Depth=1
	s_mov_b32 s8, exec_lo
                                        ; implicit-def: $vgpr23
	v_cmpx_lt_u32_e32 0x3c7fffff, v24
	s_xor_b32 s8, exec_lo, s8
; %bb.51:                               ;   in Loop: Header=BB5_37 Depth=1
	v_bfe_u32 v23, v22, 20, 1
	s_delay_alu instid0(VALU_DEP_1) | instskip(NEXT) | instid1(VALU_DEP_1)
	v_add3_u32 v23, v22, v23, 0x407ffff
	v_lshrrev_b32_e32 v23, 20, v23
; %bb.52:                               ;   in Loop: Header=BB5_37 Depth=1
	s_and_not1_saveexec_b32 s8, s8
; %bb.53:                               ;   in Loop: Header=BB5_37 Depth=1
	v_add_f32_e64 v23, 0x46800000, |v22|
; %bb.54:                               ;   in Loop: Header=BB5_37 Depth=1
	s_or_b32 exec_lo, exec_lo, s8
.LBB5_55:                               ;   in Loop: Header=BB5_37 Depth=1
	s_delay_alu instid0(SALU_CYCLE_1) | instskip(SKIP_2) | instid1(VALU_DEP_1)
	s_or_b32 exec_lo, exec_lo, s0
	v_div_scale_f32 v24, null, v8, v8, v3
	s_mov_b32 s0, exec_lo
	v_rcp_f32_e32 v25, v24
	s_waitcnt_depctr 0xfff
	v_fma_f32 v26, -v24, v25, 1.0
	s_delay_alu instid0(VALU_DEP_1) | instskip(SKIP_1) | instid1(VALU_DEP_1)
	v_fmac_f32_e32 v25, v26, v25
	v_div_scale_f32 v26, vcc_lo, v3, v8, v3
	v_mul_f32_e32 v27, v26, v25
	s_delay_alu instid0(VALU_DEP_1) | instskip(NEXT) | instid1(VALU_DEP_1)
	v_fma_f32 v28, -v24, v27, v26
	v_fmac_f32_e32 v27, v28, v25
	s_delay_alu instid0(VALU_DEP_1) | instskip(NEXT) | instid1(VALU_DEP_1)
	v_fma_f32 v24, -v24, v27, v26
	v_div_fmas_f32 v24, v24, v25, v27
	s_delay_alu instid0(VALU_DEP_1) | instskip(NEXT) | instid1(VALU_DEP_1)
	v_div_fixup_f32 v3, v24, v8, v3
	v_maxmin_f32 v3, v3, v17, v18
	s_delay_alu instid0(VALU_DEP_1) | instskip(NEXT) | instid1(VALU_DEP_1)
	v_and_b32_e32 v24, 0x7fffffff, v3
	v_cmpx_gt_u32_e32 0x43f00000, v24
	s_cbranch_execz .LBB5_36
; %bb.56:                               ;   in Loop: Header=BB5_37 Depth=1
	s_mov_b32 s8, exec_lo
                                        ; implicit-def: $vgpr2
	v_cmpx_lt_u32_e32 0x3c7fffff, v24
	s_xor_b32 s8, exec_lo, s8
; %bb.57:                               ;   in Loop: Header=BB5_37 Depth=1
	v_bfe_u32 v2, v3, 20, 1
	s_delay_alu instid0(VALU_DEP_1) | instskip(NEXT) | instid1(VALU_DEP_1)
	v_add3_u32 v2, v3, v2, 0x407ffff
	v_lshrrev_b32_e32 v2, 20, v2
; %bb.58:                               ;   in Loop: Header=BB5_37 Depth=1
	s_and_not1_saveexec_b32 s8, s8
	s_cbranch_execz .LBB5_35
; %bb.59:                               ;   in Loop: Header=BB5_37 Depth=1
	v_add_f32_e64 v2, 0x46800000, |v3|
	s_branch .LBB5_35
.LBB5_60:
	s_or_b32 exec_lo, exec_lo, s4
	v_lshl_add_u32 v2, v14, 2, v10
	s_mov_b32 s4, exec_lo
	s_delay_alu instid0(VALU_DEP_1)
	v_cmpx_lt_i32_e64 v2, v9
	s_cbranch_execz .LBB5_69
; %bb.61:
	v_lshlrev_b32_e32 v0, 2, v11
	v_lshlrev_b32_e32 v1, 4, v14
	s_mov_b32 s5, 0
	s_delay_alu instid0(VALU_DEP_1) | instskip(SKIP_4) | instid1(VALU_DEP_4)
	v_add3_u32 v0, v0, v1, v15
	v_add_co_u32 v1, vcc_lo, v12, v4
	v_add_co_ci_u32_e32 v3, vcc_lo, v13, v5, vcc_lo
	v_ashrrev_i32_e32 v4, 31, v2
	v_lshlrev_b32_e32 v5, 2, v10
	v_add_co_u32 v1, vcc_lo, v1, v2
	s_delay_alu instid0(VALU_DEP_3) | instskip(NEXT) | instid1(VALU_DEP_3)
	v_add_co_ci_u32_e32 v4, vcc_lo, v3, v4, vcc_lo
	v_add3_u32 v3, v0, v5, 0
	s_delay_alu instid0(VALU_DEP_3) | instskip(NEXT) | instid1(VALU_DEP_3)
	v_add_co_u32 v0, vcc_lo, s2, v1
	v_add_co_ci_u32_e32 v1, vcc_lo, s3, v4, vcc_lo
	v_max_f32_e64 v4, s6, s6
	v_max_f32_e64 v5, s7, s7
	s_branch .LBB5_64
.LBB5_62:                               ;   in Loop: Header=BB5_64 Depth=1
	s_or_b32 exec_lo, exec_lo, s8
.LBB5_63:                               ;   in Loop: Header=BB5_64 Depth=1
	s_delay_alu instid0(SALU_CYCLE_1) | instskip(SKIP_3) | instid1(VALU_DEP_3)
	s_or_b32 exec_lo, exec_lo, s0
	v_lshrrev_b32_e32 v6, 24, v6
	v_add_nc_u32_e32 v2, 16, v2
	v_add_nc_u32_e32 v3, 64, v3
	v_and_or_b32 v6, 0x80, v6, v7
	s_delay_alu instid0(VALU_DEP_3) | instskip(SKIP_2) | instid1(VALU_DEP_1)
	v_cmp_ge_i32_e32 vcc_lo, v2, v9
	global_store_b8 v[0:1], v6, off
	v_add_co_u32 v0, s0, v0, 16
	v_add_co_ci_u32_e64 v1, s0, 0, v1, s0
	s_or_b32 s5, vcc_lo, s5
	s_delay_alu instid0(SALU_CYCLE_1)
	s_and_not1_b32 exec_lo, exec_lo, s5
	s_cbranch_execz .LBB5_69
.LBB5_64:                               ; =>This Inner Loop Header: Depth=1
	ds_load_b32 v6, v3
	s_mov_b32 s0, exec_lo
	s_waitcnt lgkmcnt(0)
	v_div_scale_f32 v7, null, v8, v8, v6
	v_div_scale_f32 v12, vcc_lo, v6, v8, v6
	s_delay_alu instid0(VALU_DEP_2) | instskip(SKIP_2) | instid1(VALU_DEP_1)
	v_rcp_f32_e32 v10, v7
	s_waitcnt_depctr 0xfff
	v_fma_f32 v11, -v7, v10, 1.0
	v_fmac_f32_e32 v10, v11, v10
	s_delay_alu instid0(VALU_DEP_1) | instskip(NEXT) | instid1(VALU_DEP_1)
	v_mul_f32_e32 v11, v12, v10
	v_fma_f32 v13, -v7, v11, v12
	s_delay_alu instid0(VALU_DEP_1) | instskip(NEXT) | instid1(VALU_DEP_1)
	v_fmac_f32_e32 v11, v13, v10
	v_fma_f32 v7, -v7, v11, v12
	s_delay_alu instid0(VALU_DEP_1) | instskip(NEXT) | instid1(VALU_DEP_1)
	v_div_fmas_f32 v7, v7, v10, v11
	v_div_fixup_f32 v6, v7, v8, v6
	v_mov_b32_e32 v7, 0x7f
	s_delay_alu instid0(VALU_DEP_2) | instskip(NEXT) | instid1(VALU_DEP_1)
	v_maxmin_f32 v6, v6, v4, v5
	v_and_b32_e32 v10, 0x7fffffff, v6
	s_delay_alu instid0(VALU_DEP_1)
	v_cmpx_gt_u32_e32 0x43f00000, v10
	s_cbranch_execz .LBB5_63
; %bb.65:                               ;   in Loop: Header=BB5_64 Depth=1
	s_mov_b32 s8, exec_lo
                                        ; implicit-def: $vgpr7
	v_cmpx_lt_u32_e32 0x3c7fffff, v10
	s_xor_b32 s8, exec_lo, s8
; %bb.66:                               ;   in Loop: Header=BB5_64 Depth=1
	v_bfe_u32 v7, v6, 20, 1
	s_delay_alu instid0(VALU_DEP_1) | instskip(NEXT) | instid1(VALU_DEP_1)
	v_add3_u32 v7, v6, v7, 0x407ffff
	v_lshrrev_b32_e32 v7, 20, v7
; %bb.67:                               ;   in Loop: Header=BB5_64 Depth=1
	s_and_not1_saveexec_b32 s8, s8
	s_cbranch_execz .LBB5_62
; %bb.68:                               ;   in Loop: Header=BB5_64 Depth=1
	v_add_f32_e64 v7, 0x46800000, |v6|
	s_branch .LBB5_62
.LBB5_69:
	s_or_b32 exec_lo, exec_lo, s4
                                        ; implicit-def: $vgpr10
                                        ; implicit-def: $vgpr8
                                        ; implicit-def: $vgpr11
                                        ; implicit-def: $vgpr4_vgpr5
.LBB5_70:
	s_and_not1_saveexec_b32 s0, s1
	s_cbranch_execz .LBB5_98
; %bb.71:
	s_ashr_i32 s1, s14, 2
	s_mov_b32 s0, exec_lo
	v_cmpx_gt_i32_e64 s1, v10
	s_cbranch_execz .LBB5_98
; %bb.72:
	v_lshlrev_b32_e32 v0, 2, v10
	v_lshlrev_b32_e32 v1, 2, v11
	;; [unrolled: 1-line block ×3, first 2 shown]
	v_max_f32_e64 v7, s6, s6
	v_max_f32_e64 v9, s7, s7
	v_add_co_u32 v0, vcc_lo, v4, v0
	v_add_co_ci_u32_e32 v3, vcc_lo, 0, v5, vcc_lo
	v_add3_u32 v6, v1, v2, 0
	s_delay_alu instid0(VALU_DEP_3) | instskip(NEXT) | instid1(VALU_DEP_3)
	v_add_co_u32 v4, vcc_lo, s2, v0
	v_add_co_ci_u32_e32 v5, vcc_lo, s3, v3, vcc_lo
	s_mov_b32 s2, 0
	s_branch .LBB5_75
.LBB5_73:                               ;   in Loop: Header=BB5_75 Depth=1
	s_or_b32 exec_lo, exec_lo, s3
.LBB5_74:                               ;   in Loop: Header=BB5_75 Depth=1
	s_delay_alu instid0(SALU_CYCLE_1)
	s_or_b32 exec_lo, exec_lo, s0
	v_lshrrev_b32_e32 v13, 24, v13
	v_lshrrev_b32_e32 v1, 24, v1
	;; [unrolled: 1-line block ×3, first 2 shown]
	v_lshlrev_b32_e32 v2, 24, v2
	v_and_b32_e32 v3, 0x80000000, v3
	v_and_b32_e32 v13, 0x80, v13
	;; [unrolled: 1-line block ×4, first 2 shown]
	v_add_nc_u32_e32 v10, 16, v10
	v_add_nc_u32_e32 v6, 0x100, v6
	v_and_or_b32 v13, 0xff, v14, v13
	v_and_or_b32 v0, 0xff, v0, v1
	;; [unrolled: 1-line block ×3, first 2 shown]
	v_cmp_le_i32_e32 vcc_lo, s1, v10
	s_delay_alu instid0(VALU_DEP_4) | instskip(NEXT) | instid1(VALU_DEP_4)
	v_lshlrev_b32_e32 v1, 16, v13
	v_lshlrev_b32_e32 v0, 8, v0
	s_or_b32 s2, vcc_lo, s2
	s_delay_alu instid0(VALU_DEP_2) | instskip(NEXT) | instid1(VALU_DEP_1)
	v_or3_b32 v1, v3, v2, v1
	v_or3_b32 v0, v1, v0, v11
	global_store_b32 v[4:5], v0, off
	v_add_co_u32 v4, s0, v4, 64
	s_delay_alu instid0(VALU_DEP_1)
	v_add_co_ci_u32_e64 v5, s0, 0, v5, s0
	s_and_not1_b32 exec_lo, exec_lo, s2
	s_cbranch_execz .LBB5_98
.LBB5_75:                               ; =>This Inner Loop Header: Depth=1
	ds_load_b128 v[0:3], v6
	s_mov_b32 s0, exec_lo
	s_waitcnt lgkmcnt(0)
	v_div_scale_f32 v11, null, v8, v8, v0
	v_div_scale_f32 v14, vcc_lo, v0, v8, v0
	s_delay_alu instid0(VALU_DEP_2) | instskip(SKIP_2) | instid1(VALU_DEP_1)
	v_rcp_f32_e32 v12, v11
	s_waitcnt_depctr 0xfff
	v_fma_f32 v13, -v11, v12, 1.0
	v_fmac_f32_e32 v12, v13, v12
	s_delay_alu instid0(VALU_DEP_1) | instskip(NEXT) | instid1(VALU_DEP_1)
	v_mul_f32_e32 v13, v14, v12
	v_fma_f32 v15, -v11, v13, v14
	s_delay_alu instid0(VALU_DEP_1) | instskip(NEXT) | instid1(VALU_DEP_1)
	v_fmac_f32_e32 v13, v15, v12
	v_fma_f32 v11, -v11, v13, v14
	s_delay_alu instid0(VALU_DEP_1) | instskip(SKIP_1) | instid1(VALU_DEP_2)
	v_div_fmas_f32 v11, v11, v12, v13
	v_mov_b32_e32 v12, 0x7f
	v_div_fixup_f32 v0, v11, v8, v0
	s_delay_alu instid0(VALU_DEP_1) | instskip(SKIP_1) | instid1(VALU_DEP_2)
	v_maxmin_f32 v11, v0, v7, v9
	v_mov_b32_e32 v0, 0x7f
	v_and_b32_e32 v13, 0x7fffffff, v11
	s_delay_alu instid0(VALU_DEP_1)
	v_cmpx_gt_u32_e32 0x43f00000, v13
	s_cbranch_execz .LBB5_81
; %bb.76:                               ;   in Loop: Header=BB5_75 Depth=1
	s_mov_b32 s3, exec_lo
                                        ; implicit-def: $vgpr12
	v_cmpx_lt_u32_e32 0x3c7fffff, v13
	s_xor_b32 s3, exec_lo, s3
; %bb.77:                               ;   in Loop: Header=BB5_75 Depth=1
	v_bfe_u32 v12, v11, 20, 1
	s_delay_alu instid0(VALU_DEP_1) | instskip(NEXT) | instid1(VALU_DEP_1)
	v_add3_u32 v12, v11, v12, 0x407ffff
	v_lshrrev_b32_e32 v12, 20, v12
; %bb.78:                               ;   in Loop: Header=BB5_75 Depth=1
	s_and_not1_saveexec_b32 s3, s3
; %bb.79:                               ;   in Loop: Header=BB5_75 Depth=1
	v_add_f32_e64 v12, 0x46800000, |v11|
; %bb.80:                               ;   in Loop: Header=BB5_75 Depth=1
	s_or_b32 exec_lo, exec_lo, s3
.LBB5_81:                               ;   in Loop: Header=BB5_75 Depth=1
	s_delay_alu instid0(SALU_CYCLE_1) | instskip(SKIP_2) | instid1(VALU_DEP_1)
	s_or_b32 exec_lo, exec_lo, s0
	v_div_scale_f32 v13, null, v8, v8, v1
	s_mov_b32 s0, exec_lo
	v_rcp_f32_e32 v14, v13
	s_waitcnt_depctr 0xfff
	v_fma_f32 v15, -v13, v14, 1.0
	s_delay_alu instid0(VALU_DEP_1) | instskip(SKIP_1) | instid1(VALU_DEP_1)
	v_fmac_f32_e32 v14, v15, v14
	v_div_scale_f32 v15, vcc_lo, v1, v8, v1
	v_mul_f32_e32 v16, v15, v14
	s_delay_alu instid0(VALU_DEP_1) | instskip(NEXT) | instid1(VALU_DEP_1)
	v_fma_f32 v17, -v13, v16, v15
	v_fmac_f32_e32 v16, v17, v14
	s_delay_alu instid0(VALU_DEP_1) | instskip(NEXT) | instid1(VALU_DEP_1)
	v_fma_f32 v13, -v13, v16, v15
	v_div_fmas_f32 v13, v13, v14, v16
	s_delay_alu instid0(VALU_DEP_1) | instskip(NEXT) | instid1(VALU_DEP_1)
	v_div_fixup_f32 v1, v13, v8, v1
	v_maxmin_f32 v1, v1, v7, v9
	s_delay_alu instid0(VALU_DEP_1) | instskip(NEXT) | instid1(VALU_DEP_1)
	v_and_b32_e32 v13, 0x7fffffff, v1
	v_cmpx_gt_u32_e32 0x43f00000, v13
	s_cbranch_execz .LBB5_87
; %bb.82:                               ;   in Loop: Header=BB5_75 Depth=1
	s_mov_b32 s3, exec_lo
                                        ; implicit-def: $vgpr0
	v_cmpx_lt_u32_e32 0x3c7fffff, v13
	s_xor_b32 s3, exec_lo, s3
; %bb.83:                               ;   in Loop: Header=BB5_75 Depth=1
	v_bfe_u32 v0, v1, 20, 1
	s_delay_alu instid0(VALU_DEP_1) | instskip(NEXT) | instid1(VALU_DEP_1)
	v_add3_u32 v0, v1, v0, 0x407ffff
	v_lshrrev_b32_e32 v0, 20, v0
; %bb.84:                               ;   in Loop: Header=BB5_75 Depth=1
	s_and_not1_saveexec_b32 s3, s3
; %bb.85:                               ;   in Loop: Header=BB5_75 Depth=1
	v_add_f32_e64 v0, 0x46800000, |v1|
; %bb.86:                               ;   in Loop: Header=BB5_75 Depth=1
	s_or_b32 exec_lo, exec_lo, s3
.LBB5_87:                               ;   in Loop: Header=BB5_75 Depth=1
	s_delay_alu instid0(SALU_CYCLE_1) | instskip(SKIP_3) | instid1(VALU_DEP_2)
	s_or_b32 exec_lo, exec_lo, s0
	v_div_scale_f32 v13, null, v8, v8, v2
	v_div_scale_f32 v16, vcc_lo, v2, v8, v2
	s_mov_b32 s0, exec_lo
	v_rcp_f32_e32 v14, v13
	s_waitcnt_depctr 0xfff
	v_fma_f32 v15, -v13, v14, 1.0
	s_delay_alu instid0(VALU_DEP_1) | instskip(NEXT) | instid1(VALU_DEP_1)
	v_fmac_f32_e32 v14, v15, v14
	v_mul_f32_e32 v15, v16, v14
	s_delay_alu instid0(VALU_DEP_1) | instskip(NEXT) | instid1(VALU_DEP_1)
	v_fma_f32 v17, -v13, v15, v16
	v_fmac_f32_e32 v15, v17, v14
	s_delay_alu instid0(VALU_DEP_1) | instskip(NEXT) | instid1(VALU_DEP_1)
	v_fma_f32 v13, -v13, v15, v16
	v_div_fmas_f32 v13, v13, v14, v15
	v_mov_b32_e32 v14, 0x7f
	s_delay_alu instid0(VALU_DEP_2) | instskip(NEXT) | instid1(VALU_DEP_1)
	v_div_fixup_f32 v2, v13, v8, v2
	v_maxmin_f32 v13, v2, v7, v9
	v_mov_b32_e32 v2, 0x7f
	s_delay_alu instid0(VALU_DEP_2) | instskip(NEXT) | instid1(VALU_DEP_1)
	v_and_b32_e32 v15, 0x7fffffff, v13
	v_cmpx_gt_u32_e32 0x43f00000, v15
	s_cbranch_execz .LBB5_93
; %bb.88:                               ;   in Loop: Header=BB5_75 Depth=1
	s_mov_b32 s3, exec_lo
                                        ; implicit-def: $vgpr14
	v_cmpx_lt_u32_e32 0x3c7fffff, v15
	s_xor_b32 s3, exec_lo, s3
; %bb.89:                               ;   in Loop: Header=BB5_75 Depth=1
	v_bfe_u32 v14, v13, 20, 1
	s_delay_alu instid0(VALU_DEP_1) | instskip(NEXT) | instid1(VALU_DEP_1)
	v_add3_u32 v14, v13, v14, 0x407ffff
	v_lshrrev_b32_e32 v14, 20, v14
; %bb.90:                               ;   in Loop: Header=BB5_75 Depth=1
	s_and_not1_saveexec_b32 s3, s3
; %bb.91:                               ;   in Loop: Header=BB5_75 Depth=1
	v_add_f32_e64 v14, 0x46800000, |v13|
; %bb.92:                               ;   in Loop: Header=BB5_75 Depth=1
	s_or_b32 exec_lo, exec_lo, s3
.LBB5_93:                               ;   in Loop: Header=BB5_75 Depth=1
	s_delay_alu instid0(SALU_CYCLE_1) | instskip(SKIP_2) | instid1(VALU_DEP_1)
	s_or_b32 exec_lo, exec_lo, s0
	v_div_scale_f32 v15, null, v8, v8, v3
	s_mov_b32 s0, exec_lo
	v_rcp_f32_e32 v16, v15
	s_waitcnt_depctr 0xfff
	v_fma_f32 v17, -v15, v16, 1.0
	s_delay_alu instid0(VALU_DEP_1) | instskip(SKIP_1) | instid1(VALU_DEP_1)
	v_fmac_f32_e32 v16, v17, v16
	v_div_scale_f32 v17, vcc_lo, v3, v8, v3
	v_mul_f32_e32 v18, v17, v16
	s_delay_alu instid0(VALU_DEP_1) | instskip(NEXT) | instid1(VALU_DEP_1)
	v_fma_f32 v19, -v15, v18, v17
	v_fmac_f32_e32 v18, v19, v16
	s_delay_alu instid0(VALU_DEP_1) | instskip(NEXT) | instid1(VALU_DEP_1)
	v_fma_f32 v15, -v15, v18, v17
	v_div_fmas_f32 v15, v15, v16, v18
	s_delay_alu instid0(VALU_DEP_1) | instskip(NEXT) | instid1(VALU_DEP_1)
	v_div_fixup_f32 v3, v15, v8, v3
	v_maxmin_f32 v3, v3, v7, v9
	s_delay_alu instid0(VALU_DEP_1) | instskip(NEXT) | instid1(VALU_DEP_1)
	v_and_b32_e32 v15, 0x7fffffff, v3
	v_cmpx_gt_u32_e32 0x43f00000, v15
	s_cbranch_execz .LBB5_74
; %bb.94:                               ;   in Loop: Header=BB5_75 Depth=1
	s_mov_b32 s3, exec_lo
                                        ; implicit-def: $vgpr2
	v_cmpx_lt_u32_e32 0x3c7fffff, v15
	s_xor_b32 s3, exec_lo, s3
; %bb.95:                               ;   in Loop: Header=BB5_75 Depth=1
	v_bfe_u32 v2, v3, 20, 1
	s_delay_alu instid0(VALU_DEP_1) | instskip(NEXT) | instid1(VALU_DEP_1)
	v_add3_u32 v2, v3, v2, 0x407ffff
	v_lshrrev_b32_e32 v2, 20, v2
; %bb.96:                               ;   in Loop: Header=BB5_75 Depth=1
	s_and_not1_saveexec_b32 s3, s3
	s_cbranch_execz .LBB5_73
; %bb.97:                               ;   in Loop: Header=BB5_75 Depth=1
	v_add_f32_e64 v2, 0x46800000, |v3|
	s_branch .LBB5_73
.LBB5_98:
	s_nop 0
	s_sendmsg sendmsg(MSG_DEALLOC_VGPRS)
	s_endpgm
	.section	.rodata,"a",@progbits
	.p2align	6, 0x0
	.amdhsa_kernel _Z33per_token_group_quant_8bit_kernelIfN3c1013Float8_e4m3fnELb1ELb0EfEvPKT_PvPT3_iiifffii
		.amdhsa_group_segment_fixed_size 0
		.amdhsa_private_segment_fixed_size 0
		.amdhsa_kernarg_size 56
		.amdhsa_user_sgpr_count 15
		.amdhsa_user_sgpr_dispatch_ptr 0
		.amdhsa_user_sgpr_queue_ptr 0
		.amdhsa_user_sgpr_kernarg_segment_ptr 1
		.amdhsa_user_sgpr_dispatch_id 0
		.amdhsa_user_sgpr_private_segment_size 0
		.amdhsa_wavefront_size32 1
		.amdhsa_uses_dynamic_stack 0
		.amdhsa_enable_private_segment 0
		.amdhsa_system_sgpr_workgroup_id_x 1
		.amdhsa_system_sgpr_workgroup_id_y 0
		.amdhsa_system_sgpr_workgroup_id_z 0
		.amdhsa_system_sgpr_workgroup_info 0
		.amdhsa_system_vgpr_workitem_id 0
		.amdhsa_next_free_vgpr 29
		.amdhsa_next_free_sgpr 17
		.amdhsa_reserve_vcc 1
		.amdhsa_float_round_mode_32 0
		.amdhsa_float_round_mode_16_64 0
		.amdhsa_float_denorm_mode_32 3
		.amdhsa_float_denorm_mode_16_64 3
		.amdhsa_dx10_clamp 1
		.amdhsa_ieee_mode 1
		.amdhsa_fp16_overflow 0
		.amdhsa_workgroup_processor_mode 1
		.amdhsa_memory_ordered 1
		.amdhsa_forward_progress 0
		.amdhsa_shared_vgpr_count 0
		.amdhsa_exception_fp_ieee_invalid_op 0
		.amdhsa_exception_fp_denorm_src 0
		.amdhsa_exception_fp_ieee_div_zero 0
		.amdhsa_exception_fp_ieee_overflow 0
		.amdhsa_exception_fp_ieee_underflow 0
		.amdhsa_exception_fp_ieee_inexact 0
		.amdhsa_exception_int_div_zero 0
	.end_amdhsa_kernel
	.section	.text._Z33per_token_group_quant_8bit_kernelIfN3c1013Float8_e4m3fnELb1ELb0EfEvPKT_PvPT3_iiifffii,"axG",@progbits,_Z33per_token_group_quant_8bit_kernelIfN3c1013Float8_e4m3fnELb1ELb0EfEvPKT_PvPT3_iiifffii,comdat
.Lfunc_end5:
	.size	_Z33per_token_group_quant_8bit_kernelIfN3c1013Float8_e4m3fnELb1ELb0EfEvPKT_PvPT3_iiifffii, .Lfunc_end5-_Z33per_token_group_quant_8bit_kernelIfN3c1013Float8_e4m3fnELb1ELb0EfEvPKT_PvPT3_iiifffii
                                        ; -- End function
	.section	.AMDGPU.csdata,"",@progbits
; Kernel info:
; codeLenInByte = 5472
; NumSgprs: 19
; NumVgprs: 29
; ScratchSize: 0
; MemoryBound: 0
; FloatMode: 240
; IeeeMode: 1
; LDSByteSize: 0 bytes/workgroup (compile time only)
; SGPRBlocks: 2
; VGPRBlocks: 3
; NumSGPRsForWavesPerEU: 19
; NumVGPRsForWavesPerEU: 29
; Occupancy: 16
; WaveLimiterHint : 0
; COMPUTE_PGM_RSRC2:SCRATCH_EN: 0
; COMPUTE_PGM_RSRC2:USER_SGPR: 15
; COMPUTE_PGM_RSRC2:TRAP_HANDLER: 0
; COMPUTE_PGM_RSRC2:TGID_X_EN: 1
; COMPUTE_PGM_RSRC2:TGID_Y_EN: 0
; COMPUTE_PGM_RSRC2:TGID_Z_EN: 0
; COMPUTE_PGM_RSRC2:TIDIG_COMP_CNT: 0
	.section	.text._Z33per_token_group_quant_8bit_kernelIfN3c1013Float8_e4m3fnELb0ELb1EfEvPKT_PvPT3_iiifffii,"axG",@progbits,_Z33per_token_group_quant_8bit_kernelIfN3c1013Float8_e4m3fnELb0ELb1EfEvPKT_PvPT3_iiifffii,comdat
	.protected	_Z33per_token_group_quant_8bit_kernelIfN3c1013Float8_e4m3fnELb0ELb1EfEvPKT_PvPT3_iiifffii ; -- Begin function _Z33per_token_group_quant_8bit_kernelIfN3c1013Float8_e4m3fnELb0ELb1EfEvPKT_PvPT3_iiifffii
	.globl	_Z33per_token_group_quant_8bit_kernelIfN3c1013Float8_e4m3fnELb0ELb1EfEvPKT_PvPT3_iiifffii
	.p2align	8
	.type	_Z33per_token_group_quant_8bit_kernelIfN3c1013Float8_e4m3fnELb0ELb1EfEvPKT_PvPT3_iiifffii,@function
_Z33per_token_group_quant_8bit_kernelIfN3c1013Float8_e4m3fnELb0ELb1EfEvPKT_PvPT3_iiifffii: ; @_Z33per_token_group_quant_8bit_kernelIfN3c1013Float8_e4m3fnELb0ELb1EfEvPKT_PvPT3_iiifffii
; %bb.0:
	s_clause 0x1
	s_load_b128 s[4:7], s[0:1], 0x20
	s_load_b32 s8, s[0:1], 0x18
	v_lshrrev_b32_e32 v3, 4, v0
	v_and_b32_e32 v12, 15, v0
	s_waitcnt lgkmcnt(0)
	s_mul_i32 s15, s15, s4
	s_ashr_i32 s4, s8, 31
	v_add_co_u32 v1, s2, s15, v3
	s_delay_alu instid0(VALU_DEP_1) | instskip(SKIP_1) | instid1(VALU_DEP_2)
	v_add_co_ci_u32_e64 v2, null, 0, 0, s2
	s_load_b64 s[2:3], s[0:1], 0x0
	v_mul_lo_u32 v7, v1, s4
	v_mad_u64_u32 v[4:5], null, v1, s8, 0
	s_delay_alu instid0(VALU_DEP_3) | instskip(SKIP_2) | instid1(SALU_CYCLE_1)
	v_mul_lo_u32 v6, v2, s8
	v_mul_lo_u32 v13, v3, s8
	s_and_b32 s9, s8, 3
                                        ; implicit-def: $vgpr3
	s_cmp_eq_u32 s9, 0
	s_cselect_b32 s4, -1, 0
	s_cmp_lg_u32 s9, 0
	s_delay_alu instid0(VALU_DEP_2) | instskip(NEXT) | instid1(VALU_DEP_2)
	v_add3_u32 v5, v5, v7, v6
	v_lshl_add_u32 v0, v13, 2, 0
	s_cselect_b32 s9, -1, 0
	s_delay_alu instid0(VALU_DEP_2) | instskip(SKIP_1) | instid1(VALU_DEP_1)
	v_lshlrev_b64 v[6:7], 2, v[4:5]
	s_waitcnt lgkmcnt(0)
	v_add_co_u32 v8, vcc_lo, s2, v6
	v_mov_b32_e32 v11, 0
	s_delay_alu instid0(VALU_DEP_3) | instskip(NEXT) | instid1(VALU_DEP_3)
	v_add_co_ci_u32_e32 v9, vcc_lo, s3, v7, vcc_lo
	v_and_b32_e32 v10, 15, v8
	s_delay_alu instid0(VALU_DEP_1) | instskip(SKIP_1) | instid1(SALU_CYCLE_1)
	v_cmp_ne_u64_e32 vcc_lo, 0, v[10:11]
	s_or_b32 s9, s9, vcc_lo
	s_and_saveexec_b32 s10, s9
	s_delay_alu instid0(SALU_CYCLE_1)
	s_xor_b32 s9, exec_lo, s10
	s_cbranch_execz .LBB6_12
; %bb.1:
	v_sub_nc_u32_e32 v3, 0, v8
	s_mov_b32 s10, exec_lo
	s_delay_alu instid0(VALU_DEP_1) | instskip(NEXT) | instid1(VALU_DEP_1)
	v_bfe_u32 v3, v3, 2, 2
	v_min_i32_e32 v10, s8, v3
	v_mov_b32_e32 v3, s5
	s_delay_alu instid0(VALU_DEP_2)
	v_cmpx_gt_i32_e64 v10, v12
	s_cbranch_execz .LBB6_3
; %bb.2:
	v_lshlrev_b32_e32 v3, 2, v12
	v_max_f32_e64 v11, s5, s5
	s_delay_alu instid0(VALU_DEP_2) | instskip(SKIP_4) | instid1(VALU_DEP_1)
	v_add_co_u32 v8, vcc_lo, v8, v3
	v_add_co_ci_u32_e32 v9, vcc_lo, 0, v9, vcc_lo
	global_load_b32 v8, v[8:9], off
	s_waitcnt vmcnt(0)
	v_max_f32_e64 v9, |v8|, |v8|
	v_dual_max_f32 v3, v11, v9 :: v_dual_add_nc_u32 v14, v0, v3
	ds_store_b32 v14, v8
.LBB6_3:
	s_or_b32 exec_lo, exec_lo, s10
	v_sub_nc_u32_e32 v14, s8, v10
	v_ashrrev_i32_e32 v11, 31, v10
	v_lshlrev_b32_e32 v15, 2, v10
	s_mov_b32 s10, exec_lo
	s_delay_alu instid0(VALU_DEP_3) | instskip(NEXT) | instid1(VALU_DEP_1)
	v_ashrrev_i32_e32 v8, 31, v14
	v_lshrrev_b32_e32 v8, 30, v8
	s_delay_alu instid0(VALU_DEP_1) | instskip(NEXT) | instid1(VALU_DEP_1)
	v_add_nc_u32_e32 v8, v14, v8
	v_ashrrev_i32_e32 v16, 2, v8
	v_lshlrev_b64 v[8:9], 2, v[10:11]
	s_delay_alu instid0(VALU_DEP_2)
	v_cmpx_gt_i32_e64 v16, v12
	s_cbranch_execz .LBB6_7
; %bb.4:
	v_lshlrev_b32_e32 v10, 4, v12
	s_mov_b32 s11, 0
	s_delay_alu instid0(VALU_DEP_1) | instskip(SKIP_2) | instid1(VALU_DEP_3)
	v_add_co_u32 v11, vcc_lo, v6, v10
	v_add_co_ci_u32_e32 v17, vcc_lo, 0, v7, vcc_lo
	v_lshl_add_u32 v10, v13, 2, v10
	v_add_co_u32 v11, vcc_lo, v11, v8
	s_delay_alu instid0(VALU_DEP_3) | instskip(NEXT) | instid1(VALU_DEP_2)
	v_add_co_ci_u32_e32 v17, vcc_lo, v17, v9, vcc_lo
	v_add_co_u32 v11, vcc_lo, v11, s2
	s_delay_alu instid0(VALU_DEP_2) | instskip(SKIP_1) | instid1(VALU_DEP_3)
	v_add_co_ci_u32_e32 v18, vcc_lo, s3, v17, vcc_lo
	v_add3_u32 v17, v10, v15, 0
	v_add_co_u32 v10, vcc_lo, v11, 8
	s_delay_alu instid0(VALU_DEP_3)
	v_add_co_ci_u32_e32 v11, vcc_lo, 0, v18, vcc_lo
	v_mov_b32_e32 v18, v12
	.p2align	6
.LBB6_5:                                ; =>This Inner Loop Header: Depth=1
	global_load_b128 v[19:22], v[10:11], off offset:-8
	v_add_nc_u32_e32 v18, 16, v18
	v_add_co_u32 v10, vcc_lo, 0x100, v10
	v_add_co_ci_u32_e32 v11, vcc_lo, 0, v11, vcc_lo
	s_delay_alu instid0(VALU_DEP_3)
	v_cmp_ge_i32_e32 vcc_lo, v18, v16
	s_or_b32 s11, vcc_lo, s11
	s_waitcnt vmcnt(0)
	v_max3_f32 v3, v3, |v19|, |v20|
	ds_store_b128 v17, v[19:22]
	v_add_nc_u32_e32 v17, 0x100, v17
	v_max3_f32 v3, v3, |v21|, |v22|
	s_and_not1_b32 exec_lo, exec_lo, s11
	s_cbranch_execnz .LBB6_5
; %bb.6:
	s_or_b32 exec_lo, exec_lo, s11
.LBB6_7:
	s_delay_alu instid0(SALU_CYCLE_1) | instskip(SKIP_2) | instid1(VALU_DEP_1)
	s_or_b32 exec_lo, exec_lo, s10
	v_lshl_add_u32 v10, v16, 2, v12
	s_mov_b32 s10, exec_lo
	v_cmpx_lt_i32_e64 v10, v14
	s_cbranch_execz .LBB6_11
; %bb.8:
	v_ashrrev_i32_e32 v11, 31, v10
	v_lshlrev_b32_e32 v19, 4, v16
	v_add_co_u32 v6, vcc_lo, v6, v8
	v_lshlrev_b32_e32 v18, 2, v13
	s_delay_alu instid0(VALU_DEP_4) | instskip(SKIP_2) | instid1(VALU_DEP_4)
	v_lshlrev_b64 v[16:17], 2, v[10:11]
	v_add_co_ci_u32_e32 v7, vcc_lo, v7, v9, vcc_lo
	v_lshlrev_b32_e32 v20, 2, v12
	v_add3_u32 v8, v18, v19, v15
	s_mov_b32 s11, 0
	s_delay_alu instid0(VALU_DEP_4) | instskip(SKIP_1) | instid1(VALU_DEP_3)
	v_add_co_u32 v6, vcc_lo, v6, v16
	v_add_co_ci_u32_e32 v7, vcc_lo, v7, v17, vcc_lo
	v_add3_u32 v8, v8, v20, 0
	s_delay_alu instid0(VALU_DEP_3) | instskip(NEXT) | instid1(VALU_DEP_3)
	v_add_co_u32 v6, vcc_lo, s2, v6
	v_add_co_ci_u32_e32 v7, vcc_lo, s3, v7, vcc_lo
	.p2align	6
.LBB6_9:                                ; =>This Inner Loop Header: Depth=1
	global_load_b32 v9, v[6:7], off
	v_dual_max_f32 v3, v3, v3 :: v_dual_add_nc_u32 v10, 16, v10
	v_add_co_u32 v6, vcc_lo, v6, 64
	v_add_co_ci_u32_e32 v7, vcc_lo, 0, v7, vcc_lo
	s_delay_alu instid0(VALU_DEP_3)
	v_cmp_ge_i32_e32 vcc_lo, v10, v14
	s_or_b32 s11, vcc_lo, s11
	s_waitcnt vmcnt(0)
	v_max_f32_e64 v11, |v9|, |v9|
	ds_store_b32 v8, v9
	v_dual_max_f32 v3, v3, v11 :: v_dual_add_nc_u32 v8, 64, v8
	s_and_not1_b32 exec_lo, exec_lo, s11
	s_cbranch_execnz .LBB6_9
; %bb.10:
	s_or_b32 exec_lo, exec_lo, s11
.LBB6_11:
	s_delay_alu instid0(SALU_CYCLE_1)
	s_or_b32 exec_lo, exec_lo, s10
                                        ; implicit-def: $vgpr6_vgpr7
.LBB6_12:
	s_and_not1_saveexec_b32 s9, s9
	s_cbranch_execz .LBB6_18
; %bb.13:
	v_mov_b32_e32 v3, s5
	s_ashr_i32 s11, s8, 2
	s_mov_b32 s10, exec_lo
	v_cmpx_gt_i32_e64 s11, v12
	s_cbranch_execz .LBB6_17
; %bb.14:
	v_dual_mov_b32 v3, s5 :: v_dual_lshlrev_b32 v8, 4, v12
	v_lshlrev_b32_e32 v9, 2, v13
	s_delay_alu instid0(VALU_DEP_2) | instskip(SKIP_1) | instid1(VALU_DEP_3)
	v_add_co_u32 v6, vcc_lo, v6, v8
	v_add_co_ci_u32_e32 v7, vcc_lo, 0, v7, vcc_lo
	v_add3_u32 v8, v9, v8, 0
	s_delay_alu instid0(VALU_DEP_3) | instskip(NEXT) | instid1(VALU_DEP_3)
	v_add_co_u32 v6, vcc_lo, v6, s2
	v_add_co_ci_u32_e32 v7, vcc_lo, s3, v7, vcc_lo
	v_mov_b32_e32 v9, v12
	s_delay_alu instid0(VALU_DEP_3) | instskip(NEXT) | instid1(VALU_DEP_3)
	v_add_co_u32 v6, vcc_lo, v6, 8
	v_add_co_ci_u32_e32 v7, vcc_lo, 0, v7, vcc_lo
	s_mov_b32 s2, 0
	.p2align	6
.LBB6_15:                               ; =>This Inner Loop Header: Depth=1
	global_load_b128 v[14:17], v[6:7], off offset:-8
	v_add_nc_u32_e32 v9, 16, v9
	v_add_co_u32 v6, vcc_lo, 0x100, v6
	v_add_co_ci_u32_e32 v7, vcc_lo, 0, v7, vcc_lo
	s_delay_alu instid0(VALU_DEP_3)
	v_cmp_le_i32_e32 vcc_lo, s11, v9
	s_or_b32 s2, vcc_lo, s2
	s_waitcnt vmcnt(0)
	v_max3_f32 v3, v3, |v14|, |v15|
	ds_store_b128 v8, v[14:17]
	v_add_nc_u32_e32 v8, 0x100, v8
	v_max3_f32 v3, v3, |v16|, |v17|
	s_and_not1_b32 exec_lo, exec_lo, s2
	s_cbranch_execnz .LBB6_15
; %bb.16:
	s_or_b32 exec_lo, exec_lo, s2
.LBB6_17:
	s_delay_alu instid0(SALU_CYCLE_1)
	s_or_b32 exec_lo, exec_lo, s10
.LBB6_18:
	s_delay_alu instid0(SALU_CYCLE_1) | instskip(SKIP_3) | instid1(VALU_DEP_1)
	s_or_b32 exec_lo, exec_lo, s9
	v_mbcnt_lo_u32_b32 v6, -1, 0
	s_load_b64 s[2:3], s[0:1], 0x8
	s_mov_b32 s5, exec_lo
	v_xor_b32_e32 v8, 8, v6
	v_and_b32_e32 v7, 16, v6
	v_xor_b32_e32 v9, 4, v6
	s_delay_alu instid0(VALU_DEP_2) | instskip(NEXT) | instid1(VALU_DEP_1)
	v_add_nc_u32_e32 v7, 16, v7
	v_cmp_lt_i32_e32 vcc_lo, v8, v7
	v_cndmask_b32_e32 v8, v6, v8, vcc_lo
	s_delay_alu instid0(VALU_DEP_1) | instskip(SKIP_4) | instid1(VALU_DEP_2)
	v_lshlrev_b32_e32 v8, 2, v8
	ds_bpermute_b32 v8, v8, v3
	s_waitcnt lgkmcnt(0)
	v_dual_max_f32 v3, v3, v3 :: v_dual_max_f32 v8, v8, v8
	v_cmp_lt_i32_e32 vcc_lo, v9, v7
	v_max_f32_e32 v3, v3, v8
	v_cndmask_b32_e32 v9, v6, v9, vcc_lo
	s_delay_alu instid0(VALU_DEP_1) | instskip(SKIP_2) | instid1(VALU_DEP_1)
	v_lshlrev_b32_e32 v9, 2, v9
	ds_bpermute_b32 v8, v9, v3
	v_xor_b32_e32 v9, 2, v6
	v_cmp_lt_i32_e32 vcc_lo, v9, v7
	v_cndmask_b32_e32 v9, v6, v9, vcc_lo
	s_waitcnt lgkmcnt(0)
	s_delay_alu instid0(VALU_DEP_1) | instskip(NEXT) | instid1(VALU_DEP_1)
	v_dual_max_f32 v8, v8, v8 :: v_dual_lshlrev_b32 v9, 2, v9
	v_max_f32_e32 v3, v3, v8
	ds_bpermute_b32 v8, v9, v3
	v_xor_b32_e32 v9, 1, v6
	s_delay_alu instid0(VALU_DEP_1) | instskip(SKIP_2) | instid1(VALU_DEP_1)
	v_cmp_lt_i32_e32 vcc_lo, v9, v7
	v_cndmask_b32_e32 v6, v6, v9, vcc_lo
	s_waitcnt lgkmcnt(0)
	v_dual_max_f32 v7, v8, v8 :: v_dual_lshlrev_b32 v6, 2, v6
	s_delay_alu instid0(VALU_DEP_1) | instskip(SKIP_3) | instid1(VALU_DEP_1)
	v_max_f32_e32 v3, v3, v7
	ds_bpermute_b32 v6, v6, v3
	s_waitcnt lgkmcnt(0)
	v_max_f32_e32 v6, v6, v6
	v_max_f32_e32 v3, v3, v6
	s_delay_alu instid0(VALU_DEP_1) | instskip(SKIP_1) | instid1(VALU_DEP_2)
	v_div_scale_f32 v6, null, s7, s7, v3
	v_div_scale_f32 v9, vcc_lo, v3, s7, v3
	v_rcp_f32_e32 v7, v6
	s_waitcnt_depctr 0xfff
	v_fma_f32 v8, -v6, v7, 1.0
	s_delay_alu instid0(VALU_DEP_1) | instskip(NEXT) | instid1(VALU_DEP_1)
	v_fmac_f32_e32 v7, v8, v7
	v_mul_f32_e32 v8, v9, v7
	s_delay_alu instid0(VALU_DEP_1) | instskip(NEXT) | instid1(VALU_DEP_1)
	v_fma_f32 v10, -v6, v8, v9
	v_fmac_f32_e32 v8, v10, v7
	s_delay_alu instid0(VALU_DEP_1) | instskip(NEXT) | instid1(VALU_DEP_1)
	v_fma_f32 v6, -v6, v8, v9
	v_div_fmas_f32 v6, v6, v7, v8
	s_delay_alu instid0(VALU_DEP_1) | instskip(NEXT) | instid1(VALU_DEP_1)
	v_div_fixup_f32 v3, v6, s7, v3
	v_max_f32_e64 v3, 0x2edbe6ff, |v3|
	s_delay_alu instid0(VALU_DEP_1) | instskip(SKIP_1) | instid1(VALU_DEP_1)
	v_cmp_gt_f32_e32 vcc_lo, 0x800000, v3
	v_cndmask_b32_e64 v6, 1.0, 0x4f800000, vcc_lo
	v_mul_f32_e32 v3, v3, v6
	v_cndmask_b32_e64 v6, 0, 0x42000000, vcc_lo
	s_delay_alu instid0(VALU_DEP_2) | instskip(SKIP_2) | instid1(VALU_DEP_1)
	v_log_f32_e32 v3, v3
	s_waitcnt_depctr 0xfff
	v_sub_f32_e32 v3, v3, v6
	v_ceil_f32_e32 v3, v3
	s_delay_alu instid0(VALU_DEP_1) | instskip(SKIP_1) | instid1(VALU_DEP_1)
	v_cmp_gt_f32_e32 vcc_lo, 0xc2fc0000, v3
	v_cndmask_b32_e64 v6, 0, 0x42800000, vcc_lo
	v_add_f32_e32 v3, v3, v6
	v_cndmask_b32_e64 v6, 1.0, 0x1f800000, vcc_lo
	s_delay_alu instid0(VALU_DEP_2)
	v_exp_f32_e32 v3, v3
	s_waitcnt_depctr 0xfff
	v_mul_f32_e32 v8, v3, v6
	v_cmpx_eq_u32_e32 0, v12
	s_cbranch_execz .LBB6_20
; %bb.19:
	s_load_b64 s[0:1], s[0:1], 0x10
	v_lshlrev_b64 v[1:2], 2, v[1:2]
	s_waitcnt lgkmcnt(0)
	s_delay_alu instid0(VALU_DEP_1) | instskip(NEXT) | instid1(VALU_DEP_2)
	v_add_co_u32 v1, vcc_lo, s0, v1
	v_add_co_ci_u32_e32 v2, vcc_lo, s1, v2, vcc_lo
	global_store_b32 v[1:2], v8, off
.LBB6_20:
	s_or_b32 exec_lo, exec_lo, s5
	v_dual_mov_b32 v2, 0 :: v_dual_and_b32 v1, 15, v0
	s_xor_b32 s0, s4, -1
	s_waitcnt_vscnt null, 0x0
	s_barrier
	buffer_gl0_inv
	v_cmp_ne_u64_e32 vcc_lo, 0, v[1:2]
	s_or_b32 s0, s0, vcc_lo
	s_delay_alu instid0(SALU_CYCLE_1) | instskip(NEXT) | instid1(SALU_CYCLE_1)
	s_and_saveexec_b32 s1, s0
	s_xor_b32 s1, exec_lo, s1
	s_cbranch_execz .LBB6_66
; %bb.21:
	v_sub_nc_u32_e32 v1, 0, v0
	s_mov_b32 s0, exec_lo
	s_delay_alu instid0(VALU_DEP_1) | instskip(NEXT) | instid1(VALU_DEP_1)
	v_bfe_u32 v1, v1, 2, 2
	v_min_i32_e32 v10, s8, v1
	s_delay_alu instid0(VALU_DEP_1)
	v_cmpx_gt_i32_e64 v10, v12
	s_cbranch_execz .LBB6_29
; %bb.22:
	v_lshl_add_u32 v0, v12, 2, v0
	s_mov_b32 s4, exec_lo
	ds_load_b32 v0, v0
	s_waitcnt lgkmcnt(0)
	v_div_scale_f32 v1, null, v8, v8, v0
	v_div_scale_f32 v6, vcc_lo, v0, v8, v0
	s_delay_alu instid0(VALU_DEP_2) | instskip(SKIP_2) | instid1(VALU_DEP_1)
	v_rcp_f32_e32 v2, v1
	s_waitcnt_depctr 0xfff
	v_fma_f32 v3, -v1, v2, 1.0
	v_fmac_f32_e32 v2, v3, v2
	s_delay_alu instid0(VALU_DEP_1) | instskip(NEXT) | instid1(VALU_DEP_1)
	v_mul_f32_e32 v3, v6, v2
	v_fma_f32 v7, -v1, v3, v6
	s_delay_alu instid0(VALU_DEP_1) | instskip(NEXT) | instid1(VALU_DEP_1)
	v_fmac_f32_e32 v3, v7, v2
	v_fma_f32 v1, -v1, v3, v6
	s_delay_alu instid0(VALU_DEP_1) | instskip(SKIP_2) | instid1(VALU_DEP_3)
	v_div_fmas_f32 v1, v1, v2, v3
	v_max_f32_e64 v2, s6, s6
	v_max_f32_e64 v3, s7, s7
	v_div_fixup_f32 v0, v1, v8, v0
	v_mov_b32_e32 v1, 0x7f
	s_delay_alu instid0(VALU_DEP_2) | instskip(NEXT) | instid1(VALU_DEP_1)
	v_maxmin_f32 v0, v0, v2, v3
	v_and_b32_e32 v2, 0x7fffffff, v0
	s_delay_alu instid0(VALU_DEP_1)
	v_cmpx_gt_u32_e32 0x43f00000, v2
	s_cbranch_execz .LBB6_28
; %bb.23:
	s_mov_b32 s5, exec_lo
                                        ; implicit-def: $vgpr1
	v_cmpx_lt_u32_e32 0x3c7fffff, v2
	s_xor_b32 s5, exec_lo, s5
; %bb.24:
	v_bfe_u32 v1, v0, 20, 1
	s_delay_alu instid0(VALU_DEP_1) | instskip(NEXT) | instid1(VALU_DEP_1)
	v_add3_u32 v1, v0, v1, 0x407ffff
	v_lshrrev_b32_e32 v1, 20, v1
; %bb.25:
	s_and_not1_saveexec_b32 s5, s5
; %bb.26:
	v_add_f32_e64 v1, 0x46800000, |v0|
; %bb.27:
	s_or_b32 exec_lo, exec_lo, s5
.LBB6_28:
	s_delay_alu instid0(SALU_CYCLE_1) | instskip(SKIP_3) | instid1(VALU_DEP_3)
	s_or_b32 exec_lo, exec_lo, s4
	v_add_co_u32 v2, vcc_lo, s2, v4
	v_add_co_ci_u32_e32 v3, vcc_lo, s3, v5, vcc_lo
	v_lshrrev_b32_e32 v0, 24, v0
	v_add_co_u32 v2, vcc_lo, v2, v12
	s_delay_alu instid0(VALU_DEP_3) | instskip(NEXT) | instid1(VALU_DEP_3)
	v_add_co_ci_u32_e32 v3, vcc_lo, 0, v3, vcc_lo
	v_and_or_b32 v0, 0x80, v0, v1
	global_store_b8 v[2:3], v0, off
.LBB6_29:
	s_or_b32 exec_lo, exec_lo, s0
	v_sub_nc_u32_e32 v9, s8, v10
	v_ashrrev_i32_e32 v11, 31, v10
	v_lshlrev_b32_e32 v15, 2, v10
	s_mov_b32 s4, exec_lo
	s_delay_alu instid0(VALU_DEP_3) | instskip(NEXT) | instid1(VALU_DEP_1)
	v_ashrrev_i32_e32 v0, 31, v9
	v_lshrrev_b32_e32 v0, 30, v0
	s_delay_alu instid0(VALU_DEP_1) | instskip(NEXT) | instid1(VALU_DEP_1)
	v_add_nc_u32_e32 v0, v9, v0
	v_ashrrev_i32_e32 v14, 2, v0
	s_delay_alu instid0(VALU_DEP_1)
	v_cmpx_gt_i32_e64 v14, v12
	s_cbranch_execz .LBB6_56
; %bb.30:
	v_lshlrev_b32_e32 v1, 2, v12
	v_add_co_u32 v2, vcc_lo, v10, v4
	v_dual_mov_b32 v19, v12 :: v_dual_lshlrev_b32 v0, 4, v12
	v_add_co_ci_u32_e32 v3, vcc_lo, v11, v5, vcc_lo
	s_delay_alu instid0(VALU_DEP_3) | instskip(NEXT) | instid1(VALU_DEP_3)
	v_add_co_u32 v1, vcc_lo, v2, v1
	v_lshl_add_u32 v0, v13, 2, v0
	s_delay_alu instid0(VALU_DEP_3) | instskip(NEXT) | instid1(VALU_DEP_3)
	v_add_co_ci_u32_e32 v2, vcc_lo, 0, v3, vcc_lo
	v_add_co_u32 v6, vcc_lo, s2, v1
	s_delay_alu instid0(VALU_DEP_3) | instskip(NEXT) | instid1(VALU_DEP_3)
	v_add3_u32 v16, v0, v15, 0
	v_add_co_ci_u32_e32 v7, vcc_lo, s3, v2, vcc_lo
	v_max_f32_e64 v17, s6, s6
	v_max_f32_e64 v18, s7, s7
	s_mov_b32 s5, 0
	s_branch .LBB6_33
.LBB6_31:                               ;   in Loop: Header=BB6_33 Depth=1
	s_or_b32 exec_lo, exec_lo, s9
.LBB6_32:                               ;   in Loop: Header=BB6_33 Depth=1
	s_delay_alu instid0(SALU_CYCLE_1)
	s_or_b32 exec_lo, exec_lo, s0
	v_lshrrev_b32_e32 v22, 24, v22
	v_lshrrev_b32_e32 v1, 24, v1
	v_lshrrev_b32_e32 v20, 24, v20
	v_lshlrev_b32_e32 v2, 24, v2
	v_and_b32_e32 v3, 0x80000000, v3
	v_and_b32_e32 v22, 0x80, v22
	v_and_b32_e32 v1, 0x80, v1
	v_and_b32_e32 v21, 0xff, v21
	v_add_nc_u32_e32 v19, 16, v19
	v_add_nc_u32_e32 v16, 0x100, v16
	v_and_or_b32 v22, 0xff, v23, v22
	v_and_or_b32 v0, 0xff, v0, v1
	;; [unrolled: 1-line block ×3, first 2 shown]
	v_cmp_ge_i32_e32 vcc_lo, v19, v14
	s_delay_alu instid0(VALU_DEP_4) | instskip(NEXT) | instid1(VALU_DEP_4)
	v_lshlrev_b32_e32 v1, 16, v22
	v_lshlrev_b32_e32 v0, 8, v0
	s_or_b32 s5, vcc_lo, s5
	s_delay_alu instid0(VALU_DEP_2) | instskip(NEXT) | instid1(VALU_DEP_1)
	v_or3_b32 v1, v3, v2, v1
	v_or3_b32 v0, v1, v0, v20
	global_store_b32 v[6:7], v0, off
	v_add_co_u32 v6, s0, v6, 64
	s_delay_alu instid0(VALU_DEP_1)
	v_add_co_ci_u32_e64 v7, s0, 0, v7, s0
	s_and_not1_b32 exec_lo, exec_lo, s5
	s_cbranch_execz .LBB6_56
.LBB6_33:                               ; =>This Inner Loop Header: Depth=1
	ds_load_b128 v[0:3], v16
	s_mov_b32 s0, exec_lo
	s_waitcnt lgkmcnt(0)
	v_div_scale_f32 v20, null, v8, v8, v0
	v_div_scale_f32 v23, vcc_lo, v0, v8, v0
	s_delay_alu instid0(VALU_DEP_2) | instskip(SKIP_2) | instid1(VALU_DEP_1)
	v_rcp_f32_e32 v21, v20
	s_waitcnt_depctr 0xfff
	v_fma_f32 v22, -v20, v21, 1.0
	v_fmac_f32_e32 v21, v22, v21
	s_delay_alu instid0(VALU_DEP_1) | instskip(NEXT) | instid1(VALU_DEP_1)
	v_mul_f32_e32 v22, v23, v21
	v_fma_f32 v24, -v20, v22, v23
	s_delay_alu instid0(VALU_DEP_1) | instskip(NEXT) | instid1(VALU_DEP_1)
	v_fmac_f32_e32 v22, v24, v21
	v_fma_f32 v20, -v20, v22, v23
	s_delay_alu instid0(VALU_DEP_1) | instskip(SKIP_1) | instid1(VALU_DEP_2)
	v_div_fmas_f32 v20, v20, v21, v22
	v_mov_b32_e32 v21, 0x7f
	v_div_fixup_f32 v0, v20, v8, v0
	s_delay_alu instid0(VALU_DEP_1) | instskip(SKIP_1) | instid1(VALU_DEP_2)
	v_maxmin_f32 v20, v0, v17, v18
	v_mov_b32_e32 v0, 0x7f
	v_and_b32_e32 v22, 0x7fffffff, v20
	s_delay_alu instid0(VALU_DEP_1)
	v_cmpx_gt_u32_e32 0x43f00000, v22
	s_cbranch_execz .LBB6_39
; %bb.34:                               ;   in Loop: Header=BB6_33 Depth=1
	s_mov_b32 s9, exec_lo
                                        ; implicit-def: $vgpr21
	v_cmpx_lt_u32_e32 0x3c7fffff, v22
	s_xor_b32 s9, exec_lo, s9
; %bb.35:                               ;   in Loop: Header=BB6_33 Depth=1
	v_bfe_u32 v21, v20, 20, 1
	s_delay_alu instid0(VALU_DEP_1) | instskip(NEXT) | instid1(VALU_DEP_1)
	v_add3_u32 v21, v20, v21, 0x407ffff
	v_lshrrev_b32_e32 v21, 20, v21
; %bb.36:                               ;   in Loop: Header=BB6_33 Depth=1
	s_and_not1_saveexec_b32 s9, s9
; %bb.37:                               ;   in Loop: Header=BB6_33 Depth=1
	v_add_f32_e64 v21, 0x46800000, |v20|
; %bb.38:                               ;   in Loop: Header=BB6_33 Depth=1
	s_or_b32 exec_lo, exec_lo, s9
.LBB6_39:                               ;   in Loop: Header=BB6_33 Depth=1
	s_delay_alu instid0(SALU_CYCLE_1) | instskip(SKIP_2) | instid1(VALU_DEP_1)
	s_or_b32 exec_lo, exec_lo, s0
	v_div_scale_f32 v22, null, v8, v8, v1
	s_mov_b32 s0, exec_lo
	v_rcp_f32_e32 v23, v22
	s_waitcnt_depctr 0xfff
	v_fma_f32 v24, -v22, v23, 1.0
	s_delay_alu instid0(VALU_DEP_1) | instskip(SKIP_1) | instid1(VALU_DEP_1)
	v_fmac_f32_e32 v23, v24, v23
	v_div_scale_f32 v24, vcc_lo, v1, v8, v1
	v_mul_f32_e32 v25, v24, v23
	s_delay_alu instid0(VALU_DEP_1) | instskip(NEXT) | instid1(VALU_DEP_1)
	v_fma_f32 v26, -v22, v25, v24
	v_fmac_f32_e32 v25, v26, v23
	s_delay_alu instid0(VALU_DEP_1) | instskip(NEXT) | instid1(VALU_DEP_1)
	v_fma_f32 v22, -v22, v25, v24
	v_div_fmas_f32 v22, v22, v23, v25
	s_delay_alu instid0(VALU_DEP_1) | instskip(NEXT) | instid1(VALU_DEP_1)
	v_div_fixup_f32 v1, v22, v8, v1
	v_maxmin_f32 v1, v1, v17, v18
	s_delay_alu instid0(VALU_DEP_1) | instskip(NEXT) | instid1(VALU_DEP_1)
	v_and_b32_e32 v22, 0x7fffffff, v1
	v_cmpx_gt_u32_e32 0x43f00000, v22
	s_cbranch_execz .LBB6_45
; %bb.40:                               ;   in Loop: Header=BB6_33 Depth=1
	s_mov_b32 s9, exec_lo
                                        ; implicit-def: $vgpr0
	v_cmpx_lt_u32_e32 0x3c7fffff, v22
	s_xor_b32 s9, exec_lo, s9
; %bb.41:                               ;   in Loop: Header=BB6_33 Depth=1
	v_bfe_u32 v0, v1, 20, 1
	s_delay_alu instid0(VALU_DEP_1) | instskip(NEXT) | instid1(VALU_DEP_1)
	v_add3_u32 v0, v1, v0, 0x407ffff
	v_lshrrev_b32_e32 v0, 20, v0
; %bb.42:                               ;   in Loop: Header=BB6_33 Depth=1
	s_and_not1_saveexec_b32 s9, s9
; %bb.43:                               ;   in Loop: Header=BB6_33 Depth=1
	v_add_f32_e64 v0, 0x46800000, |v1|
; %bb.44:                               ;   in Loop: Header=BB6_33 Depth=1
	s_or_b32 exec_lo, exec_lo, s9
.LBB6_45:                               ;   in Loop: Header=BB6_33 Depth=1
	s_delay_alu instid0(SALU_CYCLE_1) | instskip(SKIP_3) | instid1(VALU_DEP_2)
	s_or_b32 exec_lo, exec_lo, s0
	v_div_scale_f32 v22, null, v8, v8, v2
	v_div_scale_f32 v25, vcc_lo, v2, v8, v2
	s_mov_b32 s0, exec_lo
	v_rcp_f32_e32 v23, v22
	s_waitcnt_depctr 0xfff
	v_fma_f32 v24, -v22, v23, 1.0
	s_delay_alu instid0(VALU_DEP_1) | instskip(NEXT) | instid1(VALU_DEP_1)
	v_fmac_f32_e32 v23, v24, v23
	v_mul_f32_e32 v24, v25, v23
	s_delay_alu instid0(VALU_DEP_1) | instskip(NEXT) | instid1(VALU_DEP_1)
	v_fma_f32 v26, -v22, v24, v25
	v_fmac_f32_e32 v24, v26, v23
	s_delay_alu instid0(VALU_DEP_1) | instskip(NEXT) | instid1(VALU_DEP_1)
	v_fma_f32 v22, -v22, v24, v25
	v_div_fmas_f32 v22, v22, v23, v24
	v_mov_b32_e32 v23, 0x7f
	s_delay_alu instid0(VALU_DEP_2) | instskip(NEXT) | instid1(VALU_DEP_1)
	v_div_fixup_f32 v2, v22, v8, v2
	v_maxmin_f32 v22, v2, v17, v18
	v_mov_b32_e32 v2, 0x7f
	s_delay_alu instid0(VALU_DEP_2) | instskip(NEXT) | instid1(VALU_DEP_1)
	v_and_b32_e32 v24, 0x7fffffff, v22
	v_cmpx_gt_u32_e32 0x43f00000, v24
	s_cbranch_execz .LBB6_51
; %bb.46:                               ;   in Loop: Header=BB6_33 Depth=1
	s_mov_b32 s9, exec_lo
                                        ; implicit-def: $vgpr23
	v_cmpx_lt_u32_e32 0x3c7fffff, v24
	s_xor_b32 s9, exec_lo, s9
; %bb.47:                               ;   in Loop: Header=BB6_33 Depth=1
	v_bfe_u32 v23, v22, 20, 1
	s_delay_alu instid0(VALU_DEP_1) | instskip(NEXT) | instid1(VALU_DEP_1)
	v_add3_u32 v23, v22, v23, 0x407ffff
	v_lshrrev_b32_e32 v23, 20, v23
; %bb.48:                               ;   in Loop: Header=BB6_33 Depth=1
	s_and_not1_saveexec_b32 s9, s9
; %bb.49:                               ;   in Loop: Header=BB6_33 Depth=1
	v_add_f32_e64 v23, 0x46800000, |v22|
; %bb.50:                               ;   in Loop: Header=BB6_33 Depth=1
	s_or_b32 exec_lo, exec_lo, s9
.LBB6_51:                               ;   in Loop: Header=BB6_33 Depth=1
	s_delay_alu instid0(SALU_CYCLE_1) | instskip(SKIP_2) | instid1(VALU_DEP_1)
	s_or_b32 exec_lo, exec_lo, s0
	v_div_scale_f32 v24, null, v8, v8, v3
	s_mov_b32 s0, exec_lo
	v_rcp_f32_e32 v25, v24
	s_waitcnt_depctr 0xfff
	v_fma_f32 v26, -v24, v25, 1.0
	s_delay_alu instid0(VALU_DEP_1) | instskip(SKIP_1) | instid1(VALU_DEP_1)
	v_fmac_f32_e32 v25, v26, v25
	v_div_scale_f32 v26, vcc_lo, v3, v8, v3
	v_mul_f32_e32 v27, v26, v25
	s_delay_alu instid0(VALU_DEP_1) | instskip(NEXT) | instid1(VALU_DEP_1)
	v_fma_f32 v28, -v24, v27, v26
	v_fmac_f32_e32 v27, v28, v25
	s_delay_alu instid0(VALU_DEP_1) | instskip(NEXT) | instid1(VALU_DEP_1)
	v_fma_f32 v24, -v24, v27, v26
	v_div_fmas_f32 v24, v24, v25, v27
	s_delay_alu instid0(VALU_DEP_1) | instskip(NEXT) | instid1(VALU_DEP_1)
	v_div_fixup_f32 v3, v24, v8, v3
	v_maxmin_f32 v3, v3, v17, v18
	s_delay_alu instid0(VALU_DEP_1) | instskip(NEXT) | instid1(VALU_DEP_1)
	v_and_b32_e32 v24, 0x7fffffff, v3
	v_cmpx_gt_u32_e32 0x43f00000, v24
	s_cbranch_execz .LBB6_32
; %bb.52:                               ;   in Loop: Header=BB6_33 Depth=1
	s_mov_b32 s9, exec_lo
                                        ; implicit-def: $vgpr2
	v_cmpx_lt_u32_e32 0x3c7fffff, v24
	s_xor_b32 s9, exec_lo, s9
; %bb.53:                               ;   in Loop: Header=BB6_33 Depth=1
	v_bfe_u32 v2, v3, 20, 1
	s_delay_alu instid0(VALU_DEP_1) | instskip(NEXT) | instid1(VALU_DEP_1)
	v_add3_u32 v2, v3, v2, 0x407ffff
	v_lshrrev_b32_e32 v2, 20, v2
; %bb.54:                               ;   in Loop: Header=BB6_33 Depth=1
	s_and_not1_saveexec_b32 s9, s9
	s_cbranch_execz .LBB6_31
; %bb.55:                               ;   in Loop: Header=BB6_33 Depth=1
	v_add_f32_e64 v2, 0x46800000, |v3|
	s_branch .LBB6_31
.LBB6_56:
	s_or_b32 exec_lo, exec_lo, s4
	v_lshl_add_u32 v2, v14, 2, v12
	s_mov_b32 s4, exec_lo
	s_delay_alu instid0(VALU_DEP_1)
	v_cmpx_lt_i32_e64 v2, v9
	s_cbranch_execz .LBB6_65
; %bb.57:
	v_lshlrev_b32_e32 v0, 2, v13
	v_lshlrev_b32_e32 v1, 4, v14
	s_mov_b32 s5, 0
	s_delay_alu instid0(VALU_DEP_1) | instskip(SKIP_4) | instid1(VALU_DEP_4)
	v_add3_u32 v0, v0, v1, v15
	v_add_co_u32 v1, vcc_lo, v10, v4
	v_add_co_ci_u32_e32 v3, vcc_lo, v11, v5, vcc_lo
	v_ashrrev_i32_e32 v4, 31, v2
	v_lshlrev_b32_e32 v5, 2, v12
	v_add_co_u32 v1, vcc_lo, v1, v2
	s_delay_alu instid0(VALU_DEP_3) | instskip(NEXT) | instid1(VALU_DEP_3)
	v_add_co_ci_u32_e32 v4, vcc_lo, v3, v4, vcc_lo
	v_add3_u32 v3, v0, v5, 0
	s_delay_alu instid0(VALU_DEP_3) | instskip(NEXT) | instid1(VALU_DEP_3)
	v_add_co_u32 v0, vcc_lo, s2, v1
	v_add_co_ci_u32_e32 v1, vcc_lo, s3, v4, vcc_lo
	v_max_f32_e64 v4, s6, s6
	v_max_f32_e64 v5, s7, s7
	s_branch .LBB6_60
.LBB6_58:                               ;   in Loop: Header=BB6_60 Depth=1
	s_or_b32 exec_lo, exec_lo, s9
.LBB6_59:                               ;   in Loop: Header=BB6_60 Depth=1
	s_delay_alu instid0(SALU_CYCLE_1) | instskip(SKIP_3) | instid1(VALU_DEP_3)
	s_or_b32 exec_lo, exec_lo, s0
	v_lshrrev_b32_e32 v6, 24, v6
	v_add_nc_u32_e32 v2, 16, v2
	v_add_nc_u32_e32 v3, 64, v3
	v_and_or_b32 v6, 0x80, v6, v7
	s_delay_alu instid0(VALU_DEP_3) | instskip(SKIP_2) | instid1(VALU_DEP_1)
	v_cmp_ge_i32_e32 vcc_lo, v2, v9
	global_store_b8 v[0:1], v6, off
	v_add_co_u32 v0, s0, v0, 16
	v_add_co_ci_u32_e64 v1, s0, 0, v1, s0
	s_or_b32 s5, vcc_lo, s5
	s_delay_alu instid0(SALU_CYCLE_1)
	s_and_not1_b32 exec_lo, exec_lo, s5
	s_cbranch_execz .LBB6_65
.LBB6_60:                               ; =>This Inner Loop Header: Depth=1
	ds_load_b32 v6, v3
	s_mov_b32 s0, exec_lo
	s_waitcnt lgkmcnt(0)
	v_div_scale_f32 v7, null, v8, v8, v6
	v_div_scale_f32 v12, vcc_lo, v6, v8, v6
	s_delay_alu instid0(VALU_DEP_2) | instskip(SKIP_2) | instid1(VALU_DEP_1)
	v_rcp_f32_e32 v10, v7
	s_waitcnt_depctr 0xfff
	v_fma_f32 v11, -v7, v10, 1.0
	v_fmac_f32_e32 v10, v11, v10
	s_delay_alu instid0(VALU_DEP_1) | instskip(NEXT) | instid1(VALU_DEP_1)
	v_mul_f32_e32 v11, v12, v10
	v_fma_f32 v13, -v7, v11, v12
	s_delay_alu instid0(VALU_DEP_1) | instskip(NEXT) | instid1(VALU_DEP_1)
	v_fmac_f32_e32 v11, v13, v10
	v_fma_f32 v7, -v7, v11, v12
	s_delay_alu instid0(VALU_DEP_1) | instskip(NEXT) | instid1(VALU_DEP_1)
	v_div_fmas_f32 v7, v7, v10, v11
	v_div_fixup_f32 v6, v7, v8, v6
	v_mov_b32_e32 v7, 0x7f
	s_delay_alu instid0(VALU_DEP_2) | instskip(NEXT) | instid1(VALU_DEP_1)
	v_maxmin_f32 v6, v6, v4, v5
	v_and_b32_e32 v10, 0x7fffffff, v6
	s_delay_alu instid0(VALU_DEP_1)
	v_cmpx_gt_u32_e32 0x43f00000, v10
	s_cbranch_execz .LBB6_59
; %bb.61:                               ;   in Loop: Header=BB6_60 Depth=1
	s_mov_b32 s9, exec_lo
                                        ; implicit-def: $vgpr7
	v_cmpx_lt_u32_e32 0x3c7fffff, v10
	s_xor_b32 s9, exec_lo, s9
; %bb.62:                               ;   in Loop: Header=BB6_60 Depth=1
	v_bfe_u32 v7, v6, 20, 1
	s_delay_alu instid0(VALU_DEP_1) | instskip(NEXT) | instid1(VALU_DEP_1)
	v_add3_u32 v7, v6, v7, 0x407ffff
	v_lshrrev_b32_e32 v7, 20, v7
; %bb.63:                               ;   in Loop: Header=BB6_60 Depth=1
	s_and_not1_saveexec_b32 s9, s9
	s_cbranch_execz .LBB6_58
; %bb.64:                               ;   in Loop: Header=BB6_60 Depth=1
	v_add_f32_e64 v7, 0x46800000, |v6|
	s_branch .LBB6_58
.LBB6_65:
	s_or_b32 exec_lo, exec_lo, s4
                                        ; implicit-def: $vgpr12
                                        ; implicit-def: $vgpr8
                                        ; implicit-def: $vgpr13
                                        ; implicit-def: $vgpr4_vgpr5
.LBB6_66:
	s_and_not1_saveexec_b32 s0, s1
	s_cbranch_execz .LBB6_94
; %bb.67:
	s_ashr_i32 s1, s8, 2
	s_mov_b32 s0, exec_lo
	v_cmpx_gt_i32_e64 s1, v12
	s_cbranch_execz .LBB6_94
; %bb.68:
	v_lshlrev_b32_e32 v0, 2, v12
	v_lshlrev_b32_e32 v1, 2, v13
	v_lshlrev_b32_e32 v2, 4, v12
	v_max_f32_e64 v7, s6, s6
	v_max_f32_e64 v9, s7, s7
	v_add_co_u32 v0, vcc_lo, v4, v0
	v_add_co_ci_u32_e32 v3, vcc_lo, 0, v5, vcc_lo
	v_add3_u32 v6, v1, v2, 0
	s_delay_alu instid0(VALU_DEP_3) | instskip(NEXT) | instid1(VALU_DEP_3)
	v_add_co_u32 v4, vcc_lo, s2, v0
	v_add_co_ci_u32_e32 v5, vcc_lo, s3, v3, vcc_lo
	s_mov_b32 s2, 0
	s_branch .LBB6_71
.LBB6_69:                               ;   in Loop: Header=BB6_71 Depth=1
	s_or_b32 exec_lo, exec_lo, s3
.LBB6_70:                               ;   in Loop: Header=BB6_71 Depth=1
	s_delay_alu instid0(SALU_CYCLE_1)
	s_or_b32 exec_lo, exec_lo, s0
	v_lshrrev_b32_e32 v13, 24, v13
	v_lshrrev_b32_e32 v1, 24, v1
	;; [unrolled: 1-line block ×3, first 2 shown]
	v_lshlrev_b32_e32 v2, 24, v2
	v_and_b32_e32 v3, 0x80000000, v3
	v_and_b32_e32 v13, 0x80, v13
	;; [unrolled: 1-line block ×4, first 2 shown]
	v_add_nc_u32_e32 v12, 16, v12
	v_add_nc_u32_e32 v6, 0x100, v6
	v_and_or_b32 v13, 0xff, v14, v13
	v_and_or_b32 v0, 0xff, v0, v1
	;; [unrolled: 1-line block ×3, first 2 shown]
	v_cmp_le_i32_e32 vcc_lo, s1, v12
	s_delay_alu instid0(VALU_DEP_4) | instskip(NEXT) | instid1(VALU_DEP_4)
	v_lshlrev_b32_e32 v1, 16, v13
	v_lshlrev_b32_e32 v0, 8, v0
	s_or_b32 s2, vcc_lo, s2
	s_delay_alu instid0(VALU_DEP_2) | instskip(NEXT) | instid1(VALU_DEP_1)
	v_or3_b32 v1, v3, v2, v1
	v_or3_b32 v0, v1, v0, v10
	global_store_b32 v[4:5], v0, off
	v_add_co_u32 v4, s0, v4, 64
	s_delay_alu instid0(VALU_DEP_1)
	v_add_co_ci_u32_e64 v5, s0, 0, v5, s0
	s_and_not1_b32 exec_lo, exec_lo, s2
	s_cbranch_execz .LBB6_94
.LBB6_71:                               ; =>This Inner Loop Header: Depth=1
	ds_load_b128 v[0:3], v6
	s_mov_b32 s0, exec_lo
	s_waitcnt lgkmcnt(0)
	v_div_scale_f32 v10, null, v8, v8, v0
	v_div_scale_f32 v14, vcc_lo, v0, v8, v0
	s_delay_alu instid0(VALU_DEP_2) | instskip(SKIP_2) | instid1(VALU_DEP_1)
	v_rcp_f32_e32 v11, v10
	s_waitcnt_depctr 0xfff
	v_fma_f32 v13, -v10, v11, 1.0
	v_fmac_f32_e32 v11, v13, v11
	s_delay_alu instid0(VALU_DEP_1) | instskip(NEXT) | instid1(VALU_DEP_1)
	v_mul_f32_e32 v13, v14, v11
	v_fma_f32 v15, -v10, v13, v14
	s_delay_alu instid0(VALU_DEP_1) | instskip(NEXT) | instid1(VALU_DEP_1)
	v_fmac_f32_e32 v13, v15, v11
	v_fma_f32 v10, -v10, v13, v14
	s_delay_alu instid0(VALU_DEP_1) | instskip(SKIP_1) | instid1(VALU_DEP_2)
	v_div_fmas_f32 v10, v10, v11, v13
	v_mov_b32_e32 v11, 0x7f
	v_div_fixup_f32 v0, v10, v8, v0
	s_delay_alu instid0(VALU_DEP_1) | instskip(SKIP_1) | instid1(VALU_DEP_2)
	v_maxmin_f32 v10, v0, v7, v9
	v_mov_b32_e32 v0, 0x7f
	v_and_b32_e32 v13, 0x7fffffff, v10
	s_delay_alu instid0(VALU_DEP_1)
	v_cmpx_gt_u32_e32 0x43f00000, v13
	s_cbranch_execz .LBB6_77
; %bb.72:                               ;   in Loop: Header=BB6_71 Depth=1
	s_mov_b32 s3, exec_lo
                                        ; implicit-def: $vgpr11
	v_cmpx_lt_u32_e32 0x3c7fffff, v13
	s_xor_b32 s3, exec_lo, s3
; %bb.73:                               ;   in Loop: Header=BB6_71 Depth=1
	v_bfe_u32 v11, v10, 20, 1
	s_delay_alu instid0(VALU_DEP_1) | instskip(NEXT) | instid1(VALU_DEP_1)
	v_add3_u32 v11, v10, v11, 0x407ffff
	v_lshrrev_b32_e32 v11, 20, v11
; %bb.74:                               ;   in Loop: Header=BB6_71 Depth=1
	s_and_not1_saveexec_b32 s3, s3
; %bb.75:                               ;   in Loop: Header=BB6_71 Depth=1
	v_add_f32_e64 v11, 0x46800000, |v10|
; %bb.76:                               ;   in Loop: Header=BB6_71 Depth=1
	s_or_b32 exec_lo, exec_lo, s3
.LBB6_77:                               ;   in Loop: Header=BB6_71 Depth=1
	s_delay_alu instid0(SALU_CYCLE_1) | instskip(SKIP_2) | instid1(VALU_DEP_1)
	s_or_b32 exec_lo, exec_lo, s0
	v_div_scale_f32 v13, null, v8, v8, v1
	s_mov_b32 s0, exec_lo
	v_rcp_f32_e32 v14, v13
	s_waitcnt_depctr 0xfff
	v_fma_f32 v15, -v13, v14, 1.0
	s_delay_alu instid0(VALU_DEP_1) | instskip(SKIP_1) | instid1(VALU_DEP_1)
	v_fmac_f32_e32 v14, v15, v14
	v_div_scale_f32 v15, vcc_lo, v1, v8, v1
	v_mul_f32_e32 v16, v15, v14
	s_delay_alu instid0(VALU_DEP_1) | instskip(NEXT) | instid1(VALU_DEP_1)
	v_fma_f32 v17, -v13, v16, v15
	v_fmac_f32_e32 v16, v17, v14
	s_delay_alu instid0(VALU_DEP_1) | instskip(NEXT) | instid1(VALU_DEP_1)
	v_fma_f32 v13, -v13, v16, v15
	v_div_fmas_f32 v13, v13, v14, v16
	s_delay_alu instid0(VALU_DEP_1) | instskip(NEXT) | instid1(VALU_DEP_1)
	v_div_fixup_f32 v1, v13, v8, v1
	v_maxmin_f32 v1, v1, v7, v9
	s_delay_alu instid0(VALU_DEP_1) | instskip(NEXT) | instid1(VALU_DEP_1)
	v_and_b32_e32 v13, 0x7fffffff, v1
	v_cmpx_gt_u32_e32 0x43f00000, v13
	s_cbranch_execz .LBB6_83
; %bb.78:                               ;   in Loop: Header=BB6_71 Depth=1
	s_mov_b32 s3, exec_lo
                                        ; implicit-def: $vgpr0
	v_cmpx_lt_u32_e32 0x3c7fffff, v13
	s_xor_b32 s3, exec_lo, s3
; %bb.79:                               ;   in Loop: Header=BB6_71 Depth=1
	v_bfe_u32 v0, v1, 20, 1
	s_delay_alu instid0(VALU_DEP_1) | instskip(NEXT) | instid1(VALU_DEP_1)
	v_add3_u32 v0, v1, v0, 0x407ffff
	v_lshrrev_b32_e32 v0, 20, v0
; %bb.80:                               ;   in Loop: Header=BB6_71 Depth=1
	s_and_not1_saveexec_b32 s3, s3
; %bb.81:                               ;   in Loop: Header=BB6_71 Depth=1
	v_add_f32_e64 v0, 0x46800000, |v1|
; %bb.82:                               ;   in Loop: Header=BB6_71 Depth=1
	s_or_b32 exec_lo, exec_lo, s3
.LBB6_83:                               ;   in Loop: Header=BB6_71 Depth=1
	s_delay_alu instid0(SALU_CYCLE_1) | instskip(SKIP_3) | instid1(VALU_DEP_2)
	s_or_b32 exec_lo, exec_lo, s0
	v_div_scale_f32 v13, null, v8, v8, v2
	v_div_scale_f32 v16, vcc_lo, v2, v8, v2
	s_mov_b32 s0, exec_lo
	v_rcp_f32_e32 v14, v13
	s_waitcnt_depctr 0xfff
	v_fma_f32 v15, -v13, v14, 1.0
	s_delay_alu instid0(VALU_DEP_1) | instskip(NEXT) | instid1(VALU_DEP_1)
	v_fmac_f32_e32 v14, v15, v14
	v_mul_f32_e32 v15, v16, v14
	s_delay_alu instid0(VALU_DEP_1) | instskip(NEXT) | instid1(VALU_DEP_1)
	v_fma_f32 v17, -v13, v15, v16
	v_fmac_f32_e32 v15, v17, v14
	s_delay_alu instid0(VALU_DEP_1) | instskip(NEXT) | instid1(VALU_DEP_1)
	v_fma_f32 v13, -v13, v15, v16
	v_div_fmas_f32 v13, v13, v14, v15
	v_mov_b32_e32 v14, 0x7f
	s_delay_alu instid0(VALU_DEP_2) | instskip(NEXT) | instid1(VALU_DEP_1)
	v_div_fixup_f32 v2, v13, v8, v2
	v_maxmin_f32 v13, v2, v7, v9
	v_mov_b32_e32 v2, 0x7f
	s_delay_alu instid0(VALU_DEP_2) | instskip(NEXT) | instid1(VALU_DEP_1)
	v_and_b32_e32 v15, 0x7fffffff, v13
	v_cmpx_gt_u32_e32 0x43f00000, v15
	s_cbranch_execz .LBB6_89
; %bb.84:                               ;   in Loop: Header=BB6_71 Depth=1
	s_mov_b32 s3, exec_lo
                                        ; implicit-def: $vgpr14
	v_cmpx_lt_u32_e32 0x3c7fffff, v15
	s_xor_b32 s3, exec_lo, s3
; %bb.85:                               ;   in Loop: Header=BB6_71 Depth=1
	v_bfe_u32 v14, v13, 20, 1
	s_delay_alu instid0(VALU_DEP_1) | instskip(NEXT) | instid1(VALU_DEP_1)
	v_add3_u32 v14, v13, v14, 0x407ffff
	v_lshrrev_b32_e32 v14, 20, v14
; %bb.86:                               ;   in Loop: Header=BB6_71 Depth=1
	s_and_not1_saveexec_b32 s3, s3
; %bb.87:                               ;   in Loop: Header=BB6_71 Depth=1
	v_add_f32_e64 v14, 0x46800000, |v13|
; %bb.88:                               ;   in Loop: Header=BB6_71 Depth=1
	s_or_b32 exec_lo, exec_lo, s3
.LBB6_89:                               ;   in Loop: Header=BB6_71 Depth=1
	s_delay_alu instid0(SALU_CYCLE_1) | instskip(SKIP_2) | instid1(VALU_DEP_1)
	s_or_b32 exec_lo, exec_lo, s0
	v_div_scale_f32 v15, null, v8, v8, v3
	s_mov_b32 s0, exec_lo
	v_rcp_f32_e32 v16, v15
	s_waitcnt_depctr 0xfff
	v_fma_f32 v17, -v15, v16, 1.0
	s_delay_alu instid0(VALU_DEP_1) | instskip(SKIP_1) | instid1(VALU_DEP_1)
	v_fmac_f32_e32 v16, v17, v16
	v_div_scale_f32 v17, vcc_lo, v3, v8, v3
	v_mul_f32_e32 v18, v17, v16
	s_delay_alu instid0(VALU_DEP_1) | instskip(NEXT) | instid1(VALU_DEP_1)
	v_fma_f32 v19, -v15, v18, v17
	v_fmac_f32_e32 v18, v19, v16
	s_delay_alu instid0(VALU_DEP_1) | instskip(NEXT) | instid1(VALU_DEP_1)
	v_fma_f32 v15, -v15, v18, v17
	v_div_fmas_f32 v15, v15, v16, v18
	s_delay_alu instid0(VALU_DEP_1) | instskip(NEXT) | instid1(VALU_DEP_1)
	v_div_fixup_f32 v3, v15, v8, v3
	v_maxmin_f32 v3, v3, v7, v9
	s_delay_alu instid0(VALU_DEP_1) | instskip(NEXT) | instid1(VALU_DEP_1)
	v_and_b32_e32 v15, 0x7fffffff, v3
	v_cmpx_gt_u32_e32 0x43f00000, v15
	s_cbranch_execz .LBB6_70
; %bb.90:                               ;   in Loop: Header=BB6_71 Depth=1
	s_mov_b32 s3, exec_lo
                                        ; implicit-def: $vgpr2
	v_cmpx_lt_u32_e32 0x3c7fffff, v15
	s_xor_b32 s3, exec_lo, s3
; %bb.91:                               ;   in Loop: Header=BB6_71 Depth=1
	v_bfe_u32 v2, v3, 20, 1
	s_delay_alu instid0(VALU_DEP_1) | instskip(NEXT) | instid1(VALU_DEP_1)
	v_add3_u32 v2, v3, v2, 0x407ffff
	v_lshrrev_b32_e32 v2, 20, v2
; %bb.92:                               ;   in Loop: Header=BB6_71 Depth=1
	s_and_not1_saveexec_b32 s3, s3
	s_cbranch_execz .LBB6_69
; %bb.93:                               ;   in Loop: Header=BB6_71 Depth=1
	v_add_f32_e64 v2, 0x46800000, |v3|
	s_branch .LBB6_69
.LBB6_94:
	s_nop 0
	s_sendmsg sendmsg(MSG_DEALLOC_VGPRS)
	s_endpgm
	.section	.rodata,"a",@progbits
	.p2align	6, 0x0
	.amdhsa_kernel _Z33per_token_group_quant_8bit_kernelIfN3c1013Float8_e4m3fnELb0ELb1EfEvPKT_PvPT3_iiifffii
		.amdhsa_group_segment_fixed_size 0
		.amdhsa_private_segment_fixed_size 0
		.amdhsa_kernarg_size 56
		.amdhsa_user_sgpr_count 15
		.amdhsa_user_sgpr_dispatch_ptr 0
		.amdhsa_user_sgpr_queue_ptr 0
		.amdhsa_user_sgpr_kernarg_segment_ptr 1
		.amdhsa_user_sgpr_dispatch_id 0
		.amdhsa_user_sgpr_private_segment_size 0
		.amdhsa_wavefront_size32 1
		.amdhsa_uses_dynamic_stack 0
		.amdhsa_enable_private_segment 0
		.amdhsa_system_sgpr_workgroup_id_x 1
		.amdhsa_system_sgpr_workgroup_id_y 0
		.amdhsa_system_sgpr_workgroup_id_z 0
		.amdhsa_system_sgpr_workgroup_info 0
		.amdhsa_system_vgpr_workitem_id 0
		.amdhsa_next_free_vgpr 29
		.amdhsa_next_free_sgpr 16
		.amdhsa_reserve_vcc 1
		.amdhsa_float_round_mode_32 0
		.amdhsa_float_round_mode_16_64 0
		.amdhsa_float_denorm_mode_32 3
		.amdhsa_float_denorm_mode_16_64 3
		.amdhsa_dx10_clamp 1
		.amdhsa_ieee_mode 1
		.amdhsa_fp16_overflow 0
		.amdhsa_workgroup_processor_mode 1
		.amdhsa_memory_ordered 1
		.amdhsa_forward_progress 0
		.amdhsa_shared_vgpr_count 0
		.amdhsa_exception_fp_ieee_invalid_op 0
		.amdhsa_exception_fp_denorm_src 0
		.amdhsa_exception_fp_ieee_div_zero 0
		.amdhsa_exception_fp_ieee_overflow 0
		.amdhsa_exception_fp_ieee_underflow 0
		.amdhsa_exception_fp_ieee_inexact 0
		.amdhsa_exception_int_div_zero 0
	.end_amdhsa_kernel
	.section	.text._Z33per_token_group_quant_8bit_kernelIfN3c1013Float8_e4m3fnELb0ELb1EfEvPKT_PvPT3_iiifffii,"axG",@progbits,_Z33per_token_group_quant_8bit_kernelIfN3c1013Float8_e4m3fnELb0ELb1EfEvPKT_PvPT3_iiifffii,comdat
.Lfunc_end6:
	.size	_Z33per_token_group_quant_8bit_kernelIfN3c1013Float8_e4m3fnELb0ELb1EfEvPKT_PvPT3_iiifffii, .Lfunc_end6-_Z33per_token_group_quant_8bit_kernelIfN3c1013Float8_e4m3fnELb0ELb1EfEvPKT_PvPT3_iiifffii
                                        ; -- End function
	.section	.AMDGPU.csdata,"",@progbits
; Kernel info:
; codeLenInByte = 4636
; NumSgprs: 18
; NumVgprs: 29
; ScratchSize: 0
; MemoryBound: 0
; FloatMode: 240
; IeeeMode: 1
; LDSByteSize: 0 bytes/workgroup (compile time only)
; SGPRBlocks: 2
; VGPRBlocks: 3
; NumSGPRsForWavesPerEU: 18
; NumVGPRsForWavesPerEU: 29
; Occupancy: 16
; WaveLimiterHint : 0
; COMPUTE_PGM_RSRC2:SCRATCH_EN: 0
; COMPUTE_PGM_RSRC2:USER_SGPR: 15
; COMPUTE_PGM_RSRC2:TRAP_HANDLER: 0
; COMPUTE_PGM_RSRC2:TGID_X_EN: 1
; COMPUTE_PGM_RSRC2:TGID_Y_EN: 0
; COMPUTE_PGM_RSRC2:TGID_Z_EN: 0
; COMPUTE_PGM_RSRC2:TIDIG_COMP_CNT: 0
	.section	.text._Z33per_token_group_quant_8bit_kernelIfN3c1013Float8_e4m3fnELb0ELb0EfEvPKT_PvPT3_iiifffii,"axG",@progbits,_Z33per_token_group_quant_8bit_kernelIfN3c1013Float8_e4m3fnELb0ELb0EfEvPKT_PvPT3_iiifffii,comdat
	.protected	_Z33per_token_group_quant_8bit_kernelIfN3c1013Float8_e4m3fnELb0ELb0EfEvPKT_PvPT3_iiifffii ; -- Begin function _Z33per_token_group_quant_8bit_kernelIfN3c1013Float8_e4m3fnELb0ELb0EfEvPKT_PvPT3_iiifffii
	.globl	_Z33per_token_group_quant_8bit_kernelIfN3c1013Float8_e4m3fnELb0ELb0EfEvPKT_PvPT3_iiifffii
	.p2align	8
	.type	_Z33per_token_group_quant_8bit_kernelIfN3c1013Float8_e4m3fnELb0ELb0EfEvPKT_PvPT3_iiifffii,@function
_Z33per_token_group_quant_8bit_kernelIfN3c1013Float8_e4m3fnELb0ELb0EfEvPKT_PvPT3_iiifffii: ; @_Z33per_token_group_quant_8bit_kernelIfN3c1013Float8_e4m3fnELb0ELb0EfEvPKT_PvPT3_iiifffii
; %bb.0:
	s_clause 0x1
	s_load_b128 s[4:7], s[0:1], 0x20
	s_load_b32 s8, s[0:1], 0x18
	v_lshrrev_b32_e32 v3, 4, v0
	v_and_b32_e32 v12, 15, v0
	s_waitcnt lgkmcnt(0)
	s_mul_i32 s15, s15, s4
	s_ashr_i32 s4, s8, 31
	v_add_co_u32 v1, s2, s15, v3
	s_delay_alu instid0(VALU_DEP_1) | instskip(SKIP_1) | instid1(VALU_DEP_2)
	v_add_co_ci_u32_e64 v2, null, 0, 0, s2
	s_load_b64 s[2:3], s[0:1], 0x0
	v_mul_lo_u32 v7, v1, s4
	v_mad_u64_u32 v[4:5], null, v1, s8, 0
	s_delay_alu instid0(VALU_DEP_3) | instskip(SKIP_2) | instid1(SALU_CYCLE_1)
	v_mul_lo_u32 v6, v2, s8
	v_mul_lo_u32 v13, v3, s8
	s_and_b32 s9, s8, 3
                                        ; implicit-def: $vgpr3
	s_cmp_eq_u32 s9, 0
	s_cselect_b32 s4, -1, 0
	s_cmp_lg_u32 s9, 0
	s_delay_alu instid0(VALU_DEP_2) | instskip(NEXT) | instid1(VALU_DEP_2)
	v_add3_u32 v5, v5, v7, v6
	v_lshl_add_u32 v0, v13, 2, 0
	s_cselect_b32 s9, -1, 0
	s_delay_alu instid0(VALU_DEP_2) | instskip(SKIP_1) | instid1(VALU_DEP_1)
	v_lshlrev_b64 v[6:7], 2, v[4:5]
	s_waitcnt lgkmcnt(0)
	v_add_co_u32 v8, vcc_lo, s2, v6
	v_mov_b32_e32 v11, 0
	s_delay_alu instid0(VALU_DEP_3) | instskip(NEXT) | instid1(VALU_DEP_3)
	v_add_co_ci_u32_e32 v9, vcc_lo, s3, v7, vcc_lo
	v_and_b32_e32 v10, 15, v8
	s_delay_alu instid0(VALU_DEP_1) | instskip(SKIP_1) | instid1(SALU_CYCLE_1)
	v_cmp_ne_u64_e32 vcc_lo, 0, v[10:11]
	s_or_b32 s9, s9, vcc_lo
	s_and_saveexec_b32 s10, s9
	s_delay_alu instid0(SALU_CYCLE_1)
	s_xor_b32 s9, exec_lo, s10
	s_cbranch_execz .LBB7_12
; %bb.1:
	v_sub_nc_u32_e32 v3, 0, v8
	s_mov_b32 s10, exec_lo
	s_delay_alu instid0(VALU_DEP_1) | instskip(NEXT) | instid1(VALU_DEP_1)
	v_bfe_u32 v3, v3, 2, 2
	v_min_i32_e32 v10, s8, v3
	v_mov_b32_e32 v3, s5
	s_delay_alu instid0(VALU_DEP_2)
	v_cmpx_gt_i32_e64 v10, v12
	s_cbranch_execz .LBB7_3
; %bb.2:
	v_lshlrev_b32_e32 v3, 2, v12
	v_max_f32_e64 v11, s5, s5
	s_delay_alu instid0(VALU_DEP_2) | instskip(SKIP_4) | instid1(VALU_DEP_1)
	v_add_co_u32 v8, vcc_lo, v8, v3
	v_add_co_ci_u32_e32 v9, vcc_lo, 0, v9, vcc_lo
	global_load_b32 v8, v[8:9], off
	s_waitcnt vmcnt(0)
	v_max_f32_e64 v9, |v8|, |v8|
	v_dual_max_f32 v3, v11, v9 :: v_dual_add_nc_u32 v14, v0, v3
	ds_store_b32 v14, v8
.LBB7_3:
	s_or_b32 exec_lo, exec_lo, s10
	v_sub_nc_u32_e32 v14, s8, v10
	v_ashrrev_i32_e32 v11, 31, v10
	v_lshlrev_b32_e32 v15, 2, v10
	s_mov_b32 s10, exec_lo
	s_delay_alu instid0(VALU_DEP_3) | instskip(NEXT) | instid1(VALU_DEP_1)
	v_ashrrev_i32_e32 v8, 31, v14
	v_lshrrev_b32_e32 v8, 30, v8
	s_delay_alu instid0(VALU_DEP_1) | instskip(NEXT) | instid1(VALU_DEP_1)
	v_add_nc_u32_e32 v8, v14, v8
	v_ashrrev_i32_e32 v16, 2, v8
	v_lshlrev_b64 v[8:9], 2, v[10:11]
	s_delay_alu instid0(VALU_DEP_2)
	v_cmpx_gt_i32_e64 v16, v12
	s_cbranch_execz .LBB7_7
; %bb.4:
	v_lshlrev_b32_e32 v10, 4, v12
	s_mov_b32 s11, 0
	s_delay_alu instid0(VALU_DEP_1) | instskip(SKIP_2) | instid1(VALU_DEP_3)
	v_add_co_u32 v11, vcc_lo, v6, v10
	v_add_co_ci_u32_e32 v17, vcc_lo, 0, v7, vcc_lo
	v_lshl_add_u32 v10, v13, 2, v10
	v_add_co_u32 v11, vcc_lo, v11, v8
	s_delay_alu instid0(VALU_DEP_3) | instskip(NEXT) | instid1(VALU_DEP_2)
	v_add_co_ci_u32_e32 v17, vcc_lo, v17, v9, vcc_lo
	v_add_co_u32 v11, vcc_lo, v11, s2
	s_delay_alu instid0(VALU_DEP_2) | instskip(SKIP_1) | instid1(VALU_DEP_3)
	v_add_co_ci_u32_e32 v18, vcc_lo, s3, v17, vcc_lo
	v_add3_u32 v17, v10, v15, 0
	v_add_co_u32 v10, vcc_lo, v11, 8
	s_delay_alu instid0(VALU_DEP_3)
	v_add_co_ci_u32_e32 v11, vcc_lo, 0, v18, vcc_lo
	v_mov_b32_e32 v18, v12
	.p2align	6
.LBB7_5:                                ; =>This Inner Loop Header: Depth=1
	global_load_b128 v[19:22], v[10:11], off offset:-8
	v_add_nc_u32_e32 v18, 16, v18
	v_add_co_u32 v10, vcc_lo, 0x100, v10
	v_add_co_ci_u32_e32 v11, vcc_lo, 0, v11, vcc_lo
	s_delay_alu instid0(VALU_DEP_3)
	v_cmp_ge_i32_e32 vcc_lo, v18, v16
	s_or_b32 s11, vcc_lo, s11
	s_waitcnt vmcnt(0)
	v_max3_f32 v3, v3, |v19|, |v20|
	ds_store_b128 v17, v[19:22]
	v_add_nc_u32_e32 v17, 0x100, v17
	v_max3_f32 v3, v3, |v21|, |v22|
	s_and_not1_b32 exec_lo, exec_lo, s11
	s_cbranch_execnz .LBB7_5
; %bb.6:
	s_or_b32 exec_lo, exec_lo, s11
.LBB7_7:
	s_delay_alu instid0(SALU_CYCLE_1) | instskip(SKIP_2) | instid1(VALU_DEP_1)
	s_or_b32 exec_lo, exec_lo, s10
	v_lshl_add_u32 v10, v16, 2, v12
	s_mov_b32 s10, exec_lo
	v_cmpx_lt_i32_e64 v10, v14
	s_cbranch_execz .LBB7_11
; %bb.8:
	v_ashrrev_i32_e32 v11, 31, v10
	v_lshlrev_b32_e32 v19, 4, v16
	v_add_co_u32 v6, vcc_lo, v6, v8
	v_lshlrev_b32_e32 v18, 2, v13
	s_delay_alu instid0(VALU_DEP_4) | instskip(SKIP_2) | instid1(VALU_DEP_4)
	v_lshlrev_b64 v[16:17], 2, v[10:11]
	v_add_co_ci_u32_e32 v7, vcc_lo, v7, v9, vcc_lo
	v_lshlrev_b32_e32 v20, 2, v12
	v_add3_u32 v8, v18, v19, v15
	s_mov_b32 s11, 0
	s_delay_alu instid0(VALU_DEP_4) | instskip(SKIP_1) | instid1(VALU_DEP_3)
	v_add_co_u32 v6, vcc_lo, v6, v16
	v_add_co_ci_u32_e32 v7, vcc_lo, v7, v17, vcc_lo
	v_add3_u32 v8, v8, v20, 0
	s_delay_alu instid0(VALU_DEP_3) | instskip(NEXT) | instid1(VALU_DEP_3)
	v_add_co_u32 v6, vcc_lo, s2, v6
	v_add_co_ci_u32_e32 v7, vcc_lo, s3, v7, vcc_lo
	.p2align	6
.LBB7_9:                                ; =>This Inner Loop Header: Depth=1
	global_load_b32 v9, v[6:7], off
	v_dual_max_f32 v3, v3, v3 :: v_dual_add_nc_u32 v10, 16, v10
	v_add_co_u32 v6, vcc_lo, v6, 64
	v_add_co_ci_u32_e32 v7, vcc_lo, 0, v7, vcc_lo
	s_delay_alu instid0(VALU_DEP_3)
	v_cmp_ge_i32_e32 vcc_lo, v10, v14
	s_or_b32 s11, vcc_lo, s11
	s_waitcnt vmcnt(0)
	v_max_f32_e64 v11, |v9|, |v9|
	ds_store_b32 v8, v9
	v_dual_max_f32 v3, v3, v11 :: v_dual_add_nc_u32 v8, 64, v8
	s_and_not1_b32 exec_lo, exec_lo, s11
	s_cbranch_execnz .LBB7_9
; %bb.10:
	s_or_b32 exec_lo, exec_lo, s11
.LBB7_11:
	s_delay_alu instid0(SALU_CYCLE_1)
	s_or_b32 exec_lo, exec_lo, s10
                                        ; implicit-def: $vgpr6_vgpr7
.LBB7_12:
	s_and_not1_saveexec_b32 s9, s9
	s_cbranch_execz .LBB7_18
; %bb.13:
	v_mov_b32_e32 v3, s5
	s_ashr_i32 s11, s8, 2
	s_mov_b32 s10, exec_lo
	v_cmpx_gt_i32_e64 s11, v12
	s_cbranch_execz .LBB7_17
; %bb.14:
	v_dual_mov_b32 v3, s5 :: v_dual_lshlrev_b32 v8, 4, v12
	v_lshlrev_b32_e32 v9, 2, v13
	s_delay_alu instid0(VALU_DEP_2) | instskip(SKIP_1) | instid1(VALU_DEP_3)
	v_add_co_u32 v6, vcc_lo, v6, v8
	v_add_co_ci_u32_e32 v7, vcc_lo, 0, v7, vcc_lo
	v_add3_u32 v8, v9, v8, 0
	s_delay_alu instid0(VALU_DEP_3) | instskip(NEXT) | instid1(VALU_DEP_3)
	v_add_co_u32 v6, vcc_lo, v6, s2
	v_add_co_ci_u32_e32 v7, vcc_lo, s3, v7, vcc_lo
	v_mov_b32_e32 v9, v12
	s_delay_alu instid0(VALU_DEP_3) | instskip(NEXT) | instid1(VALU_DEP_3)
	v_add_co_u32 v6, vcc_lo, v6, 8
	v_add_co_ci_u32_e32 v7, vcc_lo, 0, v7, vcc_lo
	s_mov_b32 s2, 0
	.p2align	6
.LBB7_15:                               ; =>This Inner Loop Header: Depth=1
	global_load_b128 v[14:17], v[6:7], off offset:-8
	v_add_nc_u32_e32 v9, 16, v9
	v_add_co_u32 v6, vcc_lo, 0x100, v6
	v_add_co_ci_u32_e32 v7, vcc_lo, 0, v7, vcc_lo
	s_delay_alu instid0(VALU_DEP_3)
	v_cmp_le_i32_e32 vcc_lo, s11, v9
	s_or_b32 s2, vcc_lo, s2
	s_waitcnt vmcnt(0)
	v_max3_f32 v3, v3, |v14|, |v15|
	ds_store_b128 v8, v[14:17]
	v_add_nc_u32_e32 v8, 0x100, v8
	v_max3_f32 v3, v3, |v16|, |v17|
	s_and_not1_b32 exec_lo, exec_lo, s2
	s_cbranch_execnz .LBB7_15
; %bb.16:
	s_or_b32 exec_lo, exec_lo, s2
.LBB7_17:
	s_delay_alu instid0(SALU_CYCLE_1)
	s_or_b32 exec_lo, exec_lo, s10
.LBB7_18:
	s_delay_alu instid0(SALU_CYCLE_1) | instskip(SKIP_3) | instid1(VALU_DEP_1)
	s_or_b32 exec_lo, exec_lo, s9
	v_mbcnt_lo_u32_b32 v6, -1, 0
	s_load_b64 s[2:3], s[0:1], 0x8
	s_mov_b32 s5, exec_lo
	v_xor_b32_e32 v8, 8, v6
	v_and_b32_e32 v7, 16, v6
	v_xor_b32_e32 v9, 4, v6
	s_delay_alu instid0(VALU_DEP_2) | instskip(NEXT) | instid1(VALU_DEP_1)
	v_add_nc_u32_e32 v7, 16, v7
	v_cmp_lt_i32_e32 vcc_lo, v8, v7
	v_cndmask_b32_e32 v8, v6, v8, vcc_lo
	s_delay_alu instid0(VALU_DEP_1) | instskip(SKIP_4) | instid1(VALU_DEP_2)
	v_lshlrev_b32_e32 v8, 2, v8
	ds_bpermute_b32 v8, v8, v3
	s_waitcnt lgkmcnt(0)
	v_dual_max_f32 v3, v3, v3 :: v_dual_max_f32 v8, v8, v8
	v_cmp_lt_i32_e32 vcc_lo, v9, v7
	v_max_f32_e32 v3, v3, v8
	v_cndmask_b32_e32 v9, v6, v9, vcc_lo
	s_delay_alu instid0(VALU_DEP_1) | instskip(SKIP_2) | instid1(VALU_DEP_1)
	v_lshlrev_b32_e32 v9, 2, v9
	ds_bpermute_b32 v8, v9, v3
	v_xor_b32_e32 v9, 2, v6
	v_cmp_lt_i32_e32 vcc_lo, v9, v7
	v_cndmask_b32_e32 v9, v6, v9, vcc_lo
	s_waitcnt lgkmcnt(0)
	s_delay_alu instid0(VALU_DEP_1) | instskip(NEXT) | instid1(VALU_DEP_1)
	v_dual_max_f32 v8, v8, v8 :: v_dual_lshlrev_b32 v9, 2, v9
	v_max_f32_e32 v3, v3, v8
	ds_bpermute_b32 v8, v9, v3
	v_xor_b32_e32 v9, 1, v6
	s_delay_alu instid0(VALU_DEP_1) | instskip(SKIP_2) | instid1(VALU_DEP_1)
	v_cmp_lt_i32_e32 vcc_lo, v9, v7
	v_cndmask_b32_e32 v6, v6, v9, vcc_lo
	s_waitcnt lgkmcnt(0)
	v_dual_max_f32 v7, v8, v8 :: v_dual_lshlrev_b32 v6, 2, v6
	s_delay_alu instid0(VALU_DEP_1) | instskip(SKIP_3) | instid1(VALU_DEP_1)
	v_max_f32_e32 v3, v3, v7
	ds_bpermute_b32 v6, v6, v3
	s_waitcnt lgkmcnt(0)
	v_max_f32_e32 v6, v6, v6
	v_max_f32_e32 v3, v3, v6
	s_delay_alu instid0(VALU_DEP_1) | instskip(SKIP_1) | instid1(VALU_DEP_2)
	v_div_scale_f32 v6, null, s7, s7, v3
	v_div_scale_f32 v9, vcc_lo, v3, s7, v3
	v_rcp_f32_e32 v7, v6
	s_waitcnt_depctr 0xfff
	v_fma_f32 v8, -v6, v7, 1.0
	s_delay_alu instid0(VALU_DEP_1) | instskip(NEXT) | instid1(VALU_DEP_1)
	v_fmac_f32_e32 v7, v8, v7
	v_mul_f32_e32 v8, v9, v7
	s_delay_alu instid0(VALU_DEP_1) | instskip(NEXT) | instid1(VALU_DEP_1)
	v_fma_f32 v10, -v6, v8, v9
	v_fmac_f32_e32 v8, v10, v7
	s_delay_alu instid0(VALU_DEP_1) | instskip(NEXT) | instid1(VALU_DEP_1)
	v_fma_f32 v6, -v6, v8, v9
	v_div_fmas_f32 v6, v6, v7, v8
	s_delay_alu instid0(VALU_DEP_1)
	v_div_fixup_f32 v8, v6, s7, v3
	v_cmpx_eq_u32_e32 0, v12
	s_cbranch_execz .LBB7_20
; %bb.19:
	s_load_b64 s[0:1], s[0:1], 0x10
	v_lshlrev_b64 v[1:2], 2, v[1:2]
	s_waitcnt lgkmcnt(0)
	s_delay_alu instid0(VALU_DEP_1) | instskip(NEXT) | instid1(VALU_DEP_2)
	v_add_co_u32 v1, vcc_lo, s0, v1
	v_add_co_ci_u32_e32 v2, vcc_lo, s1, v2, vcc_lo
	global_store_b32 v[1:2], v8, off
.LBB7_20:
	s_or_b32 exec_lo, exec_lo, s5
	v_dual_mov_b32 v2, 0 :: v_dual_and_b32 v1, 15, v0
	s_xor_b32 s0, s4, -1
	s_waitcnt_vscnt null, 0x0
	s_barrier
	buffer_gl0_inv
	v_cmp_ne_u64_e32 vcc_lo, 0, v[1:2]
	s_or_b32 s0, s0, vcc_lo
	s_delay_alu instid0(SALU_CYCLE_1) | instskip(NEXT) | instid1(SALU_CYCLE_1)
	s_and_saveexec_b32 s1, s0
	s_xor_b32 s1, exec_lo, s1
	s_cbranch_execz .LBB7_66
; %bb.21:
	v_sub_nc_u32_e32 v1, 0, v0
	s_mov_b32 s0, exec_lo
	s_delay_alu instid0(VALU_DEP_1) | instskip(NEXT) | instid1(VALU_DEP_1)
	v_bfe_u32 v1, v1, 2, 2
	v_min_i32_e32 v10, s8, v1
	s_delay_alu instid0(VALU_DEP_1)
	v_cmpx_gt_i32_e64 v10, v12
	s_cbranch_execz .LBB7_29
; %bb.22:
	v_lshl_add_u32 v0, v12, 2, v0
	s_mov_b32 s4, exec_lo
	ds_load_b32 v0, v0
	s_waitcnt lgkmcnt(0)
	v_div_scale_f32 v1, null, v8, v8, v0
	v_div_scale_f32 v6, vcc_lo, v0, v8, v0
	s_delay_alu instid0(VALU_DEP_2) | instskip(SKIP_2) | instid1(VALU_DEP_1)
	v_rcp_f32_e32 v2, v1
	s_waitcnt_depctr 0xfff
	v_fma_f32 v3, -v1, v2, 1.0
	v_fmac_f32_e32 v2, v3, v2
	s_delay_alu instid0(VALU_DEP_1) | instskip(NEXT) | instid1(VALU_DEP_1)
	v_mul_f32_e32 v3, v6, v2
	v_fma_f32 v7, -v1, v3, v6
	s_delay_alu instid0(VALU_DEP_1) | instskip(NEXT) | instid1(VALU_DEP_1)
	v_fmac_f32_e32 v3, v7, v2
	v_fma_f32 v1, -v1, v3, v6
	s_delay_alu instid0(VALU_DEP_1) | instskip(SKIP_2) | instid1(VALU_DEP_3)
	v_div_fmas_f32 v1, v1, v2, v3
	v_max_f32_e64 v2, s6, s6
	v_max_f32_e64 v3, s7, s7
	v_div_fixup_f32 v0, v1, v8, v0
	v_mov_b32_e32 v1, 0x7f
	s_delay_alu instid0(VALU_DEP_2) | instskip(NEXT) | instid1(VALU_DEP_1)
	v_maxmin_f32 v0, v0, v2, v3
	v_and_b32_e32 v2, 0x7fffffff, v0
	s_delay_alu instid0(VALU_DEP_1)
	v_cmpx_gt_u32_e32 0x43f00000, v2
	s_cbranch_execz .LBB7_28
; %bb.23:
	s_mov_b32 s5, exec_lo
                                        ; implicit-def: $vgpr1
	v_cmpx_lt_u32_e32 0x3c7fffff, v2
	s_xor_b32 s5, exec_lo, s5
; %bb.24:
	v_bfe_u32 v1, v0, 20, 1
	s_delay_alu instid0(VALU_DEP_1) | instskip(NEXT) | instid1(VALU_DEP_1)
	v_add3_u32 v1, v0, v1, 0x407ffff
	v_lshrrev_b32_e32 v1, 20, v1
; %bb.25:
	s_and_not1_saveexec_b32 s5, s5
; %bb.26:
	v_add_f32_e64 v1, 0x46800000, |v0|
; %bb.27:
	s_or_b32 exec_lo, exec_lo, s5
.LBB7_28:
	s_delay_alu instid0(SALU_CYCLE_1) | instskip(SKIP_3) | instid1(VALU_DEP_3)
	s_or_b32 exec_lo, exec_lo, s4
	v_add_co_u32 v2, vcc_lo, s2, v4
	v_add_co_ci_u32_e32 v3, vcc_lo, s3, v5, vcc_lo
	v_lshrrev_b32_e32 v0, 24, v0
	v_add_co_u32 v2, vcc_lo, v2, v12
	s_delay_alu instid0(VALU_DEP_3) | instskip(NEXT) | instid1(VALU_DEP_3)
	v_add_co_ci_u32_e32 v3, vcc_lo, 0, v3, vcc_lo
	v_and_or_b32 v0, 0x80, v0, v1
	global_store_b8 v[2:3], v0, off
.LBB7_29:
	s_or_b32 exec_lo, exec_lo, s0
	v_sub_nc_u32_e32 v9, s8, v10
	v_ashrrev_i32_e32 v11, 31, v10
	v_lshlrev_b32_e32 v15, 2, v10
	s_mov_b32 s4, exec_lo
	s_delay_alu instid0(VALU_DEP_3) | instskip(NEXT) | instid1(VALU_DEP_1)
	v_ashrrev_i32_e32 v0, 31, v9
	v_lshrrev_b32_e32 v0, 30, v0
	s_delay_alu instid0(VALU_DEP_1) | instskip(NEXT) | instid1(VALU_DEP_1)
	v_add_nc_u32_e32 v0, v9, v0
	v_ashrrev_i32_e32 v14, 2, v0
	s_delay_alu instid0(VALU_DEP_1)
	v_cmpx_gt_i32_e64 v14, v12
	s_cbranch_execz .LBB7_56
; %bb.30:
	v_lshlrev_b32_e32 v1, 2, v12
	v_add_co_u32 v2, vcc_lo, v10, v4
	v_dual_mov_b32 v19, v12 :: v_dual_lshlrev_b32 v0, 4, v12
	v_add_co_ci_u32_e32 v3, vcc_lo, v11, v5, vcc_lo
	s_delay_alu instid0(VALU_DEP_3) | instskip(NEXT) | instid1(VALU_DEP_3)
	v_add_co_u32 v1, vcc_lo, v2, v1
	v_lshl_add_u32 v0, v13, 2, v0
	s_delay_alu instid0(VALU_DEP_3) | instskip(NEXT) | instid1(VALU_DEP_3)
	v_add_co_ci_u32_e32 v2, vcc_lo, 0, v3, vcc_lo
	v_add_co_u32 v6, vcc_lo, s2, v1
	s_delay_alu instid0(VALU_DEP_3) | instskip(NEXT) | instid1(VALU_DEP_3)
	v_add3_u32 v16, v0, v15, 0
	v_add_co_ci_u32_e32 v7, vcc_lo, s3, v2, vcc_lo
	v_max_f32_e64 v17, s6, s6
	v_max_f32_e64 v18, s7, s7
	s_mov_b32 s5, 0
	s_branch .LBB7_33
.LBB7_31:                               ;   in Loop: Header=BB7_33 Depth=1
	s_or_b32 exec_lo, exec_lo, s9
.LBB7_32:                               ;   in Loop: Header=BB7_33 Depth=1
	s_delay_alu instid0(SALU_CYCLE_1)
	s_or_b32 exec_lo, exec_lo, s0
	v_lshrrev_b32_e32 v22, 24, v22
	v_lshrrev_b32_e32 v1, 24, v1
	;; [unrolled: 1-line block ×3, first 2 shown]
	v_lshlrev_b32_e32 v2, 24, v2
	v_and_b32_e32 v3, 0x80000000, v3
	v_and_b32_e32 v22, 0x80, v22
	;; [unrolled: 1-line block ×4, first 2 shown]
	v_add_nc_u32_e32 v19, 16, v19
	v_add_nc_u32_e32 v16, 0x100, v16
	v_and_or_b32 v22, 0xff, v23, v22
	v_and_or_b32 v0, 0xff, v0, v1
	;; [unrolled: 1-line block ×3, first 2 shown]
	v_cmp_ge_i32_e32 vcc_lo, v19, v14
	s_delay_alu instid0(VALU_DEP_4) | instskip(NEXT) | instid1(VALU_DEP_4)
	v_lshlrev_b32_e32 v1, 16, v22
	v_lshlrev_b32_e32 v0, 8, v0
	s_or_b32 s5, vcc_lo, s5
	s_delay_alu instid0(VALU_DEP_2) | instskip(NEXT) | instid1(VALU_DEP_1)
	v_or3_b32 v1, v3, v2, v1
	v_or3_b32 v0, v1, v0, v20
	global_store_b32 v[6:7], v0, off
	v_add_co_u32 v6, s0, v6, 64
	s_delay_alu instid0(VALU_DEP_1)
	v_add_co_ci_u32_e64 v7, s0, 0, v7, s0
	s_and_not1_b32 exec_lo, exec_lo, s5
	s_cbranch_execz .LBB7_56
.LBB7_33:                               ; =>This Inner Loop Header: Depth=1
	ds_load_b128 v[0:3], v16
	s_mov_b32 s0, exec_lo
	s_waitcnt lgkmcnt(0)
	v_div_scale_f32 v20, null, v8, v8, v0
	v_div_scale_f32 v23, vcc_lo, v0, v8, v0
	s_delay_alu instid0(VALU_DEP_2) | instskip(SKIP_2) | instid1(VALU_DEP_1)
	v_rcp_f32_e32 v21, v20
	s_waitcnt_depctr 0xfff
	v_fma_f32 v22, -v20, v21, 1.0
	v_fmac_f32_e32 v21, v22, v21
	s_delay_alu instid0(VALU_DEP_1) | instskip(NEXT) | instid1(VALU_DEP_1)
	v_mul_f32_e32 v22, v23, v21
	v_fma_f32 v24, -v20, v22, v23
	s_delay_alu instid0(VALU_DEP_1) | instskip(NEXT) | instid1(VALU_DEP_1)
	v_fmac_f32_e32 v22, v24, v21
	v_fma_f32 v20, -v20, v22, v23
	s_delay_alu instid0(VALU_DEP_1) | instskip(SKIP_1) | instid1(VALU_DEP_2)
	v_div_fmas_f32 v20, v20, v21, v22
	v_mov_b32_e32 v21, 0x7f
	v_div_fixup_f32 v0, v20, v8, v0
	s_delay_alu instid0(VALU_DEP_1) | instskip(SKIP_1) | instid1(VALU_DEP_2)
	v_maxmin_f32 v20, v0, v17, v18
	v_mov_b32_e32 v0, 0x7f
	v_and_b32_e32 v22, 0x7fffffff, v20
	s_delay_alu instid0(VALU_DEP_1)
	v_cmpx_gt_u32_e32 0x43f00000, v22
	s_cbranch_execz .LBB7_39
; %bb.34:                               ;   in Loop: Header=BB7_33 Depth=1
	s_mov_b32 s9, exec_lo
                                        ; implicit-def: $vgpr21
	v_cmpx_lt_u32_e32 0x3c7fffff, v22
	s_xor_b32 s9, exec_lo, s9
; %bb.35:                               ;   in Loop: Header=BB7_33 Depth=1
	v_bfe_u32 v21, v20, 20, 1
	s_delay_alu instid0(VALU_DEP_1) | instskip(NEXT) | instid1(VALU_DEP_1)
	v_add3_u32 v21, v20, v21, 0x407ffff
	v_lshrrev_b32_e32 v21, 20, v21
; %bb.36:                               ;   in Loop: Header=BB7_33 Depth=1
	s_and_not1_saveexec_b32 s9, s9
; %bb.37:                               ;   in Loop: Header=BB7_33 Depth=1
	v_add_f32_e64 v21, 0x46800000, |v20|
; %bb.38:                               ;   in Loop: Header=BB7_33 Depth=1
	s_or_b32 exec_lo, exec_lo, s9
.LBB7_39:                               ;   in Loop: Header=BB7_33 Depth=1
	s_delay_alu instid0(SALU_CYCLE_1) | instskip(SKIP_2) | instid1(VALU_DEP_1)
	s_or_b32 exec_lo, exec_lo, s0
	v_div_scale_f32 v22, null, v8, v8, v1
	s_mov_b32 s0, exec_lo
	v_rcp_f32_e32 v23, v22
	s_waitcnt_depctr 0xfff
	v_fma_f32 v24, -v22, v23, 1.0
	s_delay_alu instid0(VALU_DEP_1) | instskip(SKIP_1) | instid1(VALU_DEP_1)
	v_fmac_f32_e32 v23, v24, v23
	v_div_scale_f32 v24, vcc_lo, v1, v8, v1
	v_mul_f32_e32 v25, v24, v23
	s_delay_alu instid0(VALU_DEP_1) | instskip(NEXT) | instid1(VALU_DEP_1)
	v_fma_f32 v26, -v22, v25, v24
	v_fmac_f32_e32 v25, v26, v23
	s_delay_alu instid0(VALU_DEP_1) | instskip(NEXT) | instid1(VALU_DEP_1)
	v_fma_f32 v22, -v22, v25, v24
	v_div_fmas_f32 v22, v22, v23, v25
	s_delay_alu instid0(VALU_DEP_1) | instskip(NEXT) | instid1(VALU_DEP_1)
	v_div_fixup_f32 v1, v22, v8, v1
	v_maxmin_f32 v1, v1, v17, v18
	s_delay_alu instid0(VALU_DEP_1) | instskip(NEXT) | instid1(VALU_DEP_1)
	v_and_b32_e32 v22, 0x7fffffff, v1
	v_cmpx_gt_u32_e32 0x43f00000, v22
	s_cbranch_execz .LBB7_45
; %bb.40:                               ;   in Loop: Header=BB7_33 Depth=1
	s_mov_b32 s9, exec_lo
                                        ; implicit-def: $vgpr0
	v_cmpx_lt_u32_e32 0x3c7fffff, v22
	s_xor_b32 s9, exec_lo, s9
; %bb.41:                               ;   in Loop: Header=BB7_33 Depth=1
	v_bfe_u32 v0, v1, 20, 1
	s_delay_alu instid0(VALU_DEP_1) | instskip(NEXT) | instid1(VALU_DEP_1)
	v_add3_u32 v0, v1, v0, 0x407ffff
	v_lshrrev_b32_e32 v0, 20, v0
; %bb.42:                               ;   in Loop: Header=BB7_33 Depth=1
	s_and_not1_saveexec_b32 s9, s9
; %bb.43:                               ;   in Loop: Header=BB7_33 Depth=1
	v_add_f32_e64 v0, 0x46800000, |v1|
; %bb.44:                               ;   in Loop: Header=BB7_33 Depth=1
	s_or_b32 exec_lo, exec_lo, s9
.LBB7_45:                               ;   in Loop: Header=BB7_33 Depth=1
	s_delay_alu instid0(SALU_CYCLE_1) | instskip(SKIP_3) | instid1(VALU_DEP_2)
	s_or_b32 exec_lo, exec_lo, s0
	v_div_scale_f32 v22, null, v8, v8, v2
	v_div_scale_f32 v25, vcc_lo, v2, v8, v2
	s_mov_b32 s0, exec_lo
	v_rcp_f32_e32 v23, v22
	s_waitcnt_depctr 0xfff
	v_fma_f32 v24, -v22, v23, 1.0
	s_delay_alu instid0(VALU_DEP_1) | instskip(NEXT) | instid1(VALU_DEP_1)
	v_fmac_f32_e32 v23, v24, v23
	v_mul_f32_e32 v24, v25, v23
	s_delay_alu instid0(VALU_DEP_1) | instskip(NEXT) | instid1(VALU_DEP_1)
	v_fma_f32 v26, -v22, v24, v25
	v_fmac_f32_e32 v24, v26, v23
	s_delay_alu instid0(VALU_DEP_1) | instskip(NEXT) | instid1(VALU_DEP_1)
	v_fma_f32 v22, -v22, v24, v25
	v_div_fmas_f32 v22, v22, v23, v24
	v_mov_b32_e32 v23, 0x7f
	s_delay_alu instid0(VALU_DEP_2) | instskip(NEXT) | instid1(VALU_DEP_1)
	v_div_fixup_f32 v2, v22, v8, v2
	v_maxmin_f32 v22, v2, v17, v18
	v_mov_b32_e32 v2, 0x7f
	s_delay_alu instid0(VALU_DEP_2) | instskip(NEXT) | instid1(VALU_DEP_1)
	v_and_b32_e32 v24, 0x7fffffff, v22
	v_cmpx_gt_u32_e32 0x43f00000, v24
	s_cbranch_execz .LBB7_51
; %bb.46:                               ;   in Loop: Header=BB7_33 Depth=1
	s_mov_b32 s9, exec_lo
                                        ; implicit-def: $vgpr23
	v_cmpx_lt_u32_e32 0x3c7fffff, v24
	s_xor_b32 s9, exec_lo, s9
; %bb.47:                               ;   in Loop: Header=BB7_33 Depth=1
	v_bfe_u32 v23, v22, 20, 1
	s_delay_alu instid0(VALU_DEP_1) | instskip(NEXT) | instid1(VALU_DEP_1)
	v_add3_u32 v23, v22, v23, 0x407ffff
	v_lshrrev_b32_e32 v23, 20, v23
; %bb.48:                               ;   in Loop: Header=BB7_33 Depth=1
	s_and_not1_saveexec_b32 s9, s9
; %bb.49:                               ;   in Loop: Header=BB7_33 Depth=1
	v_add_f32_e64 v23, 0x46800000, |v22|
; %bb.50:                               ;   in Loop: Header=BB7_33 Depth=1
	s_or_b32 exec_lo, exec_lo, s9
.LBB7_51:                               ;   in Loop: Header=BB7_33 Depth=1
	s_delay_alu instid0(SALU_CYCLE_1) | instskip(SKIP_2) | instid1(VALU_DEP_1)
	s_or_b32 exec_lo, exec_lo, s0
	v_div_scale_f32 v24, null, v8, v8, v3
	s_mov_b32 s0, exec_lo
	v_rcp_f32_e32 v25, v24
	s_waitcnt_depctr 0xfff
	v_fma_f32 v26, -v24, v25, 1.0
	s_delay_alu instid0(VALU_DEP_1) | instskip(SKIP_1) | instid1(VALU_DEP_1)
	v_fmac_f32_e32 v25, v26, v25
	v_div_scale_f32 v26, vcc_lo, v3, v8, v3
	v_mul_f32_e32 v27, v26, v25
	s_delay_alu instid0(VALU_DEP_1) | instskip(NEXT) | instid1(VALU_DEP_1)
	v_fma_f32 v28, -v24, v27, v26
	v_fmac_f32_e32 v27, v28, v25
	s_delay_alu instid0(VALU_DEP_1) | instskip(NEXT) | instid1(VALU_DEP_1)
	v_fma_f32 v24, -v24, v27, v26
	v_div_fmas_f32 v24, v24, v25, v27
	s_delay_alu instid0(VALU_DEP_1) | instskip(NEXT) | instid1(VALU_DEP_1)
	v_div_fixup_f32 v3, v24, v8, v3
	v_maxmin_f32 v3, v3, v17, v18
	s_delay_alu instid0(VALU_DEP_1) | instskip(NEXT) | instid1(VALU_DEP_1)
	v_and_b32_e32 v24, 0x7fffffff, v3
	v_cmpx_gt_u32_e32 0x43f00000, v24
	s_cbranch_execz .LBB7_32
; %bb.52:                               ;   in Loop: Header=BB7_33 Depth=1
	s_mov_b32 s9, exec_lo
                                        ; implicit-def: $vgpr2
	v_cmpx_lt_u32_e32 0x3c7fffff, v24
	s_xor_b32 s9, exec_lo, s9
; %bb.53:                               ;   in Loop: Header=BB7_33 Depth=1
	v_bfe_u32 v2, v3, 20, 1
	s_delay_alu instid0(VALU_DEP_1) | instskip(NEXT) | instid1(VALU_DEP_1)
	v_add3_u32 v2, v3, v2, 0x407ffff
	v_lshrrev_b32_e32 v2, 20, v2
; %bb.54:                               ;   in Loop: Header=BB7_33 Depth=1
	s_and_not1_saveexec_b32 s9, s9
	s_cbranch_execz .LBB7_31
; %bb.55:                               ;   in Loop: Header=BB7_33 Depth=1
	v_add_f32_e64 v2, 0x46800000, |v3|
	s_branch .LBB7_31
.LBB7_56:
	s_or_b32 exec_lo, exec_lo, s4
	v_lshl_add_u32 v2, v14, 2, v12
	s_mov_b32 s4, exec_lo
	s_delay_alu instid0(VALU_DEP_1)
	v_cmpx_lt_i32_e64 v2, v9
	s_cbranch_execz .LBB7_65
; %bb.57:
	v_lshlrev_b32_e32 v0, 2, v13
	v_lshlrev_b32_e32 v1, 4, v14
	s_mov_b32 s5, 0
	s_delay_alu instid0(VALU_DEP_1) | instskip(SKIP_4) | instid1(VALU_DEP_4)
	v_add3_u32 v0, v0, v1, v15
	v_add_co_u32 v1, vcc_lo, v10, v4
	v_add_co_ci_u32_e32 v3, vcc_lo, v11, v5, vcc_lo
	v_ashrrev_i32_e32 v4, 31, v2
	v_lshlrev_b32_e32 v5, 2, v12
	v_add_co_u32 v1, vcc_lo, v1, v2
	s_delay_alu instid0(VALU_DEP_3) | instskip(NEXT) | instid1(VALU_DEP_3)
	v_add_co_ci_u32_e32 v4, vcc_lo, v3, v4, vcc_lo
	v_add3_u32 v3, v0, v5, 0
	s_delay_alu instid0(VALU_DEP_3) | instskip(NEXT) | instid1(VALU_DEP_3)
	v_add_co_u32 v0, vcc_lo, s2, v1
	v_add_co_ci_u32_e32 v1, vcc_lo, s3, v4, vcc_lo
	v_max_f32_e64 v4, s6, s6
	v_max_f32_e64 v5, s7, s7
	s_branch .LBB7_60
.LBB7_58:                               ;   in Loop: Header=BB7_60 Depth=1
	s_or_b32 exec_lo, exec_lo, s9
.LBB7_59:                               ;   in Loop: Header=BB7_60 Depth=1
	s_delay_alu instid0(SALU_CYCLE_1) | instskip(SKIP_3) | instid1(VALU_DEP_3)
	s_or_b32 exec_lo, exec_lo, s0
	v_lshrrev_b32_e32 v6, 24, v6
	v_add_nc_u32_e32 v2, 16, v2
	v_add_nc_u32_e32 v3, 64, v3
	v_and_or_b32 v6, 0x80, v6, v7
	s_delay_alu instid0(VALU_DEP_3) | instskip(SKIP_2) | instid1(VALU_DEP_1)
	v_cmp_ge_i32_e32 vcc_lo, v2, v9
	global_store_b8 v[0:1], v6, off
	v_add_co_u32 v0, s0, v0, 16
	v_add_co_ci_u32_e64 v1, s0, 0, v1, s0
	s_or_b32 s5, vcc_lo, s5
	s_delay_alu instid0(SALU_CYCLE_1)
	s_and_not1_b32 exec_lo, exec_lo, s5
	s_cbranch_execz .LBB7_65
.LBB7_60:                               ; =>This Inner Loop Header: Depth=1
	ds_load_b32 v6, v3
	s_mov_b32 s0, exec_lo
	s_waitcnt lgkmcnt(0)
	v_div_scale_f32 v7, null, v8, v8, v6
	v_div_scale_f32 v12, vcc_lo, v6, v8, v6
	s_delay_alu instid0(VALU_DEP_2) | instskip(SKIP_2) | instid1(VALU_DEP_1)
	v_rcp_f32_e32 v10, v7
	s_waitcnt_depctr 0xfff
	v_fma_f32 v11, -v7, v10, 1.0
	v_fmac_f32_e32 v10, v11, v10
	s_delay_alu instid0(VALU_DEP_1) | instskip(NEXT) | instid1(VALU_DEP_1)
	v_mul_f32_e32 v11, v12, v10
	v_fma_f32 v13, -v7, v11, v12
	s_delay_alu instid0(VALU_DEP_1) | instskip(NEXT) | instid1(VALU_DEP_1)
	v_fmac_f32_e32 v11, v13, v10
	v_fma_f32 v7, -v7, v11, v12
	s_delay_alu instid0(VALU_DEP_1) | instskip(NEXT) | instid1(VALU_DEP_1)
	v_div_fmas_f32 v7, v7, v10, v11
	v_div_fixup_f32 v6, v7, v8, v6
	v_mov_b32_e32 v7, 0x7f
	s_delay_alu instid0(VALU_DEP_2) | instskip(NEXT) | instid1(VALU_DEP_1)
	v_maxmin_f32 v6, v6, v4, v5
	v_and_b32_e32 v10, 0x7fffffff, v6
	s_delay_alu instid0(VALU_DEP_1)
	v_cmpx_gt_u32_e32 0x43f00000, v10
	s_cbranch_execz .LBB7_59
; %bb.61:                               ;   in Loop: Header=BB7_60 Depth=1
	s_mov_b32 s9, exec_lo
                                        ; implicit-def: $vgpr7
	v_cmpx_lt_u32_e32 0x3c7fffff, v10
	s_xor_b32 s9, exec_lo, s9
; %bb.62:                               ;   in Loop: Header=BB7_60 Depth=1
	v_bfe_u32 v7, v6, 20, 1
	s_delay_alu instid0(VALU_DEP_1) | instskip(NEXT) | instid1(VALU_DEP_1)
	v_add3_u32 v7, v6, v7, 0x407ffff
	v_lshrrev_b32_e32 v7, 20, v7
; %bb.63:                               ;   in Loop: Header=BB7_60 Depth=1
	s_and_not1_saveexec_b32 s9, s9
	s_cbranch_execz .LBB7_58
; %bb.64:                               ;   in Loop: Header=BB7_60 Depth=1
	v_add_f32_e64 v7, 0x46800000, |v6|
	s_branch .LBB7_58
.LBB7_65:
	s_or_b32 exec_lo, exec_lo, s4
                                        ; implicit-def: $vgpr12
                                        ; implicit-def: $vgpr8
                                        ; implicit-def: $vgpr13
                                        ; implicit-def: $vgpr4_vgpr5
.LBB7_66:
	s_and_not1_saveexec_b32 s0, s1
	s_cbranch_execz .LBB7_94
; %bb.67:
	s_ashr_i32 s1, s8, 2
	s_mov_b32 s0, exec_lo
	v_cmpx_gt_i32_e64 s1, v12
	s_cbranch_execz .LBB7_94
; %bb.68:
	v_lshlrev_b32_e32 v0, 2, v12
	v_lshlrev_b32_e32 v1, 2, v13
	;; [unrolled: 1-line block ×3, first 2 shown]
	v_max_f32_e64 v7, s6, s6
	v_max_f32_e64 v9, s7, s7
	v_add_co_u32 v0, vcc_lo, v4, v0
	v_add_co_ci_u32_e32 v3, vcc_lo, 0, v5, vcc_lo
	v_add3_u32 v6, v1, v2, 0
	s_delay_alu instid0(VALU_DEP_3) | instskip(NEXT) | instid1(VALU_DEP_3)
	v_add_co_u32 v4, vcc_lo, s2, v0
	v_add_co_ci_u32_e32 v5, vcc_lo, s3, v3, vcc_lo
	s_mov_b32 s2, 0
	s_branch .LBB7_71
.LBB7_69:                               ;   in Loop: Header=BB7_71 Depth=1
	s_or_b32 exec_lo, exec_lo, s3
.LBB7_70:                               ;   in Loop: Header=BB7_71 Depth=1
	s_delay_alu instid0(SALU_CYCLE_1)
	s_or_b32 exec_lo, exec_lo, s0
	v_lshrrev_b32_e32 v13, 24, v13
	v_lshrrev_b32_e32 v1, 24, v1
	;; [unrolled: 1-line block ×3, first 2 shown]
	v_lshlrev_b32_e32 v2, 24, v2
	v_and_b32_e32 v3, 0x80000000, v3
	v_and_b32_e32 v13, 0x80, v13
	;; [unrolled: 1-line block ×4, first 2 shown]
	v_add_nc_u32_e32 v12, 16, v12
	v_add_nc_u32_e32 v6, 0x100, v6
	v_and_or_b32 v13, 0xff, v14, v13
	v_and_or_b32 v0, 0xff, v0, v1
	;; [unrolled: 1-line block ×3, first 2 shown]
	v_cmp_le_i32_e32 vcc_lo, s1, v12
	s_delay_alu instid0(VALU_DEP_4) | instskip(NEXT) | instid1(VALU_DEP_4)
	v_lshlrev_b32_e32 v1, 16, v13
	v_lshlrev_b32_e32 v0, 8, v0
	s_or_b32 s2, vcc_lo, s2
	s_delay_alu instid0(VALU_DEP_2) | instskip(NEXT) | instid1(VALU_DEP_1)
	v_or3_b32 v1, v3, v2, v1
	v_or3_b32 v0, v1, v0, v10
	global_store_b32 v[4:5], v0, off
	v_add_co_u32 v4, s0, v4, 64
	s_delay_alu instid0(VALU_DEP_1)
	v_add_co_ci_u32_e64 v5, s0, 0, v5, s0
	s_and_not1_b32 exec_lo, exec_lo, s2
	s_cbranch_execz .LBB7_94
.LBB7_71:                               ; =>This Inner Loop Header: Depth=1
	ds_load_b128 v[0:3], v6
	s_mov_b32 s0, exec_lo
	s_waitcnt lgkmcnt(0)
	v_div_scale_f32 v10, null, v8, v8, v0
	v_div_scale_f32 v14, vcc_lo, v0, v8, v0
	s_delay_alu instid0(VALU_DEP_2) | instskip(SKIP_2) | instid1(VALU_DEP_1)
	v_rcp_f32_e32 v11, v10
	s_waitcnt_depctr 0xfff
	v_fma_f32 v13, -v10, v11, 1.0
	v_fmac_f32_e32 v11, v13, v11
	s_delay_alu instid0(VALU_DEP_1) | instskip(NEXT) | instid1(VALU_DEP_1)
	v_mul_f32_e32 v13, v14, v11
	v_fma_f32 v15, -v10, v13, v14
	s_delay_alu instid0(VALU_DEP_1) | instskip(NEXT) | instid1(VALU_DEP_1)
	v_fmac_f32_e32 v13, v15, v11
	v_fma_f32 v10, -v10, v13, v14
	s_delay_alu instid0(VALU_DEP_1) | instskip(SKIP_1) | instid1(VALU_DEP_2)
	v_div_fmas_f32 v10, v10, v11, v13
	v_mov_b32_e32 v11, 0x7f
	v_div_fixup_f32 v0, v10, v8, v0
	s_delay_alu instid0(VALU_DEP_1) | instskip(SKIP_1) | instid1(VALU_DEP_2)
	v_maxmin_f32 v10, v0, v7, v9
	v_mov_b32_e32 v0, 0x7f
	v_and_b32_e32 v13, 0x7fffffff, v10
	s_delay_alu instid0(VALU_DEP_1)
	v_cmpx_gt_u32_e32 0x43f00000, v13
	s_cbranch_execz .LBB7_77
; %bb.72:                               ;   in Loop: Header=BB7_71 Depth=1
	s_mov_b32 s3, exec_lo
                                        ; implicit-def: $vgpr11
	v_cmpx_lt_u32_e32 0x3c7fffff, v13
	s_xor_b32 s3, exec_lo, s3
; %bb.73:                               ;   in Loop: Header=BB7_71 Depth=1
	v_bfe_u32 v11, v10, 20, 1
	s_delay_alu instid0(VALU_DEP_1) | instskip(NEXT) | instid1(VALU_DEP_1)
	v_add3_u32 v11, v10, v11, 0x407ffff
	v_lshrrev_b32_e32 v11, 20, v11
; %bb.74:                               ;   in Loop: Header=BB7_71 Depth=1
	s_and_not1_saveexec_b32 s3, s3
; %bb.75:                               ;   in Loop: Header=BB7_71 Depth=1
	v_add_f32_e64 v11, 0x46800000, |v10|
; %bb.76:                               ;   in Loop: Header=BB7_71 Depth=1
	s_or_b32 exec_lo, exec_lo, s3
.LBB7_77:                               ;   in Loop: Header=BB7_71 Depth=1
	s_delay_alu instid0(SALU_CYCLE_1) | instskip(SKIP_2) | instid1(VALU_DEP_1)
	s_or_b32 exec_lo, exec_lo, s0
	v_div_scale_f32 v13, null, v8, v8, v1
	s_mov_b32 s0, exec_lo
	v_rcp_f32_e32 v14, v13
	s_waitcnt_depctr 0xfff
	v_fma_f32 v15, -v13, v14, 1.0
	s_delay_alu instid0(VALU_DEP_1) | instskip(SKIP_1) | instid1(VALU_DEP_1)
	v_fmac_f32_e32 v14, v15, v14
	v_div_scale_f32 v15, vcc_lo, v1, v8, v1
	v_mul_f32_e32 v16, v15, v14
	s_delay_alu instid0(VALU_DEP_1) | instskip(NEXT) | instid1(VALU_DEP_1)
	v_fma_f32 v17, -v13, v16, v15
	v_fmac_f32_e32 v16, v17, v14
	s_delay_alu instid0(VALU_DEP_1) | instskip(NEXT) | instid1(VALU_DEP_1)
	v_fma_f32 v13, -v13, v16, v15
	v_div_fmas_f32 v13, v13, v14, v16
	s_delay_alu instid0(VALU_DEP_1) | instskip(NEXT) | instid1(VALU_DEP_1)
	v_div_fixup_f32 v1, v13, v8, v1
	v_maxmin_f32 v1, v1, v7, v9
	s_delay_alu instid0(VALU_DEP_1) | instskip(NEXT) | instid1(VALU_DEP_1)
	v_and_b32_e32 v13, 0x7fffffff, v1
	v_cmpx_gt_u32_e32 0x43f00000, v13
	s_cbranch_execz .LBB7_83
; %bb.78:                               ;   in Loop: Header=BB7_71 Depth=1
	s_mov_b32 s3, exec_lo
                                        ; implicit-def: $vgpr0
	v_cmpx_lt_u32_e32 0x3c7fffff, v13
	s_xor_b32 s3, exec_lo, s3
; %bb.79:                               ;   in Loop: Header=BB7_71 Depth=1
	v_bfe_u32 v0, v1, 20, 1
	s_delay_alu instid0(VALU_DEP_1) | instskip(NEXT) | instid1(VALU_DEP_1)
	v_add3_u32 v0, v1, v0, 0x407ffff
	v_lshrrev_b32_e32 v0, 20, v0
; %bb.80:                               ;   in Loop: Header=BB7_71 Depth=1
	s_and_not1_saveexec_b32 s3, s3
; %bb.81:                               ;   in Loop: Header=BB7_71 Depth=1
	v_add_f32_e64 v0, 0x46800000, |v1|
; %bb.82:                               ;   in Loop: Header=BB7_71 Depth=1
	s_or_b32 exec_lo, exec_lo, s3
.LBB7_83:                               ;   in Loop: Header=BB7_71 Depth=1
	s_delay_alu instid0(SALU_CYCLE_1) | instskip(SKIP_3) | instid1(VALU_DEP_2)
	s_or_b32 exec_lo, exec_lo, s0
	v_div_scale_f32 v13, null, v8, v8, v2
	v_div_scale_f32 v16, vcc_lo, v2, v8, v2
	s_mov_b32 s0, exec_lo
	v_rcp_f32_e32 v14, v13
	s_waitcnt_depctr 0xfff
	v_fma_f32 v15, -v13, v14, 1.0
	s_delay_alu instid0(VALU_DEP_1) | instskip(NEXT) | instid1(VALU_DEP_1)
	v_fmac_f32_e32 v14, v15, v14
	v_mul_f32_e32 v15, v16, v14
	s_delay_alu instid0(VALU_DEP_1) | instskip(NEXT) | instid1(VALU_DEP_1)
	v_fma_f32 v17, -v13, v15, v16
	v_fmac_f32_e32 v15, v17, v14
	s_delay_alu instid0(VALU_DEP_1) | instskip(NEXT) | instid1(VALU_DEP_1)
	v_fma_f32 v13, -v13, v15, v16
	v_div_fmas_f32 v13, v13, v14, v15
	v_mov_b32_e32 v14, 0x7f
	s_delay_alu instid0(VALU_DEP_2) | instskip(NEXT) | instid1(VALU_DEP_1)
	v_div_fixup_f32 v2, v13, v8, v2
	v_maxmin_f32 v13, v2, v7, v9
	v_mov_b32_e32 v2, 0x7f
	s_delay_alu instid0(VALU_DEP_2) | instskip(NEXT) | instid1(VALU_DEP_1)
	v_and_b32_e32 v15, 0x7fffffff, v13
	v_cmpx_gt_u32_e32 0x43f00000, v15
	s_cbranch_execz .LBB7_89
; %bb.84:                               ;   in Loop: Header=BB7_71 Depth=1
	s_mov_b32 s3, exec_lo
                                        ; implicit-def: $vgpr14
	v_cmpx_lt_u32_e32 0x3c7fffff, v15
	s_xor_b32 s3, exec_lo, s3
; %bb.85:                               ;   in Loop: Header=BB7_71 Depth=1
	v_bfe_u32 v14, v13, 20, 1
	s_delay_alu instid0(VALU_DEP_1) | instskip(NEXT) | instid1(VALU_DEP_1)
	v_add3_u32 v14, v13, v14, 0x407ffff
	v_lshrrev_b32_e32 v14, 20, v14
; %bb.86:                               ;   in Loop: Header=BB7_71 Depth=1
	s_and_not1_saveexec_b32 s3, s3
; %bb.87:                               ;   in Loop: Header=BB7_71 Depth=1
	v_add_f32_e64 v14, 0x46800000, |v13|
; %bb.88:                               ;   in Loop: Header=BB7_71 Depth=1
	s_or_b32 exec_lo, exec_lo, s3
.LBB7_89:                               ;   in Loop: Header=BB7_71 Depth=1
	s_delay_alu instid0(SALU_CYCLE_1) | instskip(SKIP_2) | instid1(VALU_DEP_1)
	s_or_b32 exec_lo, exec_lo, s0
	v_div_scale_f32 v15, null, v8, v8, v3
	s_mov_b32 s0, exec_lo
	v_rcp_f32_e32 v16, v15
	s_waitcnt_depctr 0xfff
	v_fma_f32 v17, -v15, v16, 1.0
	s_delay_alu instid0(VALU_DEP_1) | instskip(SKIP_1) | instid1(VALU_DEP_1)
	v_fmac_f32_e32 v16, v17, v16
	v_div_scale_f32 v17, vcc_lo, v3, v8, v3
	v_mul_f32_e32 v18, v17, v16
	s_delay_alu instid0(VALU_DEP_1) | instskip(NEXT) | instid1(VALU_DEP_1)
	v_fma_f32 v19, -v15, v18, v17
	v_fmac_f32_e32 v18, v19, v16
	s_delay_alu instid0(VALU_DEP_1) | instskip(NEXT) | instid1(VALU_DEP_1)
	v_fma_f32 v15, -v15, v18, v17
	v_div_fmas_f32 v15, v15, v16, v18
	s_delay_alu instid0(VALU_DEP_1) | instskip(NEXT) | instid1(VALU_DEP_1)
	v_div_fixup_f32 v3, v15, v8, v3
	v_maxmin_f32 v3, v3, v7, v9
	s_delay_alu instid0(VALU_DEP_1) | instskip(NEXT) | instid1(VALU_DEP_1)
	v_and_b32_e32 v15, 0x7fffffff, v3
	v_cmpx_gt_u32_e32 0x43f00000, v15
	s_cbranch_execz .LBB7_70
; %bb.90:                               ;   in Loop: Header=BB7_71 Depth=1
	s_mov_b32 s3, exec_lo
                                        ; implicit-def: $vgpr2
	v_cmpx_lt_u32_e32 0x3c7fffff, v15
	s_xor_b32 s3, exec_lo, s3
; %bb.91:                               ;   in Loop: Header=BB7_71 Depth=1
	v_bfe_u32 v2, v3, 20, 1
	s_delay_alu instid0(VALU_DEP_1) | instskip(NEXT) | instid1(VALU_DEP_1)
	v_add3_u32 v2, v3, v2, 0x407ffff
	v_lshrrev_b32_e32 v2, 20, v2
; %bb.92:                               ;   in Loop: Header=BB7_71 Depth=1
	s_and_not1_saveexec_b32 s3, s3
	s_cbranch_execz .LBB7_69
; %bb.93:                               ;   in Loop: Header=BB7_71 Depth=1
	v_add_f32_e64 v2, 0x46800000, |v3|
	s_branch .LBB7_69
.LBB7_94:
	s_nop 0
	s_sendmsg sendmsg(MSG_DEALLOC_VGPRS)
	s_endpgm
	.section	.rodata,"a",@progbits
	.p2align	6, 0x0
	.amdhsa_kernel _Z33per_token_group_quant_8bit_kernelIfN3c1013Float8_e4m3fnELb0ELb0EfEvPKT_PvPT3_iiifffii
		.amdhsa_group_segment_fixed_size 0
		.amdhsa_private_segment_fixed_size 0
		.amdhsa_kernarg_size 56
		.amdhsa_user_sgpr_count 15
		.amdhsa_user_sgpr_dispatch_ptr 0
		.amdhsa_user_sgpr_queue_ptr 0
		.amdhsa_user_sgpr_kernarg_segment_ptr 1
		.amdhsa_user_sgpr_dispatch_id 0
		.amdhsa_user_sgpr_private_segment_size 0
		.amdhsa_wavefront_size32 1
		.amdhsa_uses_dynamic_stack 0
		.amdhsa_enable_private_segment 0
		.amdhsa_system_sgpr_workgroup_id_x 1
		.amdhsa_system_sgpr_workgroup_id_y 0
		.amdhsa_system_sgpr_workgroup_id_z 0
		.amdhsa_system_sgpr_workgroup_info 0
		.amdhsa_system_vgpr_workitem_id 0
		.amdhsa_next_free_vgpr 29
		.amdhsa_next_free_sgpr 16
		.amdhsa_reserve_vcc 1
		.amdhsa_float_round_mode_32 0
		.amdhsa_float_round_mode_16_64 0
		.amdhsa_float_denorm_mode_32 3
		.amdhsa_float_denorm_mode_16_64 3
		.amdhsa_dx10_clamp 1
		.amdhsa_ieee_mode 1
		.amdhsa_fp16_overflow 0
		.amdhsa_workgroup_processor_mode 1
		.amdhsa_memory_ordered 1
		.amdhsa_forward_progress 0
		.amdhsa_shared_vgpr_count 0
		.amdhsa_exception_fp_ieee_invalid_op 0
		.amdhsa_exception_fp_denorm_src 0
		.amdhsa_exception_fp_ieee_div_zero 0
		.amdhsa_exception_fp_ieee_overflow 0
		.amdhsa_exception_fp_ieee_underflow 0
		.amdhsa_exception_fp_ieee_inexact 0
		.amdhsa_exception_int_div_zero 0
	.end_amdhsa_kernel
	.section	.text._Z33per_token_group_quant_8bit_kernelIfN3c1013Float8_e4m3fnELb0ELb0EfEvPKT_PvPT3_iiifffii,"axG",@progbits,_Z33per_token_group_quant_8bit_kernelIfN3c1013Float8_e4m3fnELb0ELb0EfEvPKT_PvPT3_iiifffii,comdat
.Lfunc_end7:
	.size	_Z33per_token_group_quant_8bit_kernelIfN3c1013Float8_e4m3fnELb0ELb0EfEvPKT_PvPT3_iiifffii, .Lfunc_end7-_Z33per_token_group_quant_8bit_kernelIfN3c1013Float8_e4m3fnELb0ELb0EfEvPKT_PvPT3_iiifffii
                                        ; -- End function
	.section	.AMDGPU.csdata,"",@progbits
; Kernel info:
; codeLenInByte = 4508
; NumSgprs: 18
; NumVgprs: 29
; ScratchSize: 0
; MemoryBound: 0
; FloatMode: 240
; IeeeMode: 1
; LDSByteSize: 0 bytes/workgroup (compile time only)
; SGPRBlocks: 2
; VGPRBlocks: 3
; NumSGPRsForWavesPerEU: 18
; NumVGPRsForWavesPerEU: 29
; Occupancy: 16
; WaveLimiterHint : 0
; COMPUTE_PGM_RSRC2:SCRATCH_EN: 0
; COMPUTE_PGM_RSRC2:USER_SGPR: 15
; COMPUTE_PGM_RSRC2:TRAP_HANDLER: 0
; COMPUTE_PGM_RSRC2:TGID_X_EN: 1
; COMPUTE_PGM_RSRC2:TGID_Y_EN: 0
; COMPUTE_PGM_RSRC2:TGID_Z_EN: 0
; COMPUTE_PGM_RSRC2:TIDIG_COMP_CNT: 0
	.section	.text._Z33per_token_group_quant_8bit_kernelIfN3c1015Float8_e4m3fnuzELb1ELb1EfEvPKT_PvPT3_iiifffii,"axG",@progbits,_Z33per_token_group_quant_8bit_kernelIfN3c1015Float8_e4m3fnuzELb1ELb1EfEvPKT_PvPT3_iiifffii,comdat
	.protected	_Z33per_token_group_quant_8bit_kernelIfN3c1015Float8_e4m3fnuzELb1ELb1EfEvPKT_PvPT3_iiifffii ; -- Begin function _Z33per_token_group_quant_8bit_kernelIfN3c1015Float8_e4m3fnuzELb1ELb1EfEvPKT_PvPT3_iiifffii
	.globl	_Z33per_token_group_quant_8bit_kernelIfN3c1015Float8_e4m3fnuzELb1ELb1EfEvPKT_PvPT3_iiifffii
	.p2align	8
	.type	_Z33per_token_group_quant_8bit_kernelIfN3c1015Float8_e4m3fnuzELb1ELb1EfEvPKT_PvPT3_iiifffii,@function
_Z33per_token_group_quant_8bit_kernelIfN3c1015Float8_e4m3fnuzELb1ELb1EfEvPKT_PvPT3_iiifffii: ; @_Z33per_token_group_quant_8bit_kernelIfN3c1015Float8_e4m3fnuzELb1ELb1EfEvPKT_PvPT3_iiifffii
; %bb.0:
	s_clause 0x1
	s_load_b128 s[4:7], s[0:1], 0x20
	s_load_b32 s14, s[0:1], 0x18
	v_lshrrev_b32_e32 v3, 4, v0
	s_load_b64 s[8:9], s[0:1], 0x30
	v_and_b32_e32 v10, 15, v0
                                        ; implicit-def: $vgpr14
	s_waitcnt lgkmcnt(0)
	s_mul_i32 s15, s15, s4
	s_ashr_i32 s4, s14, 31
	v_add_co_u32 v12, s2, s15, v3
	s_delay_alu instid0(VALU_DEP_1) | instskip(SKIP_1) | instid1(VALU_DEP_2)
	v_add_co_ci_u32_e64 v13, null, 0, 0, s2
	s_load_b64 s[2:3], s[0:1], 0x0
	v_mul_lo_u32 v2, v12, s4
	v_mad_u64_u32 v[4:5], null, v12, s14, 0
	s_delay_alu instid0(VALU_DEP_3) | instskip(SKIP_2) | instid1(SALU_CYCLE_1)
	v_mul_lo_u32 v1, v13, s14
	v_mul_lo_u32 v11, v3, s14
	s_and_b32 s4, s14, 3
	s_cmp_eq_u32 s4, 0
	s_cselect_b32 s15, -1, 0
	s_cmp_lg_u32 s4, 0
	s_delay_alu instid0(VALU_DEP_2) | instskip(NEXT) | instid1(VALU_DEP_2)
	v_add3_u32 v5, v5, v2, v1
	v_lshl_add_u32 v3, v11, 2, 0
	s_cselect_b32 s4, -1, 0
	s_delay_alu instid0(VALU_DEP_2) | instskip(SKIP_1) | instid1(VALU_DEP_1)
	v_lshlrev_b64 v[1:2], 2, v[4:5]
	s_waitcnt lgkmcnt(0)
	v_add_co_u32 v6, vcc_lo, s2, v1
	v_mov_b32_e32 v9, 0
	s_delay_alu instid0(VALU_DEP_3) | instskip(NEXT) | instid1(VALU_DEP_3)
	v_add_co_ci_u32_e32 v7, vcc_lo, s3, v2, vcc_lo
	v_and_b32_e32 v8, 15, v6
	s_delay_alu instid0(VALU_DEP_1) | instskip(SKIP_1) | instid1(SALU_CYCLE_1)
	v_cmp_ne_u64_e32 vcc_lo, 0, v[8:9]
	s_or_b32 s4, s4, vcc_lo
	s_and_saveexec_b32 s10, s4
	s_delay_alu instid0(SALU_CYCLE_1)
	s_xor_b32 s4, exec_lo, s10
	s_cbranch_execz .LBB8_12
; %bb.1:
	v_sub_nc_u32_e32 v0, 0, v6
	v_mov_b32_e32 v14, s5
	s_mov_b32 s10, exec_lo
	s_delay_alu instid0(VALU_DEP_2) | instskip(NEXT) | instid1(VALU_DEP_1)
	v_bfe_u32 v0, v0, 2, 2
	v_min_i32_e32 v8, s14, v0
	s_delay_alu instid0(VALU_DEP_1)
	v_cmpx_gt_i32_e64 v8, v10
	s_cbranch_execz .LBB8_3
; %bb.2:
	v_lshlrev_b32_e32 v0, 2, v10
	v_max_f32_e64 v9, s5, s5
	s_delay_alu instid0(VALU_DEP_2)
	v_add_co_u32 v6, vcc_lo, v6, v0
	v_add_co_ci_u32_e32 v7, vcc_lo, 0, v7, vcc_lo
	v_add_nc_u32_e32 v0, v3, v0
	global_load_b32 v6, v[6:7], off
	s_waitcnt vmcnt(0)
	v_max_f32_e64 v7, |v6|, |v6|
	ds_store_b32 v0, v6
	v_max_f32_e32 v14, v9, v7
.LBB8_3:
	s_or_b32 exec_lo, exec_lo, s10
	v_sub_nc_u32_e32 v15, s14, v8
	v_ashrrev_i32_e32 v9, 31, v8
	s_mov_b32 s10, exec_lo
	s_delay_alu instid0(VALU_DEP_2) | instskip(NEXT) | instid1(VALU_DEP_2)
	v_ashrrev_i32_e32 v0, 31, v15
	v_lshlrev_b64 v[6:7], 2, v[8:9]
	s_delay_alu instid0(VALU_DEP_2) | instskip(NEXT) | instid1(VALU_DEP_1)
	v_lshrrev_b32_e32 v0, 30, v0
	v_add_nc_u32_e32 v0, v15, v0
	s_delay_alu instid0(VALU_DEP_1) | instskip(SKIP_1) | instid1(VALU_DEP_2)
	v_ashrrev_i32_e32 v16, 2, v0
	v_lshlrev_b32_e32 v0, 2, v8
	v_cmpx_gt_i32_e64 v16, v10
	s_cbranch_execz .LBB8_7
; %bb.4:
	v_lshlrev_b32_e32 v8, 4, v10
	s_mov_b32 s11, 0
	s_delay_alu instid0(VALU_DEP_1) | instskip(SKIP_2) | instid1(VALU_DEP_3)
	v_add_co_u32 v9, vcc_lo, v1, v8
	v_add_co_ci_u32_e32 v17, vcc_lo, 0, v2, vcc_lo
	v_lshl_add_u32 v8, v11, 2, v8
	v_add_co_u32 v9, vcc_lo, v9, v6
	s_delay_alu instid0(VALU_DEP_3) | instskip(NEXT) | instid1(VALU_DEP_2)
	v_add_co_ci_u32_e32 v17, vcc_lo, v17, v7, vcc_lo
	v_add_co_u32 v9, vcc_lo, v9, s2
	s_delay_alu instid0(VALU_DEP_2) | instskip(SKIP_1) | instid1(VALU_DEP_3)
	v_add_co_ci_u32_e32 v18, vcc_lo, s3, v17, vcc_lo
	v_add3_u32 v17, v8, v0, 0
	v_add_co_u32 v8, vcc_lo, v9, 8
	s_delay_alu instid0(VALU_DEP_3)
	v_add_co_ci_u32_e32 v9, vcc_lo, 0, v18, vcc_lo
	v_mov_b32_e32 v18, v10
	.p2align	6
.LBB8_5:                                ; =>This Inner Loop Header: Depth=1
	global_load_b128 v[19:22], v[8:9], off offset:-8
	v_add_nc_u32_e32 v18, 16, v18
	v_add_co_u32 v8, vcc_lo, 0x100, v8
	v_add_co_ci_u32_e32 v9, vcc_lo, 0, v9, vcc_lo
	s_delay_alu instid0(VALU_DEP_3)
	v_cmp_ge_i32_e32 vcc_lo, v18, v16
	s_or_b32 s11, vcc_lo, s11
	s_waitcnt vmcnt(0)
	v_max3_f32 v14, v14, |v19|, |v20|
	ds_store_b128 v17, v[19:22]
	v_add_nc_u32_e32 v17, 0x100, v17
	v_max3_f32 v14, v14, |v21|, |v22|
	s_and_not1_b32 exec_lo, exec_lo, s11
	s_cbranch_execnz .LBB8_5
; %bb.6:
	s_or_b32 exec_lo, exec_lo, s11
.LBB8_7:
	s_delay_alu instid0(SALU_CYCLE_1) | instskip(SKIP_2) | instid1(VALU_DEP_1)
	s_or_b32 exec_lo, exec_lo, s10
	v_lshl_add_u32 v8, v16, 2, v10
	s_mov_b32 s10, exec_lo
	v_cmpx_lt_i32_e64 v8, v15
	s_cbranch_execz .LBB8_11
; %bb.8:
	v_ashrrev_i32_e32 v9, 31, v8
	v_lshlrev_b32_e32 v19, 4, v16
	v_lshlrev_b32_e32 v18, 2, v11
	v_add_co_u32 v1, vcc_lo, v1, v6
	s_delay_alu instid0(VALU_DEP_4) | instskip(SKIP_4) | instid1(VALU_DEP_4)
	v_lshlrev_b64 v[16:17], 2, v[8:9]
	v_add_co_ci_u32_e32 v2, vcc_lo, v2, v7, vcc_lo
	v_lshlrev_b32_e32 v20, 2, v10
	v_add3_u32 v0, v18, v19, v0
	s_mov_b32 s11, 0
	v_add_co_u32 v1, vcc_lo, v1, v16
	v_add_co_ci_u32_e32 v6, vcc_lo, v2, v17, vcc_lo
	s_delay_alu instid0(VALU_DEP_3) | instskip(NEXT) | instid1(VALU_DEP_3)
	v_add3_u32 v2, v0, v20, 0
	v_add_co_u32 v0, vcc_lo, s2, v1
	s_delay_alu instid0(VALU_DEP_3)
	v_add_co_ci_u32_e32 v1, vcc_lo, s3, v6, vcc_lo
	.p2align	6
.LBB8_9:                                ; =>This Inner Loop Header: Depth=1
	global_load_b32 v6, v[0:1], off
	v_dual_max_f32 v7, v14, v14 :: v_dual_add_nc_u32 v8, 16, v8
	v_add_co_u32 v0, vcc_lo, v0, 64
	v_add_co_ci_u32_e32 v1, vcc_lo, 0, v1, vcc_lo
	s_delay_alu instid0(VALU_DEP_3)
	v_cmp_ge_i32_e32 vcc_lo, v8, v15
	s_or_b32 s11, vcc_lo, s11
	s_waitcnt vmcnt(0)
	v_max_f32_e64 v9, |v6|, |v6|
	ds_store_b32 v2, v6
	v_add_nc_u32_e32 v2, 64, v2
	v_max_f32_e32 v14, v7, v9
	s_and_not1_b32 exec_lo, exec_lo, s11
	s_cbranch_execnz .LBB8_9
; %bb.10:
	s_or_b32 exec_lo, exec_lo, s11
.LBB8_11:
	s_delay_alu instid0(SALU_CYCLE_1)
	s_or_b32 exec_lo, exec_lo, s10
                                        ; implicit-def: $vgpr1_vgpr2
.LBB8_12:
	s_and_not1_saveexec_b32 s4, s4
	s_cbranch_execz .LBB8_18
; %bb.13:
	v_mov_b32_e32 v14, s5
	s_ashr_i32 s11, s14, 2
	s_mov_b32 s10, exec_lo
	v_cmpx_gt_i32_e64 s11, v10
	s_cbranch_execz .LBB8_17
; %bb.14:
	v_lshlrev_b32_e32 v0, 4, v10
	v_lshlrev_b32_e32 v6, 2, v11
	v_mov_b32_e32 v14, s5
	s_delay_alu instid0(VALU_DEP_3) | instskip(SKIP_1) | instid1(VALU_DEP_2)
	v_add_co_u32 v1, vcc_lo, v1, v0
	v_add_co_ci_u32_e32 v2, vcc_lo, 0, v2, vcc_lo
	v_add_co_u32 v1, vcc_lo, v1, s2
	s_delay_alu instid0(VALU_DEP_2) | instskip(SKIP_1) | instid1(VALU_DEP_3)
	v_add_co_ci_u32_e32 v7, vcc_lo, s3, v2, vcc_lo
	v_add3_u32 v2, v6, v0, 0
	v_add_co_u32 v0, vcc_lo, v1, 8
	s_delay_alu instid0(VALU_DEP_3)
	v_add_co_ci_u32_e32 v1, vcc_lo, 0, v7, vcc_lo
	v_mov_b32_e32 v6, v10
	s_mov_b32 s2, 0
	.p2align	6
.LBB8_15:                               ; =>This Inner Loop Header: Depth=1
	global_load_b128 v[15:18], v[0:1], off offset:-8
	v_add_nc_u32_e32 v6, 16, v6
	v_add_co_u32 v0, vcc_lo, 0x100, v0
	v_add_co_ci_u32_e32 v1, vcc_lo, 0, v1, vcc_lo
	s_delay_alu instid0(VALU_DEP_3)
	v_cmp_le_i32_e32 vcc_lo, s11, v6
	s_or_b32 s2, vcc_lo, s2
	s_waitcnt vmcnt(0)
	v_max3_f32 v7, v14, |v15|, |v16|
	ds_store_b128 v2, v[15:18]
	v_add_nc_u32_e32 v2, 0x100, v2
	v_max3_f32 v14, v7, |v17|, |v18|
	s_and_not1_b32 exec_lo, exec_lo, s2
	s_cbranch_execnz .LBB8_15
; %bb.16:
	s_or_b32 exec_lo, exec_lo, s2
.LBB8_17:
	s_delay_alu instid0(SALU_CYCLE_1)
	s_or_b32 exec_lo, exec_lo, s10
.LBB8_18:
	s_delay_alu instid0(SALU_CYCLE_1) | instskip(SKIP_4) | instid1(VALU_DEP_2)
	s_or_b32 exec_lo, exec_lo, s4
	v_mbcnt_lo_u32_b32 v0, -1, 0
	v_max_f32_e32 v7, v14, v14
	s_load_b64 s[2:3], s[0:1], 0x8
	s_mov_b32 s16, exec_lo
	v_xor_b32_e32 v2, 8, v0
	v_and_b32_e32 v1, 16, v0
	v_xor_b32_e32 v6, 4, v0
	s_delay_alu instid0(VALU_DEP_2) | instskip(NEXT) | instid1(VALU_DEP_1)
	v_add_nc_u32_e32 v1, 16, v1
	v_cmp_lt_i32_e32 vcc_lo, v2, v1
	v_cndmask_b32_e32 v2, v0, v2, vcc_lo
	s_delay_alu instid0(VALU_DEP_4) | instskip(NEXT) | instid1(VALU_DEP_2)
	v_cmp_lt_i32_e32 vcc_lo, v6, v1
	v_lshlrev_b32_e32 v2, 2, v2
	v_cndmask_b32_e32 v6, v0, v6, vcc_lo
	ds_bpermute_b32 v2, v2, v14
	v_lshlrev_b32_e32 v6, 2, v6
	s_waitcnt lgkmcnt(0)
	v_max_f32_e32 v2, v2, v2
	s_delay_alu instid0(VALU_DEP_1)
	v_max_f32_e32 v2, v7, v2
	v_xor_b32_e32 v7, 2, v0
	ds_bpermute_b32 v6, v6, v2
	v_cmp_lt_i32_e32 vcc_lo, v7, v1
	v_cndmask_b32_e32 v7, v0, v7, vcc_lo
	s_waitcnt lgkmcnt(0)
	s_delay_alu instid0(VALU_DEP_1) | instskip(NEXT) | instid1(VALU_DEP_1)
	v_dual_max_f32 v6, v6, v6 :: v_dual_lshlrev_b32 v7, 2, v7
	v_max_f32_e32 v2, v2, v6
	ds_bpermute_b32 v6, v7, v2
	v_xor_b32_e32 v7, 1, v0
	s_delay_alu instid0(VALU_DEP_1) | instskip(SKIP_2) | instid1(VALU_DEP_1)
	v_cmp_lt_i32_e32 vcc_lo, v7, v1
	s_waitcnt lgkmcnt(0)
	v_dual_cndmask_b32 v0, v0, v7 :: v_dual_max_f32 v1, v6, v6
	v_dual_max_f32 v1, v2, v1 :: v_dual_lshlrev_b32 v0, 2, v0
	ds_bpermute_b32 v0, v0, v1
	s_waitcnt lgkmcnt(0)
	v_max_f32_e32 v0, v0, v0
	s_delay_alu instid0(VALU_DEP_1) | instskip(NEXT) | instid1(VALU_DEP_1)
	v_max_f32_e32 v0, v1, v0
	v_div_scale_f32 v1, null, s7, s7, v0
	v_div_scale_f32 v7, vcc_lo, v0, s7, v0
	s_delay_alu instid0(VALU_DEP_2) | instskip(SKIP_2) | instid1(VALU_DEP_1)
	v_rcp_f32_e32 v2, v1
	s_waitcnt_depctr 0xfff
	v_fma_f32 v6, -v1, v2, 1.0
	v_fmac_f32_e32 v2, v6, v2
	s_delay_alu instid0(VALU_DEP_1) | instskip(NEXT) | instid1(VALU_DEP_1)
	v_mul_f32_e32 v6, v7, v2
	v_fma_f32 v8, -v1, v6, v7
	s_delay_alu instid0(VALU_DEP_1) | instskip(NEXT) | instid1(VALU_DEP_1)
	v_fmac_f32_e32 v6, v8, v2
	v_fma_f32 v1, -v1, v6, v7
	s_delay_alu instid0(VALU_DEP_1) | instskip(NEXT) | instid1(VALU_DEP_1)
	v_div_fmas_f32 v1, v1, v2, v6
	v_div_fixup_f32 v0, v1, s7, v0
	s_delay_alu instid0(VALU_DEP_1) | instskip(NEXT) | instid1(VALU_DEP_1)
	v_max_f32_e64 v0, 0x2edbe6ff, |v0|
	v_cmp_gt_f32_e32 vcc_lo, 0x800000, v0
	v_cndmask_b32_e64 v1, 1.0, 0x4f800000, vcc_lo
	s_delay_alu instid0(VALU_DEP_1) | instskip(SKIP_1) | instid1(VALU_DEP_2)
	v_mul_f32_e32 v0, v0, v1
	v_cndmask_b32_e64 v1, 0, 0x42000000, vcc_lo
	v_log_f32_e32 v0, v0
	s_waitcnt_depctr 0xfff
	v_sub_f32_e32 v0, v0, v1
	s_delay_alu instid0(VALU_DEP_1) | instskip(NEXT) | instid1(VALU_DEP_1)
	v_ceil_f32_e32 v0, v0
	v_cmp_gt_f32_e32 vcc_lo, 0xc2fc0000, v0
	v_cndmask_b32_e64 v1, 0, 0x42800000, vcc_lo
	s_delay_alu instid0(VALU_DEP_1) | instskip(SKIP_1) | instid1(VALU_DEP_2)
	v_add_f32_e32 v0, v0, v1
	v_cndmask_b32_e64 v1, 1.0, 0x1f800000, vcc_lo
	v_exp_f32_e32 v0, v0
	s_waitcnt_depctr 0xfff
	v_mul_f32_e32 v8, v0, v1
	v_cmpx_eq_u32_e32 0, v10
	s_cbranch_execz .LBB8_24
; %bb.19:
	s_load_b64 s[4:5], s[0:1], 0x10
	s_ashr_i32 s0, s8, 31
	v_mov_b32_e32 v0, 0
	v_or_b32_e32 v1, s0, v13
	s_mov_b32 s1, s8
	s_delay_alu instid0(VALU_DEP_1) | instskip(SKIP_1) | instid1(SALU_CYCLE_1)
	v_cmp_ne_u64_e32 vcc_lo, 0, v[0:1]
                                        ; implicit-def: $vgpr0_vgpr1
	s_and_saveexec_b32 s8, vcc_lo
	s_xor_b32 s8, exec_lo, s8
	s_cbranch_execz .LBB8_21
; %bb.20:
	s_add_u32 s12, s1, s0
	s_mov_b32 s10, s0
	s_mov_b32 s11, s0
	s_addc_u32 s13, s0, s0
	s_delay_alu instid0(SALU_CYCLE_1) | instskip(NEXT) | instid1(SALU_CYCLE_1)
	s_xor_b64 s[12:13], s[12:13], s[10:11]
	v_cvt_f32_u32_e32 v0, s12
	v_cvt_f32_u32_e32 v1, s13
	s_sub_u32 s0, 0, s12
	s_subb_u32 s11, 0, s13
	s_delay_alu instid0(VALU_DEP_1) | instskip(NEXT) | instid1(VALU_DEP_1)
	v_fmamk_f32 v0, v1, 0x4f800000, v0
	v_rcp_f32_e32 v0, v0
	s_waitcnt_depctr 0xfff
	v_mul_f32_e32 v0, 0x5f7ffffc, v0
	s_delay_alu instid0(VALU_DEP_1) | instskip(NEXT) | instid1(VALU_DEP_1)
	v_mul_f32_e32 v1, 0x2f800000, v0
	v_trunc_f32_e32 v1, v1
	s_delay_alu instid0(VALU_DEP_1) | instskip(SKIP_1) | instid1(VALU_DEP_2)
	v_fmamk_f32 v0, v1, 0xcf800000, v0
	v_cvt_u32_f32_e32 v1, v1
	v_cvt_u32_f32_e32 v0, v0
	s_delay_alu instid0(VALU_DEP_2) | instskip(NEXT) | instid1(VALU_DEP_2)
	v_mul_lo_u32 v2, s0, v1
	v_mul_hi_u32 v6, s0, v0
	v_mul_lo_u32 v7, s11, v0
	s_delay_alu instid0(VALU_DEP_2) | instskip(SKIP_1) | instid1(VALU_DEP_2)
	v_add_nc_u32_e32 v2, v6, v2
	v_mul_lo_u32 v6, s0, v0
	v_add_nc_u32_e32 v2, v2, v7
	s_delay_alu instid0(VALU_DEP_2) | instskip(NEXT) | instid1(VALU_DEP_2)
	v_mul_hi_u32 v7, v0, v6
	v_mul_lo_u32 v9, v0, v2
	v_mul_hi_u32 v14, v0, v2
	v_mul_hi_u32 v15, v1, v6
	v_mul_lo_u32 v6, v1, v6
	v_mul_hi_u32 v16, v1, v2
	v_mul_lo_u32 v2, v1, v2
	v_add_co_u32 v7, vcc_lo, v7, v9
	v_add_co_ci_u32_e32 v9, vcc_lo, 0, v14, vcc_lo
	s_delay_alu instid0(VALU_DEP_2) | instskip(NEXT) | instid1(VALU_DEP_2)
	v_add_co_u32 v6, vcc_lo, v7, v6
	v_add_co_ci_u32_e32 v6, vcc_lo, v9, v15, vcc_lo
	v_add_co_ci_u32_e32 v7, vcc_lo, 0, v16, vcc_lo
	s_delay_alu instid0(VALU_DEP_2) | instskip(NEXT) | instid1(VALU_DEP_2)
	v_add_co_u32 v2, vcc_lo, v6, v2
	v_add_co_ci_u32_e32 v6, vcc_lo, 0, v7, vcc_lo
	s_delay_alu instid0(VALU_DEP_2) | instskip(NEXT) | instid1(VALU_DEP_2)
	v_add_co_u32 v0, vcc_lo, v0, v2
	v_add_co_ci_u32_e32 v1, vcc_lo, v1, v6, vcc_lo
	s_delay_alu instid0(VALU_DEP_2) | instskip(SKIP_1) | instid1(VALU_DEP_3)
	v_mul_hi_u32 v2, s0, v0
	v_mul_lo_u32 v7, s11, v0
	v_mul_lo_u32 v6, s0, v1
	s_delay_alu instid0(VALU_DEP_1) | instskip(SKIP_1) | instid1(VALU_DEP_2)
	v_add_nc_u32_e32 v2, v2, v6
	v_mul_lo_u32 v6, s0, v0
	v_add_nc_u32_e32 v2, v2, v7
	s_delay_alu instid0(VALU_DEP_2) | instskip(NEXT) | instid1(VALU_DEP_2)
	v_mul_hi_u32 v7, v0, v6
	v_mul_lo_u32 v9, v0, v2
	v_mul_hi_u32 v14, v0, v2
	v_mul_hi_u32 v15, v1, v6
	v_mul_lo_u32 v6, v1, v6
	v_mul_hi_u32 v16, v1, v2
	v_mul_lo_u32 v2, v1, v2
	v_add_co_u32 v7, vcc_lo, v7, v9
	v_add_co_ci_u32_e32 v9, vcc_lo, 0, v14, vcc_lo
	s_delay_alu instid0(VALU_DEP_2) | instskip(NEXT) | instid1(VALU_DEP_2)
	v_add_co_u32 v6, vcc_lo, v7, v6
	v_add_co_ci_u32_e32 v6, vcc_lo, v9, v15, vcc_lo
	v_add_co_ci_u32_e32 v7, vcc_lo, 0, v16, vcc_lo
	s_delay_alu instid0(VALU_DEP_2) | instskip(NEXT) | instid1(VALU_DEP_2)
	v_add_co_u32 v2, vcc_lo, v6, v2
	v_add_co_ci_u32_e32 v6, vcc_lo, 0, v7, vcc_lo
	s_delay_alu instid0(VALU_DEP_2) | instskip(NEXT) | instid1(VALU_DEP_2)
	v_add_co_u32 v2, vcc_lo, v0, v2
	v_add_co_ci_u32_e32 v9, vcc_lo, v1, v6, vcc_lo
	s_delay_alu instid0(VALU_DEP_2) | instskip(SKIP_1) | instid1(VALU_DEP_3)
	v_mul_hi_u32 v16, v12, v2
	v_mad_u64_u32 v[6:7], null, v13, v2, 0
	v_mad_u64_u32 v[0:1], null, v12, v9, 0
	;; [unrolled: 1-line block ×3, first 2 shown]
	s_delay_alu instid0(VALU_DEP_2) | instskip(NEXT) | instid1(VALU_DEP_3)
	v_add_co_u32 v0, vcc_lo, v16, v0
	v_add_co_ci_u32_e32 v1, vcc_lo, 0, v1, vcc_lo
	s_delay_alu instid0(VALU_DEP_2) | instskip(NEXT) | instid1(VALU_DEP_2)
	v_add_co_u32 v0, vcc_lo, v0, v6
	v_add_co_ci_u32_e32 v0, vcc_lo, v1, v7, vcc_lo
	v_add_co_ci_u32_e32 v1, vcc_lo, 0, v15, vcc_lo
	s_delay_alu instid0(VALU_DEP_2) | instskip(NEXT) | instid1(VALU_DEP_2)
	v_add_co_u32 v2, vcc_lo, v0, v14
	v_add_co_ci_u32_e32 v6, vcc_lo, 0, v1, vcc_lo
	s_delay_alu instid0(VALU_DEP_2) | instskip(SKIP_1) | instid1(VALU_DEP_3)
	v_mul_lo_u32 v7, s13, v2
	v_mad_u64_u32 v[0:1], null, s12, v2, 0
	v_mul_lo_u32 v6, s12, v6
	s_delay_alu instid0(VALU_DEP_2) | instskip(NEXT) | instid1(VALU_DEP_2)
	v_sub_co_u32 v0, vcc_lo, v12, v0
	v_add3_u32 v1, v1, v6, v7
	v_add_co_u32 v7, s0, v2, 2
	s_delay_alu instid0(VALU_DEP_2) | instskip(NEXT) | instid1(VALU_DEP_1)
	v_sub_nc_u32_e32 v6, v13, v1
	v_subrev_co_ci_u32_e64 v6, s0, s13, v6, vcc_lo
	v_sub_co_u32 v9, s0, v0, s12
	v_sub_co_ci_u32_e32 v1, vcc_lo, v13, v1, vcc_lo
	s_delay_alu instid0(VALU_DEP_3) | instskip(NEXT) | instid1(VALU_DEP_3)
	v_subrev_co_ci_u32_e64 v6, s0, 0, v6, s0
	v_cmp_le_u32_e32 vcc_lo, s12, v9
	v_cndmask_b32_e64 v9, 0, -1, vcc_lo
	s_delay_alu instid0(VALU_DEP_3)
	v_cmp_le_u32_e32 vcc_lo, s13, v6
	v_cndmask_b32_e64 v13, 0, -1, vcc_lo
	v_cmp_le_u32_e32 vcc_lo, s12, v0
	v_cndmask_b32_e64 v0, 0, -1, vcc_lo
	;; [unrolled: 2-line block ×3, first 2 shown]
	v_cmp_eq_u32_e32 vcc_lo, s13, v6
	v_cndmask_b32_e32 v6, v13, v9, vcc_lo
	v_add_co_u32 v9, vcc_lo, v2, 1
	v_cmp_eq_u32_e32 vcc_lo, s13, v1
	v_cndmask_b32_e32 v0, v14, v0, vcc_lo
	s_delay_alu instid0(VALU_DEP_4) | instskip(NEXT) | instid1(VALU_DEP_4)
	v_cmp_ne_u32_e32 vcc_lo, 0, v6
	v_cndmask_b32_e32 v1, v9, v7, vcc_lo
	s_delay_alu instid0(VALU_DEP_3) | instskip(NEXT) | instid1(VALU_DEP_2)
	v_cmp_ne_u32_e32 vcc_lo, 0, v0
	v_cndmask_b32_e32 v0, v2, v1, vcc_lo
	s_delay_alu instid0(VALU_DEP_1) | instskip(NEXT) | instid1(VALU_DEP_1)
	v_xor_b32_e32 v0, s10, v0
	v_sub_co_u32 v0, vcc_lo, v0, s10
.LBB8_21:
	s_and_not1_saveexec_b32 s0, s8
	s_cbranch_execz .LBB8_23
; %bb.22:
	v_cvt_f32_u32_e32 v0, s1
	s_sub_i32 s8, 0, s1
	s_delay_alu instid0(VALU_DEP_1) | instskip(SKIP_2) | instid1(VALU_DEP_1)
	v_rcp_iflag_f32_e32 v0, v0
	s_waitcnt_depctr 0xfff
	v_mul_f32_e32 v0, 0x4f7ffffe, v0
	v_cvt_u32_f32_e32 v0, v0
	s_delay_alu instid0(VALU_DEP_1) | instskip(NEXT) | instid1(VALU_DEP_1)
	v_mul_lo_u32 v1, s8, v0
	v_mul_hi_u32 v1, v0, v1
	s_delay_alu instid0(VALU_DEP_1) | instskip(NEXT) | instid1(VALU_DEP_1)
	v_add_nc_u32_e32 v0, v0, v1
	v_mul_hi_u32 v0, v12, v0
	s_delay_alu instid0(VALU_DEP_1) | instskip(SKIP_1) | instid1(VALU_DEP_2)
	v_mul_lo_u32 v1, v0, s1
	v_add_nc_u32_e32 v2, 1, v0
	v_sub_nc_u32_e32 v1, v12, v1
	s_delay_alu instid0(VALU_DEP_1) | instskip(SKIP_1) | instid1(VALU_DEP_2)
	v_subrev_nc_u32_e32 v6, s1, v1
	v_cmp_le_u32_e32 vcc_lo, s1, v1
	v_cndmask_b32_e32 v1, v1, v6, vcc_lo
	v_cndmask_b32_e32 v0, v0, v2, vcc_lo
	s_delay_alu instid0(VALU_DEP_2) | instskip(NEXT) | instid1(VALU_DEP_2)
	v_cmp_le_u32_e32 vcc_lo, s1, v1
	v_add_nc_u32_e32 v2, 1, v0
	s_delay_alu instid0(VALU_DEP_1)
	v_cndmask_b32_e32 v0, v0, v2, vcc_lo
.LBB8_23:
	s_or_b32 exec_lo, exec_lo, s0
	s_delay_alu instid0(VALU_DEP_1) | instskip(NEXT) | instid1(VALU_DEP_1)
	v_mul_lo_u32 v1, v0, s1
	v_sub_nc_u32_e32 v6, v12, v1
	s_delay_alu instid0(VALU_DEP_1) | instskip(NEXT) | instid1(VALU_DEP_1)
	v_mad_u64_u32 v[1:2], null, v6, s9, v[0:1]
	v_ashrrev_i32_e32 v2, 31, v1
	s_delay_alu instid0(VALU_DEP_1) | instskip(SKIP_1) | instid1(VALU_DEP_1)
	v_lshlrev_b64 v[0:1], 2, v[1:2]
	s_waitcnt lgkmcnt(0)
	v_add_co_u32 v0, vcc_lo, s4, v0
	s_delay_alu instid0(VALU_DEP_2)
	v_add_co_ci_u32_e32 v1, vcc_lo, s5, v1, vcc_lo
	global_store_b32 v[0:1], v8, off
.LBB8_24:
	s_or_b32 exec_lo, exec_lo, s16
	v_dual_mov_b32 v1, 0 :: v_dual_and_b32 v0, 15, v3
	s_xor_b32 s0, s15, -1
	s_waitcnt_vscnt null, 0x0
	s_barrier
	buffer_gl0_inv
	v_cmp_ne_u64_e32 vcc_lo, 0, v[0:1]
	s_or_b32 s0, s0, vcc_lo
	s_delay_alu instid0(SALU_CYCLE_1) | instskip(NEXT) | instid1(SALU_CYCLE_1)
	s_and_saveexec_b32 s1, s0
	s_xor_b32 s1, exec_lo, s1
	s_cbranch_execz .LBB8_80
; %bb.25:
	v_sub_nc_u32_e32 v0, 0, v3
	s_mov_b32 s0, exec_lo
	s_delay_alu instid0(VALU_DEP_1) | instskip(NEXT) | instid1(VALU_DEP_1)
	v_bfe_u32 v0, v0, 2, 2
	v_min_i32_e32 v12, s14, v0
	s_delay_alu instid0(VALU_DEP_1)
	v_cmpx_gt_i32_e64 v12, v10
	s_cbranch_execz .LBB8_33
; %bb.26:
	v_lshl_add_u32 v0, v10, 2, v3
	s_mov_b32 s4, exec_lo
	ds_load_b32 v0, v0
	s_waitcnt lgkmcnt(0)
	v_div_scale_f32 v1, null, v8, v8, v0
	v_div_scale_f32 v6, vcc_lo, v0, v8, v0
	s_delay_alu instid0(VALU_DEP_2) | instskip(SKIP_2) | instid1(VALU_DEP_1)
	v_rcp_f32_e32 v2, v1
	s_waitcnt_depctr 0xfff
	v_fma_f32 v3, -v1, v2, 1.0
	v_fmac_f32_e32 v2, v3, v2
	s_delay_alu instid0(VALU_DEP_1) | instskip(NEXT) | instid1(VALU_DEP_1)
	v_mul_f32_e32 v3, v6, v2
	v_fma_f32 v7, -v1, v3, v6
	s_delay_alu instid0(VALU_DEP_1) | instskip(NEXT) | instid1(VALU_DEP_1)
	v_fmac_f32_e32 v3, v7, v2
	v_fma_f32 v1, -v1, v3, v6
	s_delay_alu instid0(VALU_DEP_1) | instskip(SKIP_2) | instid1(VALU_DEP_3)
	v_div_fmas_f32 v1, v1, v2, v3
	v_max_f32_e64 v2, s6, s6
	v_max_f32_e64 v3, s7, s7
	v_div_fixup_f32 v0, v1, v8, v0
	s_delay_alu instid0(VALU_DEP_1) | instskip(SKIP_1) | instid1(VALU_DEP_2)
	v_maxmin_f32 v0, v0, v2, v3
	v_mov_b32_e32 v2, 0x80
	v_and_b32_e32 v1, 0x7fffffff, v0
	s_delay_alu instid0(VALU_DEP_1)
	v_cmpx_gt_u32_e32 0x43800000, v1
	s_cbranch_execz .LBB8_32
; %bb.27:
	v_cmp_lt_u32_e32 vcc_lo, 0x3bffffff, v1
	s_mov_b32 s5, 0
                                        ; implicit-def: $vgpr1
	s_and_saveexec_b32 s8, vcc_lo
	s_delay_alu instid0(SALU_CYCLE_1)
	s_xor_b32 s8, exec_lo, s8
	s_cbranch_execnz .LBB8_117
; %bb.28:
	s_or_saveexec_b32 s8, s8
                                        ; implicit-def: $sgpr9
	s_delay_alu instid0(SALU_CYCLE_1)
	s_xor_b32 exec_lo, exec_lo, s8
	s_cbranch_execnz .LBB8_118
.LBB8_29:
	s_or_b32 exec_lo, exec_lo, s8
	v_mov_b32_e32 v2, s9
	s_and_saveexec_b32 s8, s5
.LBB8_30:
	v_lshrrev_b32_e32 v0, 24, v0
	s_delay_alu instid0(VALU_DEP_1)
	v_and_or_b32 v2, 0x80, v0, v1
.LBB8_31:
	s_or_b32 exec_lo, exec_lo, s8
.LBB8_32:
	s_delay_alu instid0(SALU_CYCLE_1) | instskip(SKIP_2) | instid1(VALU_DEP_2)
	s_or_b32 exec_lo, exec_lo, s4
	v_add_co_u32 v0, vcc_lo, s2, v4
	v_add_co_ci_u32_e32 v1, vcc_lo, s3, v5, vcc_lo
	v_add_co_u32 v0, vcc_lo, v0, v10
	s_delay_alu instid0(VALU_DEP_2)
	v_add_co_ci_u32_e32 v1, vcc_lo, 0, v1, vcc_lo
	global_store_b8 v[0:1], v2, off
.LBB8_33:
	s_or_b32 exec_lo, exec_lo, s0
	v_sub_nc_u32_e32 v9, s14, v12
	v_ashrrev_i32_e32 v13, 31, v12
	v_lshlrev_b32_e32 v15, 2, v12
	s_mov_b32 s4, exec_lo
	s_delay_alu instid0(VALU_DEP_3) | instskip(NEXT) | instid1(VALU_DEP_1)
	v_ashrrev_i32_e32 v0, 31, v9
	v_lshrrev_b32_e32 v0, 30, v0
	s_delay_alu instid0(VALU_DEP_1) | instskip(NEXT) | instid1(VALU_DEP_1)
	v_add_nc_u32_e32 v0, v9, v0
	v_ashrrev_i32_e32 v14, 2, v0
	s_delay_alu instid0(VALU_DEP_1)
	v_cmpx_gt_i32_e64 v14, v10
	s_cbranch_execz .LBB8_68
; %bb.34:
	v_lshlrev_b32_e32 v1, 2, v10
	v_add_co_u32 v2, vcc_lo, v12, v4
	v_dual_mov_b32 v19, v10 :: v_dual_lshlrev_b32 v0, 4, v10
	v_add_co_ci_u32_e32 v3, vcc_lo, v13, v5, vcc_lo
	s_delay_alu instid0(VALU_DEP_3) | instskip(NEXT) | instid1(VALU_DEP_3)
	v_add_co_u32 v1, vcc_lo, v2, v1
	v_lshl_add_u32 v0, v11, 2, v0
	s_delay_alu instid0(VALU_DEP_3) | instskip(NEXT) | instid1(VALU_DEP_3)
	v_add_co_ci_u32_e32 v2, vcc_lo, 0, v3, vcc_lo
	v_add_co_u32 v6, vcc_lo, s2, v1
	s_delay_alu instid0(VALU_DEP_3) | instskip(NEXT) | instid1(VALU_DEP_3)
	v_add3_u32 v16, v0, v15, 0
	v_add_co_ci_u32_e32 v7, vcc_lo, s3, v2, vcc_lo
	v_max_f32_e64 v17, s6, s6
	v_max_f32_e64 v18, s7, s7
	s_mov_b32 s5, 0
	s_branch .LBB8_37
.LBB8_35:                               ;   in Loop: Header=BB8_37 Depth=1
	s_or_b32 exec_lo, exec_lo, s9
.LBB8_36:                               ;   in Loop: Header=BB8_37 Depth=1
	s_delay_alu instid0(SALU_CYCLE_1)
	s_or_b32 exec_lo, exec_lo, s0
	v_lshlrev_b32_e32 v2, 16, v2
	v_lshlrev_b32_e32 v0, 8, v0
	v_and_b32_e32 v3, 0xff, v20
	v_add_nc_u32_e32 v19, 16, v19
	v_add_nc_u32_e32 v16, 0x100, v16
	v_perm_b32 v1, v1, v2, 0x4020c0c
	v_and_b32_e32 v0, 0xff00, v0
	s_delay_alu instid0(VALU_DEP_4) | instskip(NEXT) | instid1(VALU_DEP_2)
	v_cmp_ge_i32_e32 vcc_lo, v19, v14
	v_or3_b32 v0, v1, v0, v3
	s_or_b32 s5, vcc_lo, s5
	global_store_b32 v[6:7], v0, off
	v_add_co_u32 v6, s0, v6, 64
	s_delay_alu instid0(VALU_DEP_1)
	v_add_co_ci_u32_e64 v7, s0, 0, v7, s0
	s_and_not1_b32 exec_lo, exec_lo, s5
	s_cbranch_execz .LBB8_68
.LBB8_37:                               ; =>This Inner Loop Header: Depth=1
	ds_load_b128 v[0:3], v16
	s_mov_b32 s0, exec_lo
	s_waitcnt lgkmcnt(0)
	v_div_scale_f32 v20, null, v8, v8, v0
	v_div_scale_f32 v23, vcc_lo, v0, v8, v0
	s_delay_alu instid0(VALU_DEP_2) | instskip(SKIP_2) | instid1(VALU_DEP_1)
	v_rcp_f32_e32 v21, v20
	s_waitcnt_depctr 0xfff
	v_fma_f32 v22, -v20, v21, 1.0
	v_fmac_f32_e32 v21, v22, v21
	s_delay_alu instid0(VALU_DEP_1) | instskip(NEXT) | instid1(VALU_DEP_1)
	v_mul_f32_e32 v22, v23, v21
	v_fma_f32 v24, -v20, v22, v23
	s_delay_alu instid0(VALU_DEP_1) | instskip(NEXT) | instid1(VALU_DEP_1)
	v_fmac_f32_e32 v22, v24, v21
	v_fma_f32 v20, -v20, v22, v23
	s_delay_alu instid0(VALU_DEP_1) | instskip(NEXT) | instid1(VALU_DEP_1)
	v_div_fmas_f32 v20, v20, v21, v22
	v_div_fixup_f32 v0, v20, v8, v0
	v_mov_b32_e32 v20, 0x80
	s_delay_alu instid0(VALU_DEP_2) | instskip(SKIP_1) | instid1(VALU_DEP_2)
	v_maxmin_f32 v21, v0, v17, v18
	v_mov_b32_e32 v0, 0x80
	v_and_b32_e32 v22, 0x7fffffff, v21
	s_delay_alu instid0(VALU_DEP_1)
	v_cmpx_gt_u32_e32 0x43800000, v22
	s_cbranch_execz .LBB8_43
; %bb.38:                               ;   in Loop: Header=BB8_37 Depth=1
	v_cmp_lt_u32_e32 vcc_lo, 0x3bffffff, v22
	s_mov_b32 s8, 0
                                        ; implicit-def: $vgpr22
	s_and_saveexec_b32 s9, vcc_lo
	s_delay_alu instid0(SALU_CYCLE_1)
	s_xor_b32 s9, exec_lo, s9
	s_cbranch_execnz .LBB8_59
; %bb.39:                               ;   in Loop: Header=BB8_37 Depth=1
	s_or_saveexec_b32 s9, s9
                                        ; implicit-def: $sgpr10
	s_delay_alu instid0(SALU_CYCLE_1)
	s_xor_b32 exec_lo, exec_lo, s9
	s_cbranch_execnz .LBB8_60
.LBB8_40:                               ;   in Loop: Header=BB8_37 Depth=1
	s_or_b32 exec_lo, exec_lo, s9
	v_mov_b32_e32 v20, s10
	s_and_saveexec_b32 s9, s8
.LBB8_41:                               ;   in Loop: Header=BB8_37 Depth=1
	v_lshrrev_b32_e32 v20, 24, v21
	s_delay_alu instid0(VALU_DEP_1)
	v_and_or_b32 v20, 0x80, v20, v22
.LBB8_42:                               ;   in Loop: Header=BB8_37 Depth=1
	s_or_b32 exec_lo, exec_lo, s9
.LBB8_43:                               ;   in Loop: Header=BB8_37 Depth=1
	s_delay_alu instid0(SALU_CYCLE_1) | instskip(SKIP_2) | instid1(VALU_DEP_1)
	s_or_b32 exec_lo, exec_lo, s0
	v_div_scale_f32 v21, null, v8, v8, v1
	s_mov_b32 s0, exec_lo
	v_rcp_f32_e32 v22, v21
	s_waitcnt_depctr 0xfff
	v_fma_f32 v23, -v21, v22, 1.0
	s_delay_alu instid0(VALU_DEP_1) | instskip(SKIP_1) | instid1(VALU_DEP_1)
	v_fmac_f32_e32 v22, v23, v22
	v_div_scale_f32 v23, vcc_lo, v1, v8, v1
	v_mul_f32_e32 v24, v23, v22
	s_delay_alu instid0(VALU_DEP_1) | instskip(NEXT) | instid1(VALU_DEP_1)
	v_fma_f32 v25, -v21, v24, v23
	v_fmac_f32_e32 v24, v25, v22
	s_delay_alu instid0(VALU_DEP_1) | instskip(NEXT) | instid1(VALU_DEP_1)
	v_fma_f32 v21, -v21, v24, v23
	v_div_fmas_f32 v21, v21, v22, v24
	s_delay_alu instid0(VALU_DEP_1) | instskip(NEXT) | instid1(VALU_DEP_1)
	v_div_fixup_f32 v1, v21, v8, v1
	v_maxmin_f32 v1, v1, v17, v18
	s_delay_alu instid0(VALU_DEP_1) | instskip(NEXT) | instid1(VALU_DEP_1)
	v_and_b32_e32 v21, 0x7fffffff, v1
	v_cmpx_gt_u32_e32 0x43800000, v21
	s_cbranch_execz .LBB8_49
; %bb.44:                               ;   in Loop: Header=BB8_37 Depth=1
	v_cmp_lt_u32_e32 vcc_lo, 0x3bffffff, v21
	s_mov_b32 s8, 0
                                        ; implicit-def: $vgpr21
	s_and_saveexec_b32 s9, vcc_lo
	s_delay_alu instid0(SALU_CYCLE_1)
	s_xor_b32 s9, exec_lo, s9
	s_cbranch_execnz .LBB8_61
; %bb.45:                               ;   in Loop: Header=BB8_37 Depth=1
	s_or_saveexec_b32 s9, s9
                                        ; implicit-def: $sgpr10
	s_delay_alu instid0(SALU_CYCLE_1)
	s_xor_b32 exec_lo, exec_lo, s9
	s_cbranch_execnz .LBB8_62
.LBB8_46:                               ;   in Loop: Header=BB8_37 Depth=1
	s_or_b32 exec_lo, exec_lo, s9
	v_mov_b32_e32 v0, s10
	s_and_saveexec_b32 s9, s8
.LBB8_47:                               ;   in Loop: Header=BB8_37 Depth=1
	v_lshrrev_b32_e32 v0, 24, v1
	s_delay_alu instid0(VALU_DEP_1)
	v_and_or_b32 v0, 0x80, v0, v21
.LBB8_48:                               ;   in Loop: Header=BB8_37 Depth=1
	s_or_b32 exec_lo, exec_lo, s9
.LBB8_49:                               ;   in Loop: Header=BB8_37 Depth=1
	s_delay_alu instid0(SALU_CYCLE_1) | instskip(SKIP_3) | instid1(VALU_DEP_2)
	s_or_b32 exec_lo, exec_lo, s0
	v_div_scale_f32 v1, null, v8, v8, v2
	v_div_scale_f32 v23, vcc_lo, v2, v8, v2
	s_mov_b32 s0, exec_lo
	v_rcp_f32_e32 v21, v1
	s_waitcnt_depctr 0xfff
	v_fma_f32 v22, -v1, v21, 1.0
	s_delay_alu instid0(VALU_DEP_1) | instskip(NEXT) | instid1(VALU_DEP_1)
	v_fmac_f32_e32 v21, v22, v21
	v_mul_f32_e32 v22, v23, v21
	s_delay_alu instid0(VALU_DEP_1) | instskip(NEXT) | instid1(VALU_DEP_1)
	v_fma_f32 v24, -v1, v22, v23
	v_fmac_f32_e32 v22, v24, v21
	s_delay_alu instid0(VALU_DEP_1) | instskip(NEXT) | instid1(VALU_DEP_1)
	v_fma_f32 v1, -v1, v22, v23
	v_div_fmas_f32 v1, v1, v21, v22
	s_delay_alu instid0(VALU_DEP_1) | instskip(SKIP_1) | instid1(VALU_DEP_2)
	v_div_fixup_f32 v1, v1, v8, v2
	v_mov_b32_e32 v2, 0x80
	v_maxmin_f32 v21, v1, v17, v18
	v_mov_b32_e32 v1, 0x80
	s_delay_alu instid0(VALU_DEP_2) | instskip(NEXT) | instid1(VALU_DEP_1)
	v_and_b32_e32 v22, 0x7fffffff, v21
	v_cmpx_gt_u32_e32 0x43800000, v22
	s_cbranch_execz .LBB8_55
; %bb.50:                               ;   in Loop: Header=BB8_37 Depth=1
	v_cmp_lt_u32_e32 vcc_lo, 0x3bffffff, v22
	s_mov_b32 s8, 0
                                        ; implicit-def: $vgpr22
	s_and_saveexec_b32 s9, vcc_lo
	s_delay_alu instid0(SALU_CYCLE_1)
	s_xor_b32 s9, exec_lo, s9
	s_cbranch_execnz .LBB8_63
; %bb.51:                               ;   in Loop: Header=BB8_37 Depth=1
	s_or_saveexec_b32 s9, s9
                                        ; implicit-def: $sgpr10
	s_delay_alu instid0(SALU_CYCLE_1)
	s_xor_b32 exec_lo, exec_lo, s9
	s_cbranch_execnz .LBB8_64
.LBB8_52:                               ;   in Loop: Header=BB8_37 Depth=1
	s_or_b32 exec_lo, exec_lo, s9
	v_mov_b32_e32 v2, s10
	s_and_saveexec_b32 s9, s8
.LBB8_53:                               ;   in Loop: Header=BB8_37 Depth=1
	v_lshrrev_b32_e32 v2, 24, v21
	s_delay_alu instid0(VALU_DEP_1)
	v_and_or_b32 v2, 0x80, v2, v22
.LBB8_54:                               ;   in Loop: Header=BB8_37 Depth=1
	s_or_b32 exec_lo, exec_lo, s9
.LBB8_55:                               ;   in Loop: Header=BB8_37 Depth=1
	s_delay_alu instid0(SALU_CYCLE_1) | instskip(SKIP_2) | instid1(VALU_DEP_1)
	s_or_b32 exec_lo, exec_lo, s0
	v_div_scale_f32 v21, null, v8, v8, v3
	s_mov_b32 s0, exec_lo
	v_rcp_f32_e32 v22, v21
	s_waitcnt_depctr 0xfff
	v_fma_f32 v23, -v21, v22, 1.0
	s_delay_alu instid0(VALU_DEP_1) | instskip(SKIP_1) | instid1(VALU_DEP_1)
	v_fmac_f32_e32 v22, v23, v22
	v_div_scale_f32 v23, vcc_lo, v3, v8, v3
	v_mul_f32_e32 v24, v23, v22
	s_delay_alu instid0(VALU_DEP_1) | instskip(NEXT) | instid1(VALU_DEP_1)
	v_fma_f32 v25, -v21, v24, v23
	v_fmac_f32_e32 v24, v25, v22
	s_delay_alu instid0(VALU_DEP_1) | instskip(NEXT) | instid1(VALU_DEP_1)
	v_fma_f32 v21, -v21, v24, v23
	v_div_fmas_f32 v21, v21, v22, v24
	s_delay_alu instid0(VALU_DEP_1) | instskip(NEXT) | instid1(VALU_DEP_1)
	v_div_fixup_f32 v3, v21, v8, v3
	v_maxmin_f32 v3, v3, v17, v18
	s_delay_alu instid0(VALU_DEP_1) | instskip(NEXT) | instid1(VALU_DEP_1)
	v_and_b32_e32 v21, 0x7fffffff, v3
	v_cmpx_gt_u32_e32 0x43800000, v21
	s_cbranch_execz .LBB8_36
; %bb.56:                               ;   in Loop: Header=BB8_37 Depth=1
	v_cmp_lt_u32_e32 vcc_lo, 0x3bffffff, v21
	s_mov_b32 s8, 0
                                        ; implicit-def: $vgpr21
	s_and_saveexec_b32 s9, vcc_lo
	s_delay_alu instid0(SALU_CYCLE_1)
	s_xor_b32 s9, exec_lo, s9
	s_cbranch_execnz .LBB8_65
; %bb.57:                               ;   in Loop: Header=BB8_37 Depth=1
	s_or_saveexec_b32 s9, s9
                                        ; implicit-def: $sgpr10
	s_delay_alu instid0(SALU_CYCLE_1)
	s_xor_b32 exec_lo, exec_lo, s9
	s_cbranch_execnz .LBB8_66
.LBB8_58:                               ;   in Loop: Header=BB8_37 Depth=1
	s_or_b32 exec_lo, exec_lo, s9
	v_mov_b32_e32 v1, s10
	s_and_saveexec_b32 s9, s8
	s_cbranch_execz .LBB8_35
	s_branch .LBB8_67
.LBB8_59:                               ;   in Loop: Header=BB8_37 Depth=1
	v_bfe_u32 v20, v21, 20, 1
	s_mov_b32 s8, exec_lo
	s_delay_alu instid0(VALU_DEP_1) | instskip(NEXT) | instid1(VALU_DEP_1)
	v_add3_u32 v20, v21, v20, 0x487ffff
	v_lshrrev_b32_e32 v22, 20, v20
	s_or_saveexec_b32 s9, s9
                                        ; implicit-def: $sgpr10
	s_delay_alu instid0(SALU_CYCLE_1)
	s_xor_b32 exec_lo, exec_lo, s9
	s_cbranch_execz .LBB8_40
.LBB8_60:                               ;   in Loop: Header=BB8_37 Depth=1
	v_add_f32_e64 v20, 0x46000000, |v21|
	s_and_not1_b32 s8, s8, exec_lo
	s_mov_b32 s10, 0
	s_delay_alu instid0(VALU_DEP_1) | instskip(NEXT) | instid1(VALU_DEP_1)
	v_and_b32_e32 v22, 0xff, v20
	v_cmp_ne_u32_e32 vcc_lo, 0, v22
	s_and_b32 s11, vcc_lo, exec_lo
	s_delay_alu instid0(SALU_CYCLE_1)
	s_or_b32 s8, s8, s11
	s_or_b32 exec_lo, exec_lo, s9
	v_mov_b32_e32 v20, s10
	s_and_saveexec_b32 s9, s8
	s_cbranch_execnz .LBB8_41
	s_branch .LBB8_42
.LBB8_61:                               ;   in Loop: Header=BB8_37 Depth=1
	v_bfe_u32 v0, v1, 20, 1
	s_mov_b32 s8, exec_lo
	s_delay_alu instid0(VALU_DEP_1) | instskip(NEXT) | instid1(VALU_DEP_1)
	v_add3_u32 v0, v1, v0, 0x487ffff
	v_lshrrev_b32_e32 v21, 20, v0
	s_or_saveexec_b32 s9, s9
                                        ; implicit-def: $sgpr10
	s_delay_alu instid0(SALU_CYCLE_1)
	s_xor_b32 exec_lo, exec_lo, s9
	s_cbranch_execz .LBB8_46
.LBB8_62:                               ;   in Loop: Header=BB8_37 Depth=1
	v_add_f32_e64 v0, 0x46000000, |v1|
	s_and_not1_b32 s8, s8, exec_lo
	s_mov_b32 s10, 0
	s_delay_alu instid0(VALU_DEP_1) | instskip(NEXT) | instid1(VALU_DEP_1)
	v_and_b32_e32 v21, 0xff, v0
	v_cmp_ne_u32_e32 vcc_lo, 0, v21
	s_and_b32 s11, vcc_lo, exec_lo
	s_delay_alu instid0(SALU_CYCLE_1)
	s_or_b32 s8, s8, s11
	s_or_b32 exec_lo, exec_lo, s9
	v_mov_b32_e32 v0, s10
	s_and_saveexec_b32 s9, s8
	s_cbranch_execnz .LBB8_47
	s_branch .LBB8_48
.LBB8_63:                               ;   in Loop: Header=BB8_37 Depth=1
	v_bfe_u32 v2, v21, 20, 1
	s_mov_b32 s8, exec_lo
	s_delay_alu instid0(VALU_DEP_1) | instskip(NEXT) | instid1(VALU_DEP_1)
	v_add3_u32 v2, v21, v2, 0x487ffff
	v_lshrrev_b32_e32 v22, 20, v2
	s_or_saveexec_b32 s9, s9
                                        ; implicit-def: $sgpr10
	s_delay_alu instid0(SALU_CYCLE_1)
	s_xor_b32 exec_lo, exec_lo, s9
	s_cbranch_execz .LBB8_52
.LBB8_64:                               ;   in Loop: Header=BB8_37 Depth=1
	v_add_f32_e64 v2, 0x46000000, |v21|
	s_and_not1_b32 s8, s8, exec_lo
	s_mov_b32 s10, 0
	s_delay_alu instid0(VALU_DEP_1) | instskip(NEXT) | instid1(VALU_DEP_1)
	v_and_b32_e32 v22, 0xff, v2
	v_cmp_ne_u32_e32 vcc_lo, 0, v22
	s_and_b32 s11, vcc_lo, exec_lo
	s_delay_alu instid0(SALU_CYCLE_1)
	s_or_b32 s8, s8, s11
	s_or_b32 exec_lo, exec_lo, s9
	v_mov_b32_e32 v2, s10
	s_and_saveexec_b32 s9, s8
	s_cbranch_execnz .LBB8_53
	s_branch .LBB8_54
.LBB8_65:                               ;   in Loop: Header=BB8_37 Depth=1
	v_bfe_u32 v1, v3, 20, 1
	s_mov_b32 s8, exec_lo
	s_delay_alu instid0(VALU_DEP_1) | instskip(NEXT) | instid1(VALU_DEP_1)
	v_add3_u32 v1, v3, v1, 0x487ffff
	v_lshrrev_b32_e32 v21, 20, v1
	s_or_saveexec_b32 s9, s9
                                        ; implicit-def: $sgpr10
	s_delay_alu instid0(SALU_CYCLE_1)
	s_xor_b32 exec_lo, exec_lo, s9
	s_cbranch_execz .LBB8_58
.LBB8_66:                               ;   in Loop: Header=BB8_37 Depth=1
	v_add_f32_e64 v1, 0x46000000, |v3|
	s_and_not1_b32 s8, s8, exec_lo
	s_mov_b32 s10, 0
	s_delay_alu instid0(VALU_DEP_1) | instskip(NEXT) | instid1(VALU_DEP_1)
	v_and_b32_e32 v21, 0xff, v1
	v_cmp_ne_u32_e32 vcc_lo, 0, v21
	s_and_b32 s11, vcc_lo, exec_lo
	s_delay_alu instid0(SALU_CYCLE_1)
	s_or_b32 s8, s8, s11
	s_or_b32 exec_lo, exec_lo, s9
	v_mov_b32_e32 v1, s10
	s_and_saveexec_b32 s9, s8
	s_cbranch_execz .LBB8_35
.LBB8_67:                               ;   in Loop: Header=BB8_37 Depth=1
	v_lshrrev_b32_e32 v1, 24, v3
	s_delay_alu instid0(VALU_DEP_1)
	v_and_or_b32 v1, 0x80, v1, v21
	s_branch .LBB8_35
.LBB8_68:
	s_or_b32 exec_lo, exec_lo, s4
	v_lshl_add_u32 v2, v14, 2, v10
	s_mov_b32 s4, exec_lo
	s_delay_alu instid0(VALU_DEP_1)
	v_cmpx_lt_i32_e64 v2, v9
	s_cbranch_execz .LBB8_79
; %bb.69:
	v_lshlrev_b32_e32 v0, 2, v11
	v_lshlrev_b32_e32 v1, 4, v14
	s_mov_b32 s5, 0
	s_delay_alu instid0(VALU_DEP_1) | instskip(SKIP_4) | instid1(VALU_DEP_4)
	v_add3_u32 v0, v0, v1, v15
	v_add_co_u32 v1, vcc_lo, v12, v4
	v_add_co_ci_u32_e32 v3, vcc_lo, v13, v5, vcc_lo
	v_ashrrev_i32_e32 v4, 31, v2
	v_lshlrev_b32_e32 v5, 2, v10
	v_add_co_u32 v1, vcc_lo, v1, v2
	s_delay_alu instid0(VALU_DEP_3) | instskip(NEXT) | instid1(VALU_DEP_3)
	v_add_co_ci_u32_e32 v4, vcc_lo, v3, v4, vcc_lo
	v_add3_u32 v3, v0, v5, 0
	s_delay_alu instid0(VALU_DEP_3) | instskip(NEXT) | instid1(VALU_DEP_3)
	v_add_co_u32 v0, vcc_lo, s2, v1
	v_add_co_ci_u32_e32 v1, vcc_lo, s3, v4, vcc_lo
	v_max_f32_e64 v4, s6, s6
	v_max_f32_e64 v5, s7, s7
	s_branch .LBB8_72
.LBB8_70:                               ;   in Loop: Header=BB8_72 Depth=1
	s_or_b32 exec_lo, exec_lo, s9
.LBB8_71:                               ;   in Loop: Header=BB8_72 Depth=1
	s_delay_alu instid0(SALU_CYCLE_1)
	s_or_b32 exec_lo, exec_lo, s0
	v_add_nc_u32_e32 v2, 16, v2
	global_store_b8 v[0:1], v10, off
	v_add_co_u32 v0, s0, v0, 16
	v_add_nc_u32_e32 v3, 64, v3
	v_cmp_ge_i32_e32 vcc_lo, v2, v9
	v_add_co_ci_u32_e64 v1, s0, 0, v1, s0
	s_or_b32 s5, vcc_lo, s5
	s_delay_alu instid0(SALU_CYCLE_1)
	s_and_not1_b32 exec_lo, exec_lo, s5
	s_cbranch_execz .LBB8_79
.LBB8_72:                               ; =>This Inner Loop Header: Depth=1
	ds_load_b32 v6, v3
	s_mov_b32 s0, exec_lo
	s_waitcnt lgkmcnt(0)
	v_div_scale_f32 v7, null, v8, v8, v6
	v_div_scale_f32 v12, vcc_lo, v6, v8, v6
	s_delay_alu instid0(VALU_DEP_2) | instskip(SKIP_2) | instid1(VALU_DEP_1)
	v_rcp_f32_e32 v10, v7
	s_waitcnt_depctr 0xfff
	v_fma_f32 v11, -v7, v10, 1.0
	v_fmac_f32_e32 v10, v11, v10
	s_delay_alu instid0(VALU_DEP_1) | instskip(NEXT) | instid1(VALU_DEP_1)
	v_mul_f32_e32 v11, v12, v10
	v_fma_f32 v13, -v7, v11, v12
	s_delay_alu instid0(VALU_DEP_1) | instskip(NEXT) | instid1(VALU_DEP_1)
	v_fmac_f32_e32 v11, v13, v10
	v_fma_f32 v7, -v7, v11, v12
	s_delay_alu instid0(VALU_DEP_1) | instskip(SKIP_1) | instid1(VALU_DEP_2)
	v_div_fmas_f32 v7, v7, v10, v11
	v_mov_b32_e32 v10, 0x80
	v_div_fixup_f32 v6, v7, v8, v6
	s_delay_alu instid0(VALU_DEP_1) | instskip(NEXT) | instid1(VALU_DEP_1)
	v_maxmin_f32 v6, v6, v4, v5
	v_and_b32_e32 v7, 0x7fffffff, v6
	s_delay_alu instid0(VALU_DEP_1)
	v_cmpx_gt_u32_e32 0x43800000, v7
	s_cbranch_execz .LBB8_71
; %bb.73:                               ;   in Loop: Header=BB8_72 Depth=1
	v_cmp_lt_u32_e32 vcc_lo, 0x3bffffff, v7
	s_mov_b32 s8, 0
                                        ; implicit-def: $vgpr7
	s_and_saveexec_b32 s9, vcc_lo
	s_delay_alu instid0(SALU_CYCLE_1)
	s_xor_b32 s9, exec_lo, s9
	s_cbranch_execnz .LBB8_76
; %bb.74:                               ;   in Loop: Header=BB8_72 Depth=1
	s_or_saveexec_b32 s9, s9
                                        ; implicit-def: $sgpr10
	s_delay_alu instid0(SALU_CYCLE_1)
	s_xor_b32 exec_lo, exec_lo, s9
	s_cbranch_execnz .LBB8_77
.LBB8_75:                               ;   in Loop: Header=BB8_72 Depth=1
	s_or_b32 exec_lo, exec_lo, s9
	v_mov_b32_e32 v10, s10
	s_and_saveexec_b32 s9, s8
	s_cbranch_execz .LBB8_70
	s_branch .LBB8_78
.LBB8_76:                               ;   in Loop: Header=BB8_72 Depth=1
	v_bfe_u32 v7, v6, 20, 1
	s_mov_b32 s8, exec_lo
	s_delay_alu instid0(VALU_DEP_1) | instskip(NEXT) | instid1(VALU_DEP_1)
	v_add3_u32 v7, v6, v7, 0x487ffff
	v_lshrrev_b32_e32 v7, 20, v7
	s_or_saveexec_b32 s9, s9
                                        ; implicit-def: $sgpr10
	s_delay_alu instid0(SALU_CYCLE_1)
	s_xor_b32 exec_lo, exec_lo, s9
	s_cbranch_execz .LBB8_75
.LBB8_77:                               ;   in Loop: Header=BB8_72 Depth=1
	v_add_f32_e64 v7, 0x46000000, |v6|
	s_and_not1_b32 s8, s8, exec_lo
	s_mov_b32 s10, 0
	s_delay_alu instid0(VALU_DEP_1) | instskip(NEXT) | instid1(VALU_DEP_1)
	v_and_b32_e32 v7, 0xff, v7
	v_cmp_ne_u32_e32 vcc_lo, 0, v7
	s_and_b32 s11, vcc_lo, exec_lo
	s_delay_alu instid0(SALU_CYCLE_1)
	s_or_b32 s8, s8, s11
	s_or_b32 exec_lo, exec_lo, s9
	v_mov_b32_e32 v10, s10
	s_and_saveexec_b32 s9, s8
	s_cbranch_execz .LBB8_70
.LBB8_78:                               ;   in Loop: Header=BB8_72 Depth=1
	v_lshrrev_b32_e32 v6, 24, v6
	s_delay_alu instid0(VALU_DEP_1)
	v_and_or_b32 v10, 0x80, v6, v7
	s_branch .LBB8_70
.LBB8_79:
	s_or_b32 exec_lo, exec_lo, s4
                                        ; implicit-def: $vgpr10
                                        ; implicit-def: $vgpr8
                                        ; implicit-def: $vgpr11
                                        ; implicit-def: $vgpr4_vgpr5
.LBB8_80:
	s_and_not1_saveexec_b32 s0, s1
	s_cbranch_execz .LBB8_116
; %bb.81:
	s_ashr_i32 s1, s14, 2
	s_mov_b32 s0, exec_lo
	v_cmpx_gt_i32_e64 s1, v10
	s_cbranch_execz .LBB8_116
; %bb.82:
	v_lshlrev_b32_e32 v0, 2, v10
	v_lshlrev_b32_e32 v1, 2, v11
	;; [unrolled: 1-line block ×3, first 2 shown]
	v_max_f32_e64 v7, s6, s6
	v_max_f32_e64 v9, s7, s7
	v_add_co_u32 v0, vcc_lo, v4, v0
	v_add_co_ci_u32_e32 v3, vcc_lo, 0, v5, vcc_lo
	v_add3_u32 v6, v1, v2, 0
	s_delay_alu instid0(VALU_DEP_3) | instskip(NEXT) | instid1(VALU_DEP_3)
	v_add_co_u32 v4, vcc_lo, s2, v0
	v_add_co_ci_u32_e32 v5, vcc_lo, s3, v3, vcc_lo
	s_mov_b32 s2, 0
	s_branch .LBB8_85
.LBB8_83:                               ;   in Loop: Header=BB8_85 Depth=1
	s_or_b32 exec_lo, exec_lo, s4
.LBB8_84:                               ;   in Loop: Header=BB8_85 Depth=1
	s_delay_alu instid0(SALU_CYCLE_1)
	s_or_b32 exec_lo, exec_lo, s0
	v_lshlrev_b32_e32 v2, 16, v2
	v_lshlrev_b32_e32 v0, 8, v0
	v_and_b32_e32 v3, 0xff, v11
	v_add_nc_u32_e32 v10, 16, v10
	v_add_nc_u32_e32 v6, 0x100, v6
	v_perm_b32 v1, v1, v2, 0x4020c0c
	v_and_b32_e32 v0, 0xff00, v0
	s_delay_alu instid0(VALU_DEP_4) | instskip(NEXT) | instid1(VALU_DEP_2)
	v_cmp_le_i32_e32 vcc_lo, s1, v10
	v_or3_b32 v0, v1, v0, v3
	s_or_b32 s2, vcc_lo, s2
	global_store_b32 v[4:5], v0, off
	v_add_co_u32 v4, s0, v4, 64
	s_delay_alu instid0(VALU_DEP_1)
	v_add_co_ci_u32_e64 v5, s0, 0, v5, s0
	s_and_not1_b32 exec_lo, exec_lo, s2
	s_cbranch_execz .LBB8_116
.LBB8_85:                               ; =>This Inner Loop Header: Depth=1
	ds_load_b128 v[0:3], v6
	s_mov_b32 s0, exec_lo
	s_waitcnt lgkmcnt(0)
	v_div_scale_f32 v11, null, v8, v8, v0
	v_div_scale_f32 v14, vcc_lo, v0, v8, v0
	s_delay_alu instid0(VALU_DEP_2) | instskip(SKIP_2) | instid1(VALU_DEP_1)
	v_rcp_f32_e32 v12, v11
	s_waitcnt_depctr 0xfff
	v_fma_f32 v13, -v11, v12, 1.0
	v_fmac_f32_e32 v12, v13, v12
	s_delay_alu instid0(VALU_DEP_1) | instskip(NEXT) | instid1(VALU_DEP_1)
	v_mul_f32_e32 v13, v14, v12
	v_fma_f32 v15, -v11, v13, v14
	s_delay_alu instid0(VALU_DEP_1) | instskip(NEXT) | instid1(VALU_DEP_1)
	v_fmac_f32_e32 v13, v15, v12
	v_fma_f32 v11, -v11, v13, v14
	s_delay_alu instid0(VALU_DEP_1) | instskip(NEXT) | instid1(VALU_DEP_1)
	v_div_fmas_f32 v11, v11, v12, v13
	v_div_fixup_f32 v0, v11, v8, v0
	v_mov_b32_e32 v11, 0x80
	s_delay_alu instid0(VALU_DEP_2) | instskip(SKIP_1) | instid1(VALU_DEP_2)
	v_maxmin_f32 v12, v0, v7, v9
	v_mov_b32_e32 v0, 0x80
	v_and_b32_e32 v13, 0x7fffffff, v12
	s_delay_alu instid0(VALU_DEP_1)
	v_cmpx_gt_u32_e32 0x43800000, v13
	s_cbranch_execz .LBB8_91
; %bb.86:                               ;   in Loop: Header=BB8_85 Depth=1
	v_cmp_lt_u32_e32 vcc_lo, 0x3bffffff, v13
	s_mov_b32 s3, 0
                                        ; implicit-def: $vgpr13
	s_and_saveexec_b32 s4, vcc_lo
	s_delay_alu instid0(SALU_CYCLE_1)
	s_xor_b32 s4, exec_lo, s4
	s_cbranch_execnz .LBB8_107
; %bb.87:                               ;   in Loop: Header=BB8_85 Depth=1
	s_or_saveexec_b32 s4, s4
                                        ; implicit-def: $sgpr5
	s_delay_alu instid0(SALU_CYCLE_1)
	s_xor_b32 exec_lo, exec_lo, s4
	s_cbranch_execnz .LBB8_108
.LBB8_88:                               ;   in Loop: Header=BB8_85 Depth=1
	s_or_b32 exec_lo, exec_lo, s4
	v_mov_b32_e32 v11, s5
	s_and_saveexec_b32 s4, s3
.LBB8_89:                               ;   in Loop: Header=BB8_85 Depth=1
	v_lshrrev_b32_e32 v11, 24, v12
	s_delay_alu instid0(VALU_DEP_1)
	v_and_or_b32 v11, 0x80, v11, v13
.LBB8_90:                               ;   in Loop: Header=BB8_85 Depth=1
	s_or_b32 exec_lo, exec_lo, s4
.LBB8_91:                               ;   in Loop: Header=BB8_85 Depth=1
	s_delay_alu instid0(SALU_CYCLE_1) | instskip(SKIP_2) | instid1(VALU_DEP_1)
	s_or_b32 exec_lo, exec_lo, s0
	v_div_scale_f32 v12, null, v8, v8, v1
	s_mov_b32 s0, exec_lo
	v_rcp_f32_e32 v13, v12
	s_waitcnt_depctr 0xfff
	v_fma_f32 v14, -v12, v13, 1.0
	s_delay_alu instid0(VALU_DEP_1) | instskip(SKIP_1) | instid1(VALU_DEP_1)
	v_fmac_f32_e32 v13, v14, v13
	v_div_scale_f32 v14, vcc_lo, v1, v8, v1
	v_mul_f32_e32 v15, v14, v13
	s_delay_alu instid0(VALU_DEP_1) | instskip(NEXT) | instid1(VALU_DEP_1)
	v_fma_f32 v16, -v12, v15, v14
	v_fmac_f32_e32 v15, v16, v13
	s_delay_alu instid0(VALU_DEP_1) | instskip(NEXT) | instid1(VALU_DEP_1)
	v_fma_f32 v12, -v12, v15, v14
	v_div_fmas_f32 v12, v12, v13, v15
	s_delay_alu instid0(VALU_DEP_1) | instskip(NEXT) | instid1(VALU_DEP_1)
	v_div_fixup_f32 v1, v12, v8, v1
	v_maxmin_f32 v1, v1, v7, v9
	s_delay_alu instid0(VALU_DEP_1) | instskip(NEXT) | instid1(VALU_DEP_1)
	v_and_b32_e32 v12, 0x7fffffff, v1
	v_cmpx_gt_u32_e32 0x43800000, v12
	s_cbranch_execz .LBB8_97
; %bb.92:                               ;   in Loop: Header=BB8_85 Depth=1
	v_cmp_lt_u32_e32 vcc_lo, 0x3bffffff, v12
	s_mov_b32 s3, 0
                                        ; implicit-def: $vgpr12
	s_and_saveexec_b32 s4, vcc_lo
	s_delay_alu instid0(SALU_CYCLE_1)
	s_xor_b32 s4, exec_lo, s4
	s_cbranch_execnz .LBB8_109
; %bb.93:                               ;   in Loop: Header=BB8_85 Depth=1
	s_or_saveexec_b32 s4, s4
                                        ; implicit-def: $sgpr5
	s_delay_alu instid0(SALU_CYCLE_1)
	s_xor_b32 exec_lo, exec_lo, s4
	s_cbranch_execnz .LBB8_110
.LBB8_94:                               ;   in Loop: Header=BB8_85 Depth=1
	s_or_b32 exec_lo, exec_lo, s4
	v_mov_b32_e32 v0, s5
	s_and_saveexec_b32 s4, s3
.LBB8_95:                               ;   in Loop: Header=BB8_85 Depth=1
	v_lshrrev_b32_e32 v0, 24, v1
	s_delay_alu instid0(VALU_DEP_1)
	v_and_or_b32 v0, 0x80, v0, v12
.LBB8_96:                               ;   in Loop: Header=BB8_85 Depth=1
	s_or_b32 exec_lo, exec_lo, s4
.LBB8_97:                               ;   in Loop: Header=BB8_85 Depth=1
	s_delay_alu instid0(SALU_CYCLE_1) | instskip(SKIP_3) | instid1(VALU_DEP_2)
	s_or_b32 exec_lo, exec_lo, s0
	v_div_scale_f32 v1, null, v8, v8, v2
	v_div_scale_f32 v14, vcc_lo, v2, v8, v2
	s_mov_b32 s0, exec_lo
	v_rcp_f32_e32 v12, v1
	s_waitcnt_depctr 0xfff
	v_fma_f32 v13, -v1, v12, 1.0
	s_delay_alu instid0(VALU_DEP_1) | instskip(NEXT) | instid1(VALU_DEP_1)
	v_fmac_f32_e32 v12, v13, v12
	v_mul_f32_e32 v13, v14, v12
	s_delay_alu instid0(VALU_DEP_1) | instskip(NEXT) | instid1(VALU_DEP_1)
	v_fma_f32 v15, -v1, v13, v14
	v_fmac_f32_e32 v13, v15, v12
	s_delay_alu instid0(VALU_DEP_1) | instskip(NEXT) | instid1(VALU_DEP_1)
	v_fma_f32 v1, -v1, v13, v14
	v_div_fmas_f32 v1, v1, v12, v13
	s_delay_alu instid0(VALU_DEP_1) | instskip(SKIP_1) | instid1(VALU_DEP_2)
	v_div_fixup_f32 v1, v1, v8, v2
	v_mov_b32_e32 v2, 0x80
	v_maxmin_f32 v12, v1, v7, v9
	v_mov_b32_e32 v1, 0x80
	s_delay_alu instid0(VALU_DEP_2) | instskip(NEXT) | instid1(VALU_DEP_1)
	v_and_b32_e32 v13, 0x7fffffff, v12
	v_cmpx_gt_u32_e32 0x43800000, v13
	s_cbranch_execz .LBB8_103
; %bb.98:                               ;   in Loop: Header=BB8_85 Depth=1
	v_cmp_lt_u32_e32 vcc_lo, 0x3bffffff, v13
	s_mov_b32 s3, 0
                                        ; implicit-def: $vgpr13
	s_and_saveexec_b32 s4, vcc_lo
	s_delay_alu instid0(SALU_CYCLE_1)
	s_xor_b32 s4, exec_lo, s4
	s_cbranch_execnz .LBB8_111
; %bb.99:                               ;   in Loop: Header=BB8_85 Depth=1
	s_or_saveexec_b32 s4, s4
                                        ; implicit-def: $sgpr5
	s_delay_alu instid0(SALU_CYCLE_1)
	s_xor_b32 exec_lo, exec_lo, s4
	s_cbranch_execnz .LBB8_112
.LBB8_100:                              ;   in Loop: Header=BB8_85 Depth=1
	s_or_b32 exec_lo, exec_lo, s4
	v_mov_b32_e32 v2, s5
	s_and_saveexec_b32 s4, s3
.LBB8_101:                              ;   in Loop: Header=BB8_85 Depth=1
	v_lshrrev_b32_e32 v2, 24, v12
	s_delay_alu instid0(VALU_DEP_1)
	v_and_or_b32 v2, 0x80, v2, v13
.LBB8_102:                              ;   in Loop: Header=BB8_85 Depth=1
	s_or_b32 exec_lo, exec_lo, s4
.LBB8_103:                              ;   in Loop: Header=BB8_85 Depth=1
	s_delay_alu instid0(SALU_CYCLE_1) | instskip(SKIP_2) | instid1(VALU_DEP_1)
	s_or_b32 exec_lo, exec_lo, s0
	v_div_scale_f32 v12, null, v8, v8, v3
	s_mov_b32 s0, exec_lo
	v_rcp_f32_e32 v13, v12
	s_waitcnt_depctr 0xfff
	v_fma_f32 v14, -v12, v13, 1.0
	s_delay_alu instid0(VALU_DEP_1) | instskip(SKIP_1) | instid1(VALU_DEP_1)
	v_fmac_f32_e32 v13, v14, v13
	v_div_scale_f32 v14, vcc_lo, v3, v8, v3
	v_mul_f32_e32 v15, v14, v13
	s_delay_alu instid0(VALU_DEP_1) | instskip(NEXT) | instid1(VALU_DEP_1)
	v_fma_f32 v16, -v12, v15, v14
	v_fmac_f32_e32 v15, v16, v13
	s_delay_alu instid0(VALU_DEP_1) | instskip(NEXT) | instid1(VALU_DEP_1)
	v_fma_f32 v12, -v12, v15, v14
	v_div_fmas_f32 v12, v12, v13, v15
	s_delay_alu instid0(VALU_DEP_1) | instskip(NEXT) | instid1(VALU_DEP_1)
	v_div_fixup_f32 v3, v12, v8, v3
	v_maxmin_f32 v3, v3, v7, v9
	s_delay_alu instid0(VALU_DEP_1) | instskip(NEXT) | instid1(VALU_DEP_1)
	v_and_b32_e32 v12, 0x7fffffff, v3
	v_cmpx_gt_u32_e32 0x43800000, v12
	s_cbranch_execz .LBB8_84
; %bb.104:                              ;   in Loop: Header=BB8_85 Depth=1
	v_cmp_lt_u32_e32 vcc_lo, 0x3bffffff, v12
	s_mov_b32 s3, 0
                                        ; implicit-def: $vgpr12
	s_and_saveexec_b32 s4, vcc_lo
	s_delay_alu instid0(SALU_CYCLE_1)
	s_xor_b32 s4, exec_lo, s4
	s_cbranch_execnz .LBB8_113
; %bb.105:                              ;   in Loop: Header=BB8_85 Depth=1
	s_or_saveexec_b32 s4, s4
                                        ; implicit-def: $sgpr5
	s_delay_alu instid0(SALU_CYCLE_1)
	s_xor_b32 exec_lo, exec_lo, s4
	s_cbranch_execnz .LBB8_114
.LBB8_106:                              ;   in Loop: Header=BB8_85 Depth=1
	s_or_b32 exec_lo, exec_lo, s4
	v_mov_b32_e32 v1, s5
	s_and_saveexec_b32 s4, s3
	s_cbranch_execz .LBB8_83
	s_branch .LBB8_115
.LBB8_107:                              ;   in Loop: Header=BB8_85 Depth=1
	v_bfe_u32 v11, v12, 20, 1
	s_mov_b32 s3, exec_lo
	s_delay_alu instid0(VALU_DEP_1) | instskip(NEXT) | instid1(VALU_DEP_1)
	v_add3_u32 v11, v12, v11, 0x487ffff
	v_lshrrev_b32_e32 v13, 20, v11
	s_or_saveexec_b32 s4, s4
                                        ; implicit-def: $sgpr5
	s_delay_alu instid0(SALU_CYCLE_1)
	s_xor_b32 exec_lo, exec_lo, s4
	s_cbranch_execz .LBB8_88
.LBB8_108:                              ;   in Loop: Header=BB8_85 Depth=1
	v_add_f32_e64 v11, 0x46000000, |v12|
	s_and_not1_b32 s3, s3, exec_lo
	s_mov_b32 s5, 0
	s_delay_alu instid0(VALU_DEP_1) | instskip(NEXT) | instid1(VALU_DEP_1)
	v_and_b32_e32 v13, 0xff, v11
	v_cmp_ne_u32_e32 vcc_lo, 0, v13
	s_and_b32 s6, vcc_lo, exec_lo
	s_delay_alu instid0(SALU_CYCLE_1)
	s_or_b32 s3, s3, s6
	s_or_b32 exec_lo, exec_lo, s4
	v_mov_b32_e32 v11, s5
	s_and_saveexec_b32 s4, s3
	s_cbranch_execnz .LBB8_89
	s_branch .LBB8_90
.LBB8_109:                              ;   in Loop: Header=BB8_85 Depth=1
	v_bfe_u32 v0, v1, 20, 1
	s_mov_b32 s3, exec_lo
	s_delay_alu instid0(VALU_DEP_1) | instskip(NEXT) | instid1(VALU_DEP_1)
	v_add3_u32 v0, v1, v0, 0x487ffff
	v_lshrrev_b32_e32 v12, 20, v0
	s_or_saveexec_b32 s4, s4
                                        ; implicit-def: $sgpr5
	s_delay_alu instid0(SALU_CYCLE_1)
	s_xor_b32 exec_lo, exec_lo, s4
	s_cbranch_execz .LBB8_94
.LBB8_110:                              ;   in Loop: Header=BB8_85 Depth=1
	v_add_f32_e64 v0, 0x46000000, |v1|
	s_and_not1_b32 s3, s3, exec_lo
	s_mov_b32 s5, 0
	s_delay_alu instid0(VALU_DEP_1) | instskip(NEXT) | instid1(VALU_DEP_1)
	v_and_b32_e32 v12, 0xff, v0
	v_cmp_ne_u32_e32 vcc_lo, 0, v12
	s_and_b32 s6, vcc_lo, exec_lo
	s_delay_alu instid0(SALU_CYCLE_1)
	s_or_b32 s3, s3, s6
	s_or_b32 exec_lo, exec_lo, s4
	v_mov_b32_e32 v0, s5
	s_and_saveexec_b32 s4, s3
	s_cbranch_execnz .LBB8_95
	s_branch .LBB8_96
.LBB8_111:                              ;   in Loop: Header=BB8_85 Depth=1
	v_bfe_u32 v2, v12, 20, 1
	s_mov_b32 s3, exec_lo
	s_delay_alu instid0(VALU_DEP_1) | instskip(NEXT) | instid1(VALU_DEP_1)
	v_add3_u32 v2, v12, v2, 0x487ffff
	v_lshrrev_b32_e32 v13, 20, v2
	s_or_saveexec_b32 s4, s4
                                        ; implicit-def: $sgpr5
	s_delay_alu instid0(SALU_CYCLE_1)
	s_xor_b32 exec_lo, exec_lo, s4
	s_cbranch_execz .LBB8_100
.LBB8_112:                              ;   in Loop: Header=BB8_85 Depth=1
	v_add_f32_e64 v2, 0x46000000, |v12|
	s_and_not1_b32 s3, s3, exec_lo
	s_mov_b32 s5, 0
	s_delay_alu instid0(VALU_DEP_1) | instskip(NEXT) | instid1(VALU_DEP_1)
	v_and_b32_e32 v13, 0xff, v2
	v_cmp_ne_u32_e32 vcc_lo, 0, v13
	s_and_b32 s6, vcc_lo, exec_lo
	s_delay_alu instid0(SALU_CYCLE_1)
	s_or_b32 s3, s3, s6
	s_or_b32 exec_lo, exec_lo, s4
	v_mov_b32_e32 v2, s5
	s_and_saveexec_b32 s4, s3
	s_cbranch_execnz .LBB8_101
	s_branch .LBB8_102
.LBB8_113:                              ;   in Loop: Header=BB8_85 Depth=1
	v_bfe_u32 v1, v3, 20, 1
	s_mov_b32 s3, exec_lo
	s_delay_alu instid0(VALU_DEP_1) | instskip(NEXT) | instid1(VALU_DEP_1)
	v_add3_u32 v1, v3, v1, 0x487ffff
	v_lshrrev_b32_e32 v12, 20, v1
	s_or_saveexec_b32 s4, s4
                                        ; implicit-def: $sgpr5
	s_delay_alu instid0(SALU_CYCLE_1)
	s_xor_b32 exec_lo, exec_lo, s4
	s_cbranch_execz .LBB8_106
.LBB8_114:                              ;   in Loop: Header=BB8_85 Depth=1
	v_add_f32_e64 v1, 0x46000000, |v3|
	s_and_not1_b32 s3, s3, exec_lo
	s_mov_b32 s5, 0
	s_delay_alu instid0(VALU_DEP_1) | instskip(NEXT) | instid1(VALU_DEP_1)
	v_and_b32_e32 v12, 0xff, v1
	v_cmp_ne_u32_e32 vcc_lo, 0, v12
	s_and_b32 s6, vcc_lo, exec_lo
	s_delay_alu instid0(SALU_CYCLE_1)
	s_or_b32 s3, s3, s6
	s_or_b32 exec_lo, exec_lo, s4
	v_mov_b32_e32 v1, s5
	s_and_saveexec_b32 s4, s3
	s_cbranch_execz .LBB8_83
.LBB8_115:                              ;   in Loop: Header=BB8_85 Depth=1
	v_lshrrev_b32_e32 v1, 24, v3
	s_delay_alu instid0(VALU_DEP_1)
	v_and_or_b32 v1, 0x80, v1, v12
	s_branch .LBB8_83
.LBB8_116:
	s_nop 0
	s_sendmsg sendmsg(MSG_DEALLOC_VGPRS)
	s_endpgm
.LBB8_117:
	v_bfe_u32 v1, v0, 20, 1
	s_mov_b32 s5, exec_lo
	s_delay_alu instid0(VALU_DEP_1) | instskip(NEXT) | instid1(VALU_DEP_1)
	v_add3_u32 v1, v0, v1, 0x487ffff
	v_lshrrev_b32_e32 v1, 20, v1
	s_or_saveexec_b32 s8, s8
                                        ; implicit-def: $sgpr9
	s_delay_alu instid0(SALU_CYCLE_1)
	s_xor_b32 exec_lo, exec_lo, s8
	s_cbranch_execz .LBB8_29
.LBB8_118:
	v_add_f32_e64 v1, 0x46000000, |v0|
	s_and_not1_b32 s5, s5, exec_lo
	s_mov_b32 s9, 0
	s_delay_alu instid0(VALU_DEP_1) | instskip(NEXT) | instid1(VALU_DEP_1)
	v_and_b32_e32 v1, 0xff, v1
	v_cmp_ne_u32_e32 vcc_lo, 0, v1
	s_and_b32 s10, vcc_lo, exec_lo
	s_delay_alu instid0(SALU_CYCLE_1)
	s_or_b32 s5, s5, s10
	s_or_b32 exec_lo, exec_lo, s8
	v_mov_b32_e32 v2, s9
	s_and_saveexec_b32 s8, s5
	s_cbranch_execnz .LBB8_30
	s_branch .LBB8_31
	.section	.rodata,"a",@progbits
	.p2align	6, 0x0
	.amdhsa_kernel _Z33per_token_group_quant_8bit_kernelIfN3c1015Float8_e4m3fnuzELb1ELb1EfEvPKT_PvPT3_iiifffii
		.amdhsa_group_segment_fixed_size 0
		.amdhsa_private_segment_fixed_size 0
		.amdhsa_kernarg_size 56
		.amdhsa_user_sgpr_count 15
		.amdhsa_user_sgpr_dispatch_ptr 0
		.amdhsa_user_sgpr_queue_ptr 0
		.amdhsa_user_sgpr_kernarg_segment_ptr 1
		.amdhsa_user_sgpr_dispatch_id 0
		.amdhsa_user_sgpr_private_segment_size 0
		.amdhsa_wavefront_size32 1
		.amdhsa_uses_dynamic_stack 0
		.amdhsa_enable_private_segment 0
		.amdhsa_system_sgpr_workgroup_id_x 1
		.amdhsa_system_sgpr_workgroup_id_y 0
		.amdhsa_system_sgpr_workgroup_id_z 0
		.amdhsa_system_sgpr_workgroup_info 0
		.amdhsa_system_vgpr_workitem_id 0
		.amdhsa_next_free_vgpr 26
		.amdhsa_next_free_sgpr 17
		.amdhsa_reserve_vcc 1
		.amdhsa_float_round_mode_32 0
		.amdhsa_float_round_mode_16_64 0
		.amdhsa_float_denorm_mode_32 3
		.amdhsa_float_denorm_mode_16_64 3
		.amdhsa_dx10_clamp 1
		.amdhsa_ieee_mode 1
		.amdhsa_fp16_overflow 0
		.amdhsa_workgroup_processor_mode 1
		.amdhsa_memory_ordered 1
		.amdhsa_forward_progress 0
		.amdhsa_shared_vgpr_count 0
		.amdhsa_exception_fp_ieee_invalid_op 0
		.amdhsa_exception_fp_denorm_src 0
		.amdhsa_exception_fp_ieee_div_zero 0
		.amdhsa_exception_fp_ieee_overflow 0
		.amdhsa_exception_fp_ieee_underflow 0
		.amdhsa_exception_fp_ieee_inexact 0
		.amdhsa_exception_int_div_zero 0
	.end_amdhsa_kernel
	.section	.text._Z33per_token_group_quant_8bit_kernelIfN3c1015Float8_e4m3fnuzELb1ELb1EfEvPKT_PvPT3_iiifffii,"axG",@progbits,_Z33per_token_group_quant_8bit_kernelIfN3c1015Float8_e4m3fnuzELb1ELb1EfEvPKT_PvPT3_iiifffii,comdat
.Lfunc_end8:
	.size	_Z33per_token_group_quant_8bit_kernelIfN3c1015Float8_e4m3fnuzELb1ELb1EfEvPKT_PvPT3_iiifffii, .Lfunc_end8-_Z33per_token_group_quant_8bit_kernelIfN3c1015Float8_e4m3fnuzELb1ELb1EfEvPKT_PvPT3_iiifffii
                                        ; -- End function
	.section	.AMDGPU.csdata,"",@progbits
; Kernel info:
; codeLenInByte = 6748
; NumSgprs: 19
; NumVgprs: 26
; ScratchSize: 0
; MemoryBound: 0
; FloatMode: 240
; IeeeMode: 1
; LDSByteSize: 0 bytes/workgroup (compile time only)
; SGPRBlocks: 2
; VGPRBlocks: 3
; NumSGPRsForWavesPerEU: 19
; NumVGPRsForWavesPerEU: 26
; Occupancy: 16
; WaveLimiterHint : 0
; COMPUTE_PGM_RSRC2:SCRATCH_EN: 0
; COMPUTE_PGM_RSRC2:USER_SGPR: 15
; COMPUTE_PGM_RSRC2:TRAP_HANDLER: 0
; COMPUTE_PGM_RSRC2:TGID_X_EN: 1
; COMPUTE_PGM_RSRC2:TGID_Y_EN: 0
; COMPUTE_PGM_RSRC2:TGID_Z_EN: 0
; COMPUTE_PGM_RSRC2:TIDIG_COMP_CNT: 0
	.section	.text._Z33per_token_group_quant_8bit_kernelIfN3c1015Float8_e4m3fnuzELb1ELb0EfEvPKT_PvPT3_iiifffii,"axG",@progbits,_Z33per_token_group_quant_8bit_kernelIfN3c1015Float8_e4m3fnuzELb1ELb0EfEvPKT_PvPT3_iiifffii,comdat
	.protected	_Z33per_token_group_quant_8bit_kernelIfN3c1015Float8_e4m3fnuzELb1ELb0EfEvPKT_PvPT3_iiifffii ; -- Begin function _Z33per_token_group_quant_8bit_kernelIfN3c1015Float8_e4m3fnuzELb1ELb0EfEvPKT_PvPT3_iiifffii
	.globl	_Z33per_token_group_quant_8bit_kernelIfN3c1015Float8_e4m3fnuzELb1ELb0EfEvPKT_PvPT3_iiifffii
	.p2align	8
	.type	_Z33per_token_group_quant_8bit_kernelIfN3c1015Float8_e4m3fnuzELb1ELb0EfEvPKT_PvPT3_iiifffii,@function
_Z33per_token_group_quant_8bit_kernelIfN3c1015Float8_e4m3fnuzELb1ELb0EfEvPKT_PvPT3_iiifffii: ; @_Z33per_token_group_quant_8bit_kernelIfN3c1015Float8_e4m3fnuzELb1ELb0EfEvPKT_PvPT3_iiifffii
; %bb.0:
	s_clause 0x1
	s_load_b128 s[4:7], s[0:1], 0x20
	s_load_b32 s14, s[0:1], 0x18
	v_lshrrev_b32_e32 v3, 4, v0
	s_load_b64 s[8:9], s[0:1], 0x30
	v_and_b32_e32 v10, 15, v0
                                        ; implicit-def: $vgpr14
	s_waitcnt lgkmcnt(0)
	s_mul_i32 s15, s15, s4
	s_ashr_i32 s4, s14, 31
	v_add_co_u32 v12, s2, s15, v3
	s_delay_alu instid0(VALU_DEP_1) | instskip(SKIP_1) | instid1(VALU_DEP_2)
	v_add_co_ci_u32_e64 v13, null, 0, 0, s2
	s_load_b64 s[2:3], s[0:1], 0x0
	v_mul_lo_u32 v2, v12, s4
	v_mad_u64_u32 v[4:5], null, v12, s14, 0
	s_delay_alu instid0(VALU_DEP_3) | instskip(SKIP_2) | instid1(SALU_CYCLE_1)
	v_mul_lo_u32 v1, v13, s14
	v_mul_lo_u32 v11, v3, s14
	s_and_b32 s4, s14, 3
	s_cmp_eq_u32 s4, 0
	s_cselect_b32 s15, -1, 0
	s_cmp_lg_u32 s4, 0
	s_delay_alu instid0(VALU_DEP_2) | instskip(NEXT) | instid1(VALU_DEP_2)
	v_add3_u32 v5, v5, v2, v1
	v_lshl_add_u32 v3, v11, 2, 0
	s_cselect_b32 s4, -1, 0
	s_delay_alu instid0(VALU_DEP_2) | instskip(SKIP_1) | instid1(VALU_DEP_1)
	v_lshlrev_b64 v[1:2], 2, v[4:5]
	s_waitcnt lgkmcnt(0)
	v_add_co_u32 v6, vcc_lo, s2, v1
	v_mov_b32_e32 v9, 0
	s_delay_alu instid0(VALU_DEP_3) | instskip(NEXT) | instid1(VALU_DEP_3)
	v_add_co_ci_u32_e32 v7, vcc_lo, s3, v2, vcc_lo
	v_and_b32_e32 v8, 15, v6
	s_delay_alu instid0(VALU_DEP_1) | instskip(SKIP_1) | instid1(SALU_CYCLE_1)
	v_cmp_ne_u64_e32 vcc_lo, 0, v[8:9]
	s_or_b32 s4, s4, vcc_lo
	s_and_saveexec_b32 s10, s4
	s_delay_alu instid0(SALU_CYCLE_1)
	s_xor_b32 s4, exec_lo, s10
	s_cbranch_execz .LBB9_12
; %bb.1:
	v_sub_nc_u32_e32 v0, 0, v6
	v_mov_b32_e32 v14, s5
	s_mov_b32 s10, exec_lo
	s_delay_alu instid0(VALU_DEP_2) | instskip(NEXT) | instid1(VALU_DEP_1)
	v_bfe_u32 v0, v0, 2, 2
	v_min_i32_e32 v8, s14, v0
	s_delay_alu instid0(VALU_DEP_1)
	v_cmpx_gt_i32_e64 v8, v10
	s_cbranch_execz .LBB9_3
; %bb.2:
	v_lshlrev_b32_e32 v0, 2, v10
	v_max_f32_e64 v9, s5, s5
	s_delay_alu instid0(VALU_DEP_2)
	v_add_co_u32 v6, vcc_lo, v6, v0
	v_add_co_ci_u32_e32 v7, vcc_lo, 0, v7, vcc_lo
	v_add_nc_u32_e32 v0, v3, v0
	global_load_b32 v6, v[6:7], off
	s_waitcnt vmcnt(0)
	v_max_f32_e64 v7, |v6|, |v6|
	ds_store_b32 v0, v6
	v_max_f32_e32 v14, v9, v7
.LBB9_3:
	s_or_b32 exec_lo, exec_lo, s10
	v_sub_nc_u32_e32 v15, s14, v8
	v_ashrrev_i32_e32 v9, 31, v8
	s_mov_b32 s10, exec_lo
	s_delay_alu instid0(VALU_DEP_2) | instskip(NEXT) | instid1(VALU_DEP_2)
	v_ashrrev_i32_e32 v0, 31, v15
	v_lshlrev_b64 v[6:7], 2, v[8:9]
	s_delay_alu instid0(VALU_DEP_2) | instskip(NEXT) | instid1(VALU_DEP_1)
	v_lshrrev_b32_e32 v0, 30, v0
	v_add_nc_u32_e32 v0, v15, v0
	s_delay_alu instid0(VALU_DEP_1) | instskip(SKIP_1) | instid1(VALU_DEP_2)
	v_ashrrev_i32_e32 v16, 2, v0
	v_lshlrev_b32_e32 v0, 2, v8
	v_cmpx_gt_i32_e64 v16, v10
	s_cbranch_execz .LBB9_7
; %bb.4:
	v_lshlrev_b32_e32 v8, 4, v10
	s_mov_b32 s11, 0
	s_delay_alu instid0(VALU_DEP_1) | instskip(SKIP_2) | instid1(VALU_DEP_3)
	v_add_co_u32 v9, vcc_lo, v1, v8
	v_add_co_ci_u32_e32 v17, vcc_lo, 0, v2, vcc_lo
	v_lshl_add_u32 v8, v11, 2, v8
	v_add_co_u32 v9, vcc_lo, v9, v6
	s_delay_alu instid0(VALU_DEP_3) | instskip(NEXT) | instid1(VALU_DEP_2)
	v_add_co_ci_u32_e32 v17, vcc_lo, v17, v7, vcc_lo
	v_add_co_u32 v9, vcc_lo, v9, s2
	s_delay_alu instid0(VALU_DEP_2) | instskip(SKIP_1) | instid1(VALU_DEP_3)
	v_add_co_ci_u32_e32 v18, vcc_lo, s3, v17, vcc_lo
	v_add3_u32 v17, v8, v0, 0
	v_add_co_u32 v8, vcc_lo, v9, 8
	s_delay_alu instid0(VALU_DEP_3)
	v_add_co_ci_u32_e32 v9, vcc_lo, 0, v18, vcc_lo
	v_mov_b32_e32 v18, v10
	.p2align	6
.LBB9_5:                                ; =>This Inner Loop Header: Depth=1
	global_load_b128 v[19:22], v[8:9], off offset:-8
	v_add_nc_u32_e32 v18, 16, v18
	v_add_co_u32 v8, vcc_lo, 0x100, v8
	v_add_co_ci_u32_e32 v9, vcc_lo, 0, v9, vcc_lo
	s_delay_alu instid0(VALU_DEP_3)
	v_cmp_ge_i32_e32 vcc_lo, v18, v16
	s_or_b32 s11, vcc_lo, s11
	s_waitcnt vmcnt(0)
	v_max3_f32 v14, v14, |v19|, |v20|
	ds_store_b128 v17, v[19:22]
	v_add_nc_u32_e32 v17, 0x100, v17
	v_max3_f32 v14, v14, |v21|, |v22|
	s_and_not1_b32 exec_lo, exec_lo, s11
	s_cbranch_execnz .LBB9_5
; %bb.6:
	s_or_b32 exec_lo, exec_lo, s11
.LBB9_7:
	s_delay_alu instid0(SALU_CYCLE_1) | instskip(SKIP_2) | instid1(VALU_DEP_1)
	s_or_b32 exec_lo, exec_lo, s10
	v_lshl_add_u32 v8, v16, 2, v10
	s_mov_b32 s10, exec_lo
	v_cmpx_lt_i32_e64 v8, v15
	s_cbranch_execz .LBB9_11
; %bb.8:
	v_ashrrev_i32_e32 v9, 31, v8
	v_lshlrev_b32_e32 v19, 4, v16
	v_lshlrev_b32_e32 v18, 2, v11
	v_add_co_u32 v1, vcc_lo, v1, v6
	s_delay_alu instid0(VALU_DEP_4) | instskip(SKIP_4) | instid1(VALU_DEP_4)
	v_lshlrev_b64 v[16:17], 2, v[8:9]
	v_add_co_ci_u32_e32 v2, vcc_lo, v2, v7, vcc_lo
	v_lshlrev_b32_e32 v20, 2, v10
	v_add3_u32 v0, v18, v19, v0
	s_mov_b32 s11, 0
	v_add_co_u32 v1, vcc_lo, v1, v16
	v_add_co_ci_u32_e32 v6, vcc_lo, v2, v17, vcc_lo
	s_delay_alu instid0(VALU_DEP_3) | instskip(NEXT) | instid1(VALU_DEP_3)
	v_add3_u32 v2, v0, v20, 0
	v_add_co_u32 v0, vcc_lo, s2, v1
	s_delay_alu instid0(VALU_DEP_3)
	v_add_co_ci_u32_e32 v1, vcc_lo, s3, v6, vcc_lo
	.p2align	6
.LBB9_9:                                ; =>This Inner Loop Header: Depth=1
	global_load_b32 v6, v[0:1], off
	v_dual_max_f32 v7, v14, v14 :: v_dual_add_nc_u32 v8, 16, v8
	v_add_co_u32 v0, vcc_lo, v0, 64
	v_add_co_ci_u32_e32 v1, vcc_lo, 0, v1, vcc_lo
	s_delay_alu instid0(VALU_DEP_3)
	v_cmp_ge_i32_e32 vcc_lo, v8, v15
	s_or_b32 s11, vcc_lo, s11
	s_waitcnt vmcnt(0)
	v_max_f32_e64 v9, |v6|, |v6|
	ds_store_b32 v2, v6
	v_add_nc_u32_e32 v2, 64, v2
	v_max_f32_e32 v14, v7, v9
	s_and_not1_b32 exec_lo, exec_lo, s11
	s_cbranch_execnz .LBB9_9
; %bb.10:
	s_or_b32 exec_lo, exec_lo, s11
.LBB9_11:
	s_delay_alu instid0(SALU_CYCLE_1)
	s_or_b32 exec_lo, exec_lo, s10
                                        ; implicit-def: $vgpr1_vgpr2
.LBB9_12:
	s_and_not1_saveexec_b32 s4, s4
	s_cbranch_execz .LBB9_18
; %bb.13:
	v_mov_b32_e32 v14, s5
	s_ashr_i32 s11, s14, 2
	s_mov_b32 s10, exec_lo
	v_cmpx_gt_i32_e64 s11, v10
	s_cbranch_execz .LBB9_17
; %bb.14:
	v_lshlrev_b32_e32 v0, 4, v10
	v_lshlrev_b32_e32 v6, 2, v11
	v_mov_b32_e32 v14, s5
	s_delay_alu instid0(VALU_DEP_3) | instskip(SKIP_1) | instid1(VALU_DEP_2)
	v_add_co_u32 v1, vcc_lo, v1, v0
	v_add_co_ci_u32_e32 v2, vcc_lo, 0, v2, vcc_lo
	v_add_co_u32 v1, vcc_lo, v1, s2
	s_delay_alu instid0(VALU_DEP_2) | instskip(SKIP_1) | instid1(VALU_DEP_3)
	v_add_co_ci_u32_e32 v7, vcc_lo, s3, v2, vcc_lo
	v_add3_u32 v2, v6, v0, 0
	v_add_co_u32 v0, vcc_lo, v1, 8
	s_delay_alu instid0(VALU_DEP_3)
	v_add_co_ci_u32_e32 v1, vcc_lo, 0, v7, vcc_lo
	v_mov_b32_e32 v6, v10
	s_mov_b32 s2, 0
	.p2align	6
.LBB9_15:                               ; =>This Inner Loop Header: Depth=1
	global_load_b128 v[15:18], v[0:1], off offset:-8
	v_add_nc_u32_e32 v6, 16, v6
	v_add_co_u32 v0, vcc_lo, 0x100, v0
	v_add_co_ci_u32_e32 v1, vcc_lo, 0, v1, vcc_lo
	s_delay_alu instid0(VALU_DEP_3)
	v_cmp_le_i32_e32 vcc_lo, s11, v6
	s_or_b32 s2, vcc_lo, s2
	s_waitcnt vmcnt(0)
	v_max3_f32 v7, v14, |v15|, |v16|
	ds_store_b128 v2, v[15:18]
	v_add_nc_u32_e32 v2, 0x100, v2
	v_max3_f32 v14, v7, |v17|, |v18|
	s_and_not1_b32 exec_lo, exec_lo, s2
	s_cbranch_execnz .LBB9_15
; %bb.16:
	s_or_b32 exec_lo, exec_lo, s2
.LBB9_17:
	s_delay_alu instid0(SALU_CYCLE_1)
	s_or_b32 exec_lo, exec_lo, s10
.LBB9_18:
	s_delay_alu instid0(SALU_CYCLE_1) | instskip(SKIP_4) | instid1(VALU_DEP_2)
	s_or_b32 exec_lo, exec_lo, s4
	v_mbcnt_lo_u32_b32 v0, -1, 0
	v_max_f32_e32 v7, v14, v14
	s_load_b64 s[2:3], s[0:1], 0x8
	s_mov_b32 s16, exec_lo
	v_xor_b32_e32 v2, 8, v0
	v_and_b32_e32 v1, 16, v0
	v_xor_b32_e32 v6, 4, v0
	s_delay_alu instid0(VALU_DEP_2) | instskip(NEXT) | instid1(VALU_DEP_1)
	v_add_nc_u32_e32 v1, 16, v1
	v_cmp_lt_i32_e32 vcc_lo, v2, v1
	v_cndmask_b32_e32 v2, v0, v2, vcc_lo
	s_delay_alu instid0(VALU_DEP_4) | instskip(NEXT) | instid1(VALU_DEP_2)
	v_cmp_lt_i32_e32 vcc_lo, v6, v1
	v_lshlrev_b32_e32 v2, 2, v2
	v_cndmask_b32_e32 v6, v0, v6, vcc_lo
	ds_bpermute_b32 v2, v2, v14
	v_lshlrev_b32_e32 v6, 2, v6
	s_waitcnt lgkmcnt(0)
	v_max_f32_e32 v2, v2, v2
	s_delay_alu instid0(VALU_DEP_1)
	v_max_f32_e32 v2, v7, v2
	v_xor_b32_e32 v7, 2, v0
	ds_bpermute_b32 v6, v6, v2
	v_cmp_lt_i32_e32 vcc_lo, v7, v1
	v_cndmask_b32_e32 v7, v0, v7, vcc_lo
	s_waitcnt lgkmcnt(0)
	s_delay_alu instid0(VALU_DEP_1) | instskip(NEXT) | instid1(VALU_DEP_1)
	v_dual_max_f32 v6, v6, v6 :: v_dual_lshlrev_b32 v7, 2, v7
	v_max_f32_e32 v2, v2, v6
	ds_bpermute_b32 v6, v7, v2
	v_xor_b32_e32 v7, 1, v0
	s_delay_alu instid0(VALU_DEP_1) | instskip(SKIP_2) | instid1(VALU_DEP_1)
	v_cmp_lt_i32_e32 vcc_lo, v7, v1
	s_waitcnt lgkmcnt(0)
	v_dual_cndmask_b32 v0, v0, v7 :: v_dual_max_f32 v1, v6, v6
	v_dual_max_f32 v1, v2, v1 :: v_dual_lshlrev_b32 v0, 2, v0
	ds_bpermute_b32 v0, v0, v1
	s_waitcnt lgkmcnt(0)
	v_max_f32_e32 v0, v0, v0
	s_delay_alu instid0(VALU_DEP_1) | instskip(NEXT) | instid1(VALU_DEP_1)
	v_max_f32_e32 v0, v1, v0
	v_div_scale_f32 v1, null, s7, s7, v0
	v_div_scale_f32 v7, vcc_lo, v0, s7, v0
	s_delay_alu instid0(VALU_DEP_2) | instskip(SKIP_2) | instid1(VALU_DEP_1)
	v_rcp_f32_e32 v2, v1
	s_waitcnt_depctr 0xfff
	v_fma_f32 v6, -v1, v2, 1.0
	v_fmac_f32_e32 v2, v6, v2
	s_delay_alu instid0(VALU_DEP_1) | instskip(NEXT) | instid1(VALU_DEP_1)
	v_mul_f32_e32 v6, v7, v2
	v_fma_f32 v8, -v1, v6, v7
	s_delay_alu instid0(VALU_DEP_1) | instskip(NEXT) | instid1(VALU_DEP_1)
	v_fmac_f32_e32 v6, v8, v2
	v_fma_f32 v1, -v1, v6, v7
	s_delay_alu instid0(VALU_DEP_1) | instskip(NEXT) | instid1(VALU_DEP_1)
	v_div_fmas_f32 v1, v1, v2, v6
	v_div_fixup_f32 v8, v1, s7, v0
	v_cmpx_eq_u32_e32 0, v10
	s_cbranch_execz .LBB9_24
; %bb.19:
	s_load_b64 s[4:5], s[0:1], 0x10
	s_ashr_i32 s0, s8, 31
	v_mov_b32_e32 v0, 0
	v_or_b32_e32 v1, s0, v13
	s_mov_b32 s1, s8
	s_delay_alu instid0(VALU_DEP_1) | instskip(SKIP_1) | instid1(SALU_CYCLE_1)
	v_cmp_ne_u64_e32 vcc_lo, 0, v[0:1]
                                        ; implicit-def: $vgpr0_vgpr1
	s_and_saveexec_b32 s8, vcc_lo
	s_xor_b32 s8, exec_lo, s8
	s_cbranch_execz .LBB9_21
; %bb.20:
	s_add_u32 s12, s1, s0
	s_mov_b32 s10, s0
	s_mov_b32 s11, s0
	s_addc_u32 s13, s0, s0
	s_delay_alu instid0(SALU_CYCLE_1) | instskip(NEXT) | instid1(SALU_CYCLE_1)
	s_xor_b64 s[12:13], s[12:13], s[10:11]
	v_cvt_f32_u32_e32 v0, s12
	v_cvt_f32_u32_e32 v1, s13
	s_sub_u32 s0, 0, s12
	s_subb_u32 s11, 0, s13
	s_delay_alu instid0(VALU_DEP_1) | instskip(NEXT) | instid1(VALU_DEP_1)
	v_fmamk_f32 v0, v1, 0x4f800000, v0
	v_rcp_f32_e32 v0, v0
	s_waitcnt_depctr 0xfff
	v_mul_f32_e32 v0, 0x5f7ffffc, v0
	s_delay_alu instid0(VALU_DEP_1) | instskip(NEXT) | instid1(VALU_DEP_1)
	v_mul_f32_e32 v1, 0x2f800000, v0
	v_trunc_f32_e32 v1, v1
	s_delay_alu instid0(VALU_DEP_1) | instskip(SKIP_1) | instid1(VALU_DEP_2)
	v_fmamk_f32 v0, v1, 0xcf800000, v0
	v_cvt_u32_f32_e32 v1, v1
	v_cvt_u32_f32_e32 v0, v0
	s_delay_alu instid0(VALU_DEP_2) | instskip(NEXT) | instid1(VALU_DEP_2)
	v_mul_lo_u32 v2, s0, v1
	v_mul_hi_u32 v6, s0, v0
	v_mul_lo_u32 v7, s11, v0
	s_delay_alu instid0(VALU_DEP_2) | instskip(SKIP_1) | instid1(VALU_DEP_2)
	v_add_nc_u32_e32 v2, v6, v2
	v_mul_lo_u32 v6, s0, v0
	v_add_nc_u32_e32 v2, v2, v7
	s_delay_alu instid0(VALU_DEP_2) | instskip(NEXT) | instid1(VALU_DEP_2)
	v_mul_hi_u32 v7, v0, v6
	v_mul_lo_u32 v9, v0, v2
	v_mul_hi_u32 v14, v0, v2
	v_mul_hi_u32 v15, v1, v6
	v_mul_lo_u32 v6, v1, v6
	v_mul_hi_u32 v16, v1, v2
	v_mul_lo_u32 v2, v1, v2
	v_add_co_u32 v7, vcc_lo, v7, v9
	v_add_co_ci_u32_e32 v9, vcc_lo, 0, v14, vcc_lo
	s_delay_alu instid0(VALU_DEP_2) | instskip(NEXT) | instid1(VALU_DEP_2)
	v_add_co_u32 v6, vcc_lo, v7, v6
	v_add_co_ci_u32_e32 v6, vcc_lo, v9, v15, vcc_lo
	v_add_co_ci_u32_e32 v7, vcc_lo, 0, v16, vcc_lo
	s_delay_alu instid0(VALU_DEP_2) | instskip(NEXT) | instid1(VALU_DEP_2)
	v_add_co_u32 v2, vcc_lo, v6, v2
	v_add_co_ci_u32_e32 v6, vcc_lo, 0, v7, vcc_lo
	s_delay_alu instid0(VALU_DEP_2) | instskip(NEXT) | instid1(VALU_DEP_2)
	v_add_co_u32 v0, vcc_lo, v0, v2
	v_add_co_ci_u32_e32 v1, vcc_lo, v1, v6, vcc_lo
	s_delay_alu instid0(VALU_DEP_2) | instskip(SKIP_1) | instid1(VALU_DEP_3)
	v_mul_hi_u32 v2, s0, v0
	v_mul_lo_u32 v7, s11, v0
	v_mul_lo_u32 v6, s0, v1
	s_delay_alu instid0(VALU_DEP_1) | instskip(SKIP_1) | instid1(VALU_DEP_2)
	v_add_nc_u32_e32 v2, v2, v6
	v_mul_lo_u32 v6, s0, v0
	v_add_nc_u32_e32 v2, v2, v7
	s_delay_alu instid0(VALU_DEP_2) | instskip(NEXT) | instid1(VALU_DEP_2)
	v_mul_hi_u32 v7, v0, v6
	v_mul_lo_u32 v9, v0, v2
	v_mul_hi_u32 v14, v0, v2
	v_mul_hi_u32 v15, v1, v6
	v_mul_lo_u32 v6, v1, v6
	v_mul_hi_u32 v16, v1, v2
	v_mul_lo_u32 v2, v1, v2
	v_add_co_u32 v7, vcc_lo, v7, v9
	v_add_co_ci_u32_e32 v9, vcc_lo, 0, v14, vcc_lo
	s_delay_alu instid0(VALU_DEP_2) | instskip(NEXT) | instid1(VALU_DEP_2)
	v_add_co_u32 v6, vcc_lo, v7, v6
	v_add_co_ci_u32_e32 v6, vcc_lo, v9, v15, vcc_lo
	v_add_co_ci_u32_e32 v7, vcc_lo, 0, v16, vcc_lo
	s_delay_alu instid0(VALU_DEP_2) | instskip(NEXT) | instid1(VALU_DEP_2)
	v_add_co_u32 v2, vcc_lo, v6, v2
	v_add_co_ci_u32_e32 v6, vcc_lo, 0, v7, vcc_lo
	s_delay_alu instid0(VALU_DEP_2) | instskip(NEXT) | instid1(VALU_DEP_2)
	v_add_co_u32 v2, vcc_lo, v0, v2
	v_add_co_ci_u32_e32 v9, vcc_lo, v1, v6, vcc_lo
	s_delay_alu instid0(VALU_DEP_2) | instskip(SKIP_1) | instid1(VALU_DEP_3)
	v_mul_hi_u32 v16, v12, v2
	v_mad_u64_u32 v[6:7], null, v13, v2, 0
	v_mad_u64_u32 v[0:1], null, v12, v9, 0
	;; [unrolled: 1-line block ×3, first 2 shown]
	s_delay_alu instid0(VALU_DEP_2) | instskip(NEXT) | instid1(VALU_DEP_3)
	v_add_co_u32 v0, vcc_lo, v16, v0
	v_add_co_ci_u32_e32 v1, vcc_lo, 0, v1, vcc_lo
	s_delay_alu instid0(VALU_DEP_2) | instskip(NEXT) | instid1(VALU_DEP_2)
	v_add_co_u32 v0, vcc_lo, v0, v6
	v_add_co_ci_u32_e32 v0, vcc_lo, v1, v7, vcc_lo
	v_add_co_ci_u32_e32 v1, vcc_lo, 0, v15, vcc_lo
	s_delay_alu instid0(VALU_DEP_2) | instskip(NEXT) | instid1(VALU_DEP_2)
	v_add_co_u32 v2, vcc_lo, v0, v14
	v_add_co_ci_u32_e32 v6, vcc_lo, 0, v1, vcc_lo
	s_delay_alu instid0(VALU_DEP_2) | instskip(SKIP_1) | instid1(VALU_DEP_3)
	v_mul_lo_u32 v7, s13, v2
	v_mad_u64_u32 v[0:1], null, s12, v2, 0
	v_mul_lo_u32 v6, s12, v6
	s_delay_alu instid0(VALU_DEP_2) | instskip(NEXT) | instid1(VALU_DEP_2)
	v_sub_co_u32 v0, vcc_lo, v12, v0
	v_add3_u32 v1, v1, v6, v7
	v_add_co_u32 v7, s0, v2, 2
	s_delay_alu instid0(VALU_DEP_2) | instskip(NEXT) | instid1(VALU_DEP_1)
	v_sub_nc_u32_e32 v6, v13, v1
	v_subrev_co_ci_u32_e64 v6, s0, s13, v6, vcc_lo
	v_sub_co_u32 v9, s0, v0, s12
	v_sub_co_ci_u32_e32 v1, vcc_lo, v13, v1, vcc_lo
	s_delay_alu instid0(VALU_DEP_3) | instskip(NEXT) | instid1(VALU_DEP_3)
	v_subrev_co_ci_u32_e64 v6, s0, 0, v6, s0
	v_cmp_le_u32_e32 vcc_lo, s12, v9
	v_cndmask_b32_e64 v9, 0, -1, vcc_lo
	s_delay_alu instid0(VALU_DEP_3)
	v_cmp_le_u32_e32 vcc_lo, s13, v6
	v_cndmask_b32_e64 v13, 0, -1, vcc_lo
	v_cmp_le_u32_e32 vcc_lo, s12, v0
	v_cndmask_b32_e64 v0, 0, -1, vcc_lo
	v_cmp_le_u32_e32 vcc_lo, s13, v1
	v_cndmask_b32_e64 v14, 0, -1, vcc_lo
	v_cmp_eq_u32_e32 vcc_lo, s13, v6
	v_cndmask_b32_e32 v6, v13, v9, vcc_lo
	v_add_co_u32 v9, vcc_lo, v2, 1
	v_cmp_eq_u32_e32 vcc_lo, s13, v1
	v_cndmask_b32_e32 v0, v14, v0, vcc_lo
	s_delay_alu instid0(VALU_DEP_4) | instskip(NEXT) | instid1(VALU_DEP_4)
	v_cmp_ne_u32_e32 vcc_lo, 0, v6
	v_cndmask_b32_e32 v1, v9, v7, vcc_lo
	s_delay_alu instid0(VALU_DEP_3) | instskip(NEXT) | instid1(VALU_DEP_2)
	v_cmp_ne_u32_e32 vcc_lo, 0, v0
	v_cndmask_b32_e32 v0, v2, v1, vcc_lo
	s_delay_alu instid0(VALU_DEP_1) | instskip(NEXT) | instid1(VALU_DEP_1)
	v_xor_b32_e32 v0, s10, v0
	v_sub_co_u32 v0, vcc_lo, v0, s10
.LBB9_21:
	s_and_not1_saveexec_b32 s0, s8
	s_cbranch_execz .LBB9_23
; %bb.22:
	v_cvt_f32_u32_e32 v0, s1
	s_sub_i32 s8, 0, s1
	s_delay_alu instid0(VALU_DEP_1) | instskip(SKIP_2) | instid1(VALU_DEP_1)
	v_rcp_iflag_f32_e32 v0, v0
	s_waitcnt_depctr 0xfff
	v_mul_f32_e32 v0, 0x4f7ffffe, v0
	v_cvt_u32_f32_e32 v0, v0
	s_delay_alu instid0(VALU_DEP_1) | instskip(NEXT) | instid1(VALU_DEP_1)
	v_mul_lo_u32 v1, s8, v0
	v_mul_hi_u32 v1, v0, v1
	s_delay_alu instid0(VALU_DEP_1) | instskip(NEXT) | instid1(VALU_DEP_1)
	v_add_nc_u32_e32 v0, v0, v1
	v_mul_hi_u32 v0, v12, v0
	s_delay_alu instid0(VALU_DEP_1) | instskip(SKIP_1) | instid1(VALU_DEP_2)
	v_mul_lo_u32 v1, v0, s1
	v_add_nc_u32_e32 v2, 1, v0
	v_sub_nc_u32_e32 v1, v12, v1
	s_delay_alu instid0(VALU_DEP_1) | instskip(SKIP_1) | instid1(VALU_DEP_2)
	v_subrev_nc_u32_e32 v6, s1, v1
	v_cmp_le_u32_e32 vcc_lo, s1, v1
	v_cndmask_b32_e32 v1, v1, v6, vcc_lo
	v_cndmask_b32_e32 v0, v0, v2, vcc_lo
	s_delay_alu instid0(VALU_DEP_2) | instskip(NEXT) | instid1(VALU_DEP_2)
	v_cmp_le_u32_e32 vcc_lo, s1, v1
	v_add_nc_u32_e32 v2, 1, v0
	s_delay_alu instid0(VALU_DEP_1)
	v_cndmask_b32_e32 v0, v0, v2, vcc_lo
.LBB9_23:
	s_or_b32 exec_lo, exec_lo, s0
	s_delay_alu instid0(VALU_DEP_1) | instskip(NEXT) | instid1(VALU_DEP_1)
	v_mul_lo_u32 v1, v0, s1
	v_sub_nc_u32_e32 v6, v12, v1
	s_delay_alu instid0(VALU_DEP_1) | instskip(NEXT) | instid1(VALU_DEP_1)
	v_mad_u64_u32 v[1:2], null, v6, s9, v[0:1]
	v_ashrrev_i32_e32 v2, 31, v1
	s_delay_alu instid0(VALU_DEP_1) | instskip(SKIP_1) | instid1(VALU_DEP_1)
	v_lshlrev_b64 v[0:1], 2, v[1:2]
	s_waitcnt lgkmcnt(0)
	v_add_co_u32 v0, vcc_lo, s4, v0
	s_delay_alu instid0(VALU_DEP_2)
	v_add_co_ci_u32_e32 v1, vcc_lo, s5, v1, vcc_lo
	global_store_b32 v[0:1], v8, off
.LBB9_24:
	s_or_b32 exec_lo, exec_lo, s16
	v_dual_mov_b32 v1, 0 :: v_dual_and_b32 v0, 15, v3
	s_xor_b32 s0, s15, -1
	s_waitcnt_vscnt null, 0x0
	s_barrier
	buffer_gl0_inv
	v_cmp_ne_u64_e32 vcc_lo, 0, v[0:1]
	s_or_b32 s0, s0, vcc_lo
	s_delay_alu instid0(SALU_CYCLE_1) | instskip(NEXT) | instid1(SALU_CYCLE_1)
	s_and_saveexec_b32 s1, s0
	s_xor_b32 s1, exec_lo, s1
	s_cbranch_execz .LBB9_80
; %bb.25:
	v_sub_nc_u32_e32 v0, 0, v3
	s_mov_b32 s0, exec_lo
	s_delay_alu instid0(VALU_DEP_1) | instskip(NEXT) | instid1(VALU_DEP_1)
	v_bfe_u32 v0, v0, 2, 2
	v_min_i32_e32 v12, s14, v0
	s_delay_alu instid0(VALU_DEP_1)
	v_cmpx_gt_i32_e64 v12, v10
	s_cbranch_execz .LBB9_33
; %bb.26:
	v_lshl_add_u32 v0, v10, 2, v3
	s_mov_b32 s4, exec_lo
	ds_load_b32 v0, v0
	s_waitcnt lgkmcnt(0)
	v_div_scale_f32 v1, null, v8, v8, v0
	v_div_scale_f32 v6, vcc_lo, v0, v8, v0
	s_delay_alu instid0(VALU_DEP_2) | instskip(SKIP_2) | instid1(VALU_DEP_1)
	v_rcp_f32_e32 v2, v1
	s_waitcnt_depctr 0xfff
	v_fma_f32 v3, -v1, v2, 1.0
	v_fmac_f32_e32 v2, v3, v2
	s_delay_alu instid0(VALU_DEP_1) | instskip(NEXT) | instid1(VALU_DEP_1)
	v_mul_f32_e32 v3, v6, v2
	v_fma_f32 v7, -v1, v3, v6
	s_delay_alu instid0(VALU_DEP_1) | instskip(NEXT) | instid1(VALU_DEP_1)
	v_fmac_f32_e32 v3, v7, v2
	v_fma_f32 v1, -v1, v3, v6
	s_delay_alu instid0(VALU_DEP_1) | instskip(SKIP_2) | instid1(VALU_DEP_3)
	v_div_fmas_f32 v1, v1, v2, v3
	v_max_f32_e64 v2, s6, s6
	v_max_f32_e64 v3, s7, s7
	v_div_fixup_f32 v0, v1, v8, v0
	s_delay_alu instid0(VALU_DEP_1) | instskip(SKIP_1) | instid1(VALU_DEP_2)
	v_maxmin_f32 v0, v0, v2, v3
	v_mov_b32_e32 v2, 0x80
	v_and_b32_e32 v1, 0x7fffffff, v0
	s_delay_alu instid0(VALU_DEP_1)
	v_cmpx_gt_u32_e32 0x43800000, v1
	s_cbranch_execz .LBB9_32
; %bb.27:
	v_cmp_lt_u32_e32 vcc_lo, 0x3bffffff, v1
	s_mov_b32 s5, 0
                                        ; implicit-def: $vgpr1
	s_and_saveexec_b32 s8, vcc_lo
	s_delay_alu instid0(SALU_CYCLE_1)
	s_xor_b32 s8, exec_lo, s8
	s_cbranch_execnz .LBB9_117
; %bb.28:
	s_or_saveexec_b32 s8, s8
                                        ; implicit-def: $sgpr9
	s_delay_alu instid0(SALU_CYCLE_1)
	s_xor_b32 exec_lo, exec_lo, s8
	s_cbranch_execnz .LBB9_118
.LBB9_29:
	s_or_b32 exec_lo, exec_lo, s8
	v_mov_b32_e32 v2, s9
	s_and_saveexec_b32 s8, s5
.LBB9_30:
	v_lshrrev_b32_e32 v0, 24, v0
	s_delay_alu instid0(VALU_DEP_1)
	v_and_or_b32 v2, 0x80, v0, v1
.LBB9_31:
	s_or_b32 exec_lo, exec_lo, s8
.LBB9_32:
	s_delay_alu instid0(SALU_CYCLE_1) | instskip(SKIP_2) | instid1(VALU_DEP_2)
	s_or_b32 exec_lo, exec_lo, s4
	v_add_co_u32 v0, vcc_lo, s2, v4
	v_add_co_ci_u32_e32 v1, vcc_lo, s3, v5, vcc_lo
	v_add_co_u32 v0, vcc_lo, v0, v10
	s_delay_alu instid0(VALU_DEP_2)
	v_add_co_ci_u32_e32 v1, vcc_lo, 0, v1, vcc_lo
	global_store_b8 v[0:1], v2, off
.LBB9_33:
	s_or_b32 exec_lo, exec_lo, s0
	v_sub_nc_u32_e32 v9, s14, v12
	v_ashrrev_i32_e32 v13, 31, v12
	v_lshlrev_b32_e32 v15, 2, v12
	s_mov_b32 s4, exec_lo
	s_delay_alu instid0(VALU_DEP_3) | instskip(NEXT) | instid1(VALU_DEP_1)
	v_ashrrev_i32_e32 v0, 31, v9
	v_lshrrev_b32_e32 v0, 30, v0
	s_delay_alu instid0(VALU_DEP_1) | instskip(NEXT) | instid1(VALU_DEP_1)
	v_add_nc_u32_e32 v0, v9, v0
	v_ashrrev_i32_e32 v14, 2, v0
	s_delay_alu instid0(VALU_DEP_1)
	v_cmpx_gt_i32_e64 v14, v10
	s_cbranch_execz .LBB9_68
; %bb.34:
	v_lshlrev_b32_e32 v1, 2, v10
	v_add_co_u32 v2, vcc_lo, v12, v4
	v_dual_mov_b32 v19, v10 :: v_dual_lshlrev_b32 v0, 4, v10
	v_add_co_ci_u32_e32 v3, vcc_lo, v13, v5, vcc_lo
	s_delay_alu instid0(VALU_DEP_3) | instskip(NEXT) | instid1(VALU_DEP_3)
	v_add_co_u32 v1, vcc_lo, v2, v1
	v_lshl_add_u32 v0, v11, 2, v0
	s_delay_alu instid0(VALU_DEP_3) | instskip(NEXT) | instid1(VALU_DEP_3)
	v_add_co_ci_u32_e32 v2, vcc_lo, 0, v3, vcc_lo
	v_add_co_u32 v6, vcc_lo, s2, v1
	s_delay_alu instid0(VALU_DEP_3) | instskip(NEXT) | instid1(VALU_DEP_3)
	v_add3_u32 v16, v0, v15, 0
	v_add_co_ci_u32_e32 v7, vcc_lo, s3, v2, vcc_lo
	v_max_f32_e64 v17, s6, s6
	v_max_f32_e64 v18, s7, s7
	s_mov_b32 s5, 0
	s_branch .LBB9_37
.LBB9_35:                               ;   in Loop: Header=BB9_37 Depth=1
	s_or_b32 exec_lo, exec_lo, s9
.LBB9_36:                               ;   in Loop: Header=BB9_37 Depth=1
	s_delay_alu instid0(SALU_CYCLE_1)
	s_or_b32 exec_lo, exec_lo, s0
	v_lshlrev_b32_e32 v2, 16, v2
	v_lshlrev_b32_e32 v0, 8, v0
	v_and_b32_e32 v3, 0xff, v20
	v_add_nc_u32_e32 v19, 16, v19
	v_add_nc_u32_e32 v16, 0x100, v16
	v_perm_b32 v1, v1, v2, 0x4020c0c
	v_and_b32_e32 v0, 0xff00, v0
	s_delay_alu instid0(VALU_DEP_4) | instskip(NEXT) | instid1(VALU_DEP_2)
	v_cmp_ge_i32_e32 vcc_lo, v19, v14
	v_or3_b32 v0, v1, v0, v3
	s_or_b32 s5, vcc_lo, s5
	global_store_b32 v[6:7], v0, off
	v_add_co_u32 v6, s0, v6, 64
	s_delay_alu instid0(VALU_DEP_1)
	v_add_co_ci_u32_e64 v7, s0, 0, v7, s0
	s_and_not1_b32 exec_lo, exec_lo, s5
	s_cbranch_execz .LBB9_68
.LBB9_37:                               ; =>This Inner Loop Header: Depth=1
	ds_load_b128 v[0:3], v16
	s_mov_b32 s0, exec_lo
	s_waitcnt lgkmcnt(0)
	v_div_scale_f32 v20, null, v8, v8, v0
	v_div_scale_f32 v23, vcc_lo, v0, v8, v0
	s_delay_alu instid0(VALU_DEP_2) | instskip(SKIP_2) | instid1(VALU_DEP_1)
	v_rcp_f32_e32 v21, v20
	s_waitcnt_depctr 0xfff
	v_fma_f32 v22, -v20, v21, 1.0
	v_fmac_f32_e32 v21, v22, v21
	s_delay_alu instid0(VALU_DEP_1) | instskip(NEXT) | instid1(VALU_DEP_1)
	v_mul_f32_e32 v22, v23, v21
	v_fma_f32 v24, -v20, v22, v23
	s_delay_alu instid0(VALU_DEP_1) | instskip(NEXT) | instid1(VALU_DEP_1)
	v_fmac_f32_e32 v22, v24, v21
	v_fma_f32 v20, -v20, v22, v23
	s_delay_alu instid0(VALU_DEP_1) | instskip(NEXT) | instid1(VALU_DEP_1)
	v_div_fmas_f32 v20, v20, v21, v22
	v_div_fixup_f32 v0, v20, v8, v0
	v_mov_b32_e32 v20, 0x80
	s_delay_alu instid0(VALU_DEP_2) | instskip(SKIP_1) | instid1(VALU_DEP_2)
	v_maxmin_f32 v21, v0, v17, v18
	v_mov_b32_e32 v0, 0x80
	v_and_b32_e32 v22, 0x7fffffff, v21
	s_delay_alu instid0(VALU_DEP_1)
	v_cmpx_gt_u32_e32 0x43800000, v22
	s_cbranch_execz .LBB9_43
; %bb.38:                               ;   in Loop: Header=BB9_37 Depth=1
	v_cmp_lt_u32_e32 vcc_lo, 0x3bffffff, v22
	s_mov_b32 s8, 0
                                        ; implicit-def: $vgpr22
	s_and_saveexec_b32 s9, vcc_lo
	s_delay_alu instid0(SALU_CYCLE_1)
	s_xor_b32 s9, exec_lo, s9
	s_cbranch_execnz .LBB9_59
; %bb.39:                               ;   in Loop: Header=BB9_37 Depth=1
	s_or_saveexec_b32 s9, s9
                                        ; implicit-def: $sgpr10
	s_delay_alu instid0(SALU_CYCLE_1)
	s_xor_b32 exec_lo, exec_lo, s9
	s_cbranch_execnz .LBB9_60
.LBB9_40:                               ;   in Loop: Header=BB9_37 Depth=1
	s_or_b32 exec_lo, exec_lo, s9
	v_mov_b32_e32 v20, s10
	s_and_saveexec_b32 s9, s8
.LBB9_41:                               ;   in Loop: Header=BB9_37 Depth=1
	v_lshrrev_b32_e32 v20, 24, v21
	s_delay_alu instid0(VALU_DEP_1)
	v_and_or_b32 v20, 0x80, v20, v22
.LBB9_42:                               ;   in Loop: Header=BB9_37 Depth=1
	s_or_b32 exec_lo, exec_lo, s9
.LBB9_43:                               ;   in Loop: Header=BB9_37 Depth=1
	s_delay_alu instid0(SALU_CYCLE_1) | instskip(SKIP_2) | instid1(VALU_DEP_1)
	s_or_b32 exec_lo, exec_lo, s0
	v_div_scale_f32 v21, null, v8, v8, v1
	s_mov_b32 s0, exec_lo
	v_rcp_f32_e32 v22, v21
	s_waitcnt_depctr 0xfff
	v_fma_f32 v23, -v21, v22, 1.0
	s_delay_alu instid0(VALU_DEP_1) | instskip(SKIP_1) | instid1(VALU_DEP_1)
	v_fmac_f32_e32 v22, v23, v22
	v_div_scale_f32 v23, vcc_lo, v1, v8, v1
	v_mul_f32_e32 v24, v23, v22
	s_delay_alu instid0(VALU_DEP_1) | instskip(NEXT) | instid1(VALU_DEP_1)
	v_fma_f32 v25, -v21, v24, v23
	v_fmac_f32_e32 v24, v25, v22
	s_delay_alu instid0(VALU_DEP_1) | instskip(NEXT) | instid1(VALU_DEP_1)
	v_fma_f32 v21, -v21, v24, v23
	v_div_fmas_f32 v21, v21, v22, v24
	s_delay_alu instid0(VALU_DEP_1) | instskip(NEXT) | instid1(VALU_DEP_1)
	v_div_fixup_f32 v1, v21, v8, v1
	v_maxmin_f32 v1, v1, v17, v18
	s_delay_alu instid0(VALU_DEP_1) | instskip(NEXT) | instid1(VALU_DEP_1)
	v_and_b32_e32 v21, 0x7fffffff, v1
	v_cmpx_gt_u32_e32 0x43800000, v21
	s_cbranch_execz .LBB9_49
; %bb.44:                               ;   in Loop: Header=BB9_37 Depth=1
	v_cmp_lt_u32_e32 vcc_lo, 0x3bffffff, v21
	s_mov_b32 s8, 0
                                        ; implicit-def: $vgpr21
	s_and_saveexec_b32 s9, vcc_lo
	s_delay_alu instid0(SALU_CYCLE_1)
	s_xor_b32 s9, exec_lo, s9
	s_cbranch_execnz .LBB9_61
; %bb.45:                               ;   in Loop: Header=BB9_37 Depth=1
	s_or_saveexec_b32 s9, s9
                                        ; implicit-def: $sgpr10
	s_delay_alu instid0(SALU_CYCLE_1)
	s_xor_b32 exec_lo, exec_lo, s9
	s_cbranch_execnz .LBB9_62
.LBB9_46:                               ;   in Loop: Header=BB9_37 Depth=1
	s_or_b32 exec_lo, exec_lo, s9
	v_mov_b32_e32 v0, s10
	s_and_saveexec_b32 s9, s8
.LBB9_47:                               ;   in Loop: Header=BB9_37 Depth=1
	v_lshrrev_b32_e32 v0, 24, v1
	s_delay_alu instid0(VALU_DEP_1)
	v_and_or_b32 v0, 0x80, v0, v21
.LBB9_48:                               ;   in Loop: Header=BB9_37 Depth=1
	s_or_b32 exec_lo, exec_lo, s9
.LBB9_49:                               ;   in Loop: Header=BB9_37 Depth=1
	s_delay_alu instid0(SALU_CYCLE_1) | instskip(SKIP_3) | instid1(VALU_DEP_2)
	s_or_b32 exec_lo, exec_lo, s0
	v_div_scale_f32 v1, null, v8, v8, v2
	v_div_scale_f32 v23, vcc_lo, v2, v8, v2
	s_mov_b32 s0, exec_lo
	v_rcp_f32_e32 v21, v1
	s_waitcnt_depctr 0xfff
	v_fma_f32 v22, -v1, v21, 1.0
	s_delay_alu instid0(VALU_DEP_1) | instskip(NEXT) | instid1(VALU_DEP_1)
	v_fmac_f32_e32 v21, v22, v21
	v_mul_f32_e32 v22, v23, v21
	s_delay_alu instid0(VALU_DEP_1) | instskip(NEXT) | instid1(VALU_DEP_1)
	v_fma_f32 v24, -v1, v22, v23
	v_fmac_f32_e32 v22, v24, v21
	s_delay_alu instid0(VALU_DEP_1) | instskip(NEXT) | instid1(VALU_DEP_1)
	v_fma_f32 v1, -v1, v22, v23
	v_div_fmas_f32 v1, v1, v21, v22
	s_delay_alu instid0(VALU_DEP_1) | instskip(SKIP_1) | instid1(VALU_DEP_2)
	v_div_fixup_f32 v1, v1, v8, v2
	v_mov_b32_e32 v2, 0x80
	v_maxmin_f32 v21, v1, v17, v18
	v_mov_b32_e32 v1, 0x80
	s_delay_alu instid0(VALU_DEP_2) | instskip(NEXT) | instid1(VALU_DEP_1)
	v_and_b32_e32 v22, 0x7fffffff, v21
	v_cmpx_gt_u32_e32 0x43800000, v22
	s_cbranch_execz .LBB9_55
; %bb.50:                               ;   in Loop: Header=BB9_37 Depth=1
	v_cmp_lt_u32_e32 vcc_lo, 0x3bffffff, v22
	s_mov_b32 s8, 0
                                        ; implicit-def: $vgpr22
	s_and_saveexec_b32 s9, vcc_lo
	s_delay_alu instid0(SALU_CYCLE_1)
	s_xor_b32 s9, exec_lo, s9
	s_cbranch_execnz .LBB9_63
; %bb.51:                               ;   in Loop: Header=BB9_37 Depth=1
	s_or_saveexec_b32 s9, s9
                                        ; implicit-def: $sgpr10
	s_delay_alu instid0(SALU_CYCLE_1)
	s_xor_b32 exec_lo, exec_lo, s9
	s_cbranch_execnz .LBB9_64
.LBB9_52:                               ;   in Loop: Header=BB9_37 Depth=1
	s_or_b32 exec_lo, exec_lo, s9
	v_mov_b32_e32 v2, s10
	s_and_saveexec_b32 s9, s8
.LBB9_53:                               ;   in Loop: Header=BB9_37 Depth=1
	v_lshrrev_b32_e32 v2, 24, v21
	s_delay_alu instid0(VALU_DEP_1)
	v_and_or_b32 v2, 0x80, v2, v22
.LBB9_54:                               ;   in Loop: Header=BB9_37 Depth=1
	s_or_b32 exec_lo, exec_lo, s9
.LBB9_55:                               ;   in Loop: Header=BB9_37 Depth=1
	s_delay_alu instid0(SALU_CYCLE_1) | instskip(SKIP_2) | instid1(VALU_DEP_1)
	s_or_b32 exec_lo, exec_lo, s0
	v_div_scale_f32 v21, null, v8, v8, v3
	s_mov_b32 s0, exec_lo
	v_rcp_f32_e32 v22, v21
	s_waitcnt_depctr 0xfff
	v_fma_f32 v23, -v21, v22, 1.0
	s_delay_alu instid0(VALU_DEP_1) | instskip(SKIP_1) | instid1(VALU_DEP_1)
	v_fmac_f32_e32 v22, v23, v22
	v_div_scale_f32 v23, vcc_lo, v3, v8, v3
	v_mul_f32_e32 v24, v23, v22
	s_delay_alu instid0(VALU_DEP_1) | instskip(NEXT) | instid1(VALU_DEP_1)
	v_fma_f32 v25, -v21, v24, v23
	v_fmac_f32_e32 v24, v25, v22
	s_delay_alu instid0(VALU_DEP_1) | instskip(NEXT) | instid1(VALU_DEP_1)
	v_fma_f32 v21, -v21, v24, v23
	v_div_fmas_f32 v21, v21, v22, v24
	s_delay_alu instid0(VALU_DEP_1) | instskip(NEXT) | instid1(VALU_DEP_1)
	v_div_fixup_f32 v3, v21, v8, v3
	v_maxmin_f32 v3, v3, v17, v18
	s_delay_alu instid0(VALU_DEP_1) | instskip(NEXT) | instid1(VALU_DEP_1)
	v_and_b32_e32 v21, 0x7fffffff, v3
	v_cmpx_gt_u32_e32 0x43800000, v21
	s_cbranch_execz .LBB9_36
; %bb.56:                               ;   in Loop: Header=BB9_37 Depth=1
	v_cmp_lt_u32_e32 vcc_lo, 0x3bffffff, v21
	s_mov_b32 s8, 0
                                        ; implicit-def: $vgpr21
	s_and_saveexec_b32 s9, vcc_lo
	s_delay_alu instid0(SALU_CYCLE_1)
	s_xor_b32 s9, exec_lo, s9
	s_cbranch_execnz .LBB9_65
; %bb.57:                               ;   in Loop: Header=BB9_37 Depth=1
	s_or_saveexec_b32 s9, s9
                                        ; implicit-def: $sgpr10
	s_delay_alu instid0(SALU_CYCLE_1)
	s_xor_b32 exec_lo, exec_lo, s9
	s_cbranch_execnz .LBB9_66
.LBB9_58:                               ;   in Loop: Header=BB9_37 Depth=1
	s_or_b32 exec_lo, exec_lo, s9
	v_mov_b32_e32 v1, s10
	s_and_saveexec_b32 s9, s8
	s_cbranch_execz .LBB9_35
	s_branch .LBB9_67
.LBB9_59:                               ;   in Loop: Header=BB9_37 Depth=1
	v_bfe_u32 v20, v21, 20, 1
	s_mov_b32 s8, exec_lo
	s_delay_alu instid0(VALU_DEP_1) | instskip(NEXT) | instid1(VALU_DEP_1)
	v_add3_u32 v20, v21, v20, 0x487ffff
	v_lshrrev_b32_e32 v22, 20, v20
	s_or_saveexec_b32 s9, s9
                                        ; implicit-def: $sgpr10
	s_delay_alu instid0(SALU_CYCLE_1)
	s_xor_b32 exec_lo, exec_lo, s9
	s_cbranch_execz .LBB9_40
.LBB9_60:                               ;   in Loop: Header=BB9_37 Depth=1
	v_add_f32_e64 v20, 0x46000000, |v21|
	s_and_not1_b32 s8, s8, exec_lo
	s_mov_b32 s10, 0
	s_delay_alu instid0(VALU_DEP_1) | instskip(NEXT) | instid1(VALU_DEP_1)
	v_and_b32_e32 v22, 0xff, v20
	v_cmp_ne_u32_e32 vcc_lo, 0, v22
	s_and_b32 s11, vcc_lo, exec_lo
	s_delay_alu instid0(SALU_CYCLE_1)
	s_or_b32 s8, s8, s11
	s_or_b32 exec_lo, exec_lo, s9
	v_mov_b32_e32 v20, s10
	s_and_saveexec_b32 s9, s8
	s_cbranch_execnz .LBB9_41
	s_branch .LBB9_42
.LBB9_61:                               ;   in Loop: Header=BB9_37 Depth=1
	v_bfe_u32 v0, v1, 20, 1
	s_mov_b32 s8, exec_lo
	s_delay_alu instid0(VALU_DEP_1) | instskip(NEXT) | instid1(VALU_DEP_1)
	v_add3_u32 v0, v1, v0, 0x487ffff
	v_lshrrev_b32_e32 v21, 20, v0
	s_or_saveexec_b32 s9, s9
                                        ; implicit-def: $sgpr10
	s_delay_alu instid0(SALU_CYCLE_1)
	s_xor_b32 exec_lo, exec_lo, s9
	s_cbranch_execz .LBB9_46
.LBB9_62:                               ;   in Loop: Header=BB9_37 Depth=1
	v_add_f32_e64 v0, 0x46000000, |v1|
	s_and_not1_b32 s8, s8, exec_lo
	s_mov_b32 s10, 0
	s_delay_alu instid0(VALU_DEP_1) | instskip(NEXT) | instid1(VALU_DEP_1)
	v_and_b32_e32 v21, 0xff, v0
	v_cmp_ne_u32_e32 vcc_lo, 0, v21
	s_and_b32 s11, vcc_lo, exec_lo
	s_delay_alu instid0(SALU_CYCLE_1)
	s_or_b32 s8, s8, s11
	s_or_b32 exec_lo, exec_lo, s9
	v_mov_b32_e32 v0, s10
	s_and_saveexec_b32 s9, s8
	s_cbranch_execnz .LBB9_47
	s_branch .LBB9_48
.LBB9_63:                               ;   in Loop: Header=BB9_37 Depth=1
	v_bfe_u32 v2, v21, 20, 1
	s_mov_b32 s8, exec_lo
	s_delay_alu instid0(VALU_DEP_1) | instskip(NEXT) | instid1(VALU_DEP_1)
	v_add3_u32 v2, v21, v2, 0x487ffff
	v_lshrrev_b32_e32 v22, 20, v2
	s_or_saveexec_b32 s9, s9
                                        ; implicit-def: $sgpr10
	s_delay_alu instid0(SALU_CYCLE_1)
	s_xor_b32 exec_lo, exec_lo, s9
	s_cbranch_execz .LBB9_52
.LBB9_64:                               ;   in Loop: Header=BB9_37 Depth=1
	v_add_f32_e64 v2, 0x46000000, |v21|
	s_and_not1_b32 s8, s8, exec_lo
	s_mov_b32 s10, 0
	s_delay_alu instid0(VALU_DEP_1) | instskip(NEXT) | instid1(VALU_DEP_1)
	v_and_b32_e32 v22, 0xff, v2
	v_cmp_ne_u32_e32 vcc_lo, 0, v22
	s_and_b32 s11, vcc_lo, exec_lo
	s_delay_alu instid0(SALU_CYCLE_1)
	s_or_b32 s8, s8, s11
	s_or_b32 exec_lo, exec_lo, s9
	v_mov_b32_e32 v2, s10
	s_and_saveexec_b32 s9, s8
	s_cbranch_execnz .LBB9_53
	s_branch .LBB9_54
.LBB9_65:                               ;   in Loop: Header=BB9_37 Depth=1
	v_bfe_u32 v1, v3, 20, 1
	s_mov_b32 s8, exec_lo
	s_delay_alu instid0(VALU_DEP_1) | instskip(NEXT) | instid1(VALU_DEP_1)
	v_add3_u32 v1, v3, v1, 0x487ffff
	v_lshrrev_b32_e32 v21, 20, v1
	s_or_saveexec_b32 s9, s9
                                        ; implicit-def: $sgpr10
	s_delay_alu instid0(SALU_CYCLE_1)
	s_xor_b32 exec_lo, exec_lo, s9
	s_cbranch_execz .LBB9_58
.LBB9_66:                               ;   in Loop: Header=BB9_37 Depth=1
	v_add_f32_e64 v1, 0x46000000, |v3|
	s_and_not1_b32 s8, s8, exec_lo
	s_mov_b32 s10, 0
	s_delay_alu instid0(VALU_DEP_1) | instskip(NEXT) | instid1(VALU_DEP_1)
	v_and_b32_e32 v21, 0xff, v1
	v_cmp_ne_u32_e32 vcc_lo, 0, v21
	s_and_b32 s11, vcc_lo, exec_lo
	s_delay_alu instid0(SALU_CYCLE_1)
	s_or_b32 s8, s8, s11
	s_or_b32 exec_lo, exec_lo, s9
	v_mov_b32_e32 v1, s10
	s_and_saveexec_b32 s9, s8
	s_cbranch_execz .LBB9_35
.LBB9_67:                               ;   in Loop: Header=BB9_37 Depth=1
	v_lshrrev_b32_e32 v1, 24, v3
	s_delay_alu instid0(VALU_DEP_1)
	v_and_or_b32 v1, 0x80, v1, v21
	s_branch .LBB9_35
.LBB9_68:
	s_or_b32 exec_lo, exec_lo, s4
	v_lshl_add_u32 v2, v14, 2, v10
	s_mov_b32 s4, exec_lo
	s_delay_alu instid0(VALU_DEP_1)
	v_cmpx_lt_i32_e64 v2, v9
	s_cbranch_execz .LBB9_79
; %bb.69:
	v_lshlrev_b32_e32 v0, 2, v11
	v_lshlrev_b32_e32 v1, 4, v14
	s_mov_b32 s5, 0
	s_delay_alu instid0(VALU_DEP_1) | instskip(SKIP_4) | instid1(VALU_DEP_4)
	v_add3_u32 v0, v0, v1, v15
	v_add_co_u32 v1, vcc_lo, v12, v4
	v_add_co_ci_u32_e32 v3, vcc_lo, v13, v5, vcc_lo
	v_ashrrev_i32_e32 v4, 31, v2
	v_lshlrev_b32_e32 v5, 2, v10
	v_add_co_u32 v1, vcc_lo, v1, v2
	s_delay_alu instid0(VALU_DEP_3) | instskip(NEXT) | instid1(VALU_DEP_3)
	v_add_co_ci_u32_e32 v4, vcc_lo, v3, v4, vcc_lo
	v_add3_u32 v3, v0, v5, 0
	s_delay_alu instid0(VALU_DEP_3) | instskip(NEXT) | instid1(VALU_DEP_3)
	v_add_co_u32 v0, vcc_lo, s2, v1
	v_add_co_ci_u32_e32 v1, vcc_lo, s3, v4, vcc_lo
	v_max_f32_e64 v4, s6, s6
	v_max_f32_e64 v5, s7, s7
	s_branch .LBB9_72
.LBB9_70:                               ;   in Loop: Header=BB9_72 Depth=1
	s_or_b32 exec_lo, exec_lo, s9
.LBB9_71:                               ;   in Loop: Header=BB9_72 Depth=1
	s_delay_alu instid0(SALU_CYCLE_1)
	s_or_b32 exec_lo, exec_lo, s0
	v_add_nc_u32_e32 v2, 16, v2
	global_store_b8 v[0:1], v10, off
	v_add_co_u32 v0, s0, v0, 16
	v_add_nc_u32_e32 v3, 64, v3
	v_cmp_ge_i32_e32 vcc_lo, v2, v9
	v_add_co_ci_u32_e64 v1, s0, 0, v1, s0
	s_or_b32 s5, vcc_lo, s5
	s_delay_alu instid0(SALU_CYCLE_1)
	s_and_not1_b32 exec_lo, exec_lo, s5
	s_cbranch_execz .LBB9_79
.LBB9_72:                               ; =>This Inner Loop Header: Depth=1
	ds_load_b32 v6, v3
	s_mov_b32 s0, exec_lo
	s_waitcnt lgkmcnt(0)
	v_div_scale_f32 v7, null, v8, v8, v6
	v_div_scale_f32 v12, vcc_lo, v6, v8, v6
	s_delay_alu instid0(VALU_DEP_2) | instskip(SKIP_2) | instid1(VALU_DEP_1)
	v_rcp_f32_e32 v10, v7
	s_waitcnt_depctr 0xfff
	v_fma_f32 v11, -v7, v10, 1.0
	v_fmac_f32_e32 v10, v11, v10
	s_delay_alu instid0(VALU_DEP_1) | instskip(NEXT) | instid1(VALU_DEP_1)
	v_mul_f32_e32 v11, v12, v10
	v_fma_f32 v13, -v7, v11, v12
	s_delay_alu instid0(VALU_DEP_1) | instskip(NEXT) | instid1(VALU_DEP_1)
	v_fmac_f32_e32 v11, v13, v10
	v_fma_f32 v7, -v7, v11, v12
	s_delay_alu instid0(VALU_DEP_1) | instskip(SKIP_1) | instid1(VALU_DEP_2)
	v_div_fmas_f32 v7, v7, v10, v11
	v_mov_b32_e32 v10, 0x80
	v_div_fixup_f32 v6, v7, v8, v6
	s_delay_alu instid0(VALU_DEP_1) | instskip(NEXT) | instid1(VALU_DEP_1)
	v_maxmin_f32 v6, v6, v4, v5
	v_and_b32_e32 v7, 0x7fffffff, v6
	s_delay_alu instid0(VALU_DEP_1)
	v_cmpx_gt_u32_e32 0x43800000, v7
	s_cbranch_execz .LBB9_71
; %bb.73:                               ;   in Loop: Header=BB9_72 Depth=1
	v_cmp_lt_u32_e32 vcc_lo, 0x3bffffff, v7
	s_mov_b32 s8, 0
                                        ; implicit-def: $vgpr7
	s_and_saveexec_b32 s9, vcc_lo
	s_delay_alu instid0(SALU_CYCLE_1)
	s_xor_b32 s9, exec_lo, s9
	s_cbranch_execnz .LBB9_76
; %bb.74:                               ;   in Loop: Header=BB9_72 Depth=1
	s_or_saveexec_b32 s9, s9
                                        ; implicit-def: $sgpr10
	s_delay_alu instid0(SALU_CYCLE_1)
	s_xor_b32 exec_lo, exec_lo, s9
	s_cbranch_execnz .LBB9_77
.LBB9_75:                               ;   in Loop: Header=BB9_72 Depth=1
	s_or_b32 exec_lo, exec_lo, s9
	v_mov_b32_e32 v10, s10
	s_and_saveexec_b32 s9, s8
	s_cbranch_execz .LBB9_70
	s_branch .LBB9_78
.LBB9_76:                               ;   in Loop: Header=BB9_72 Depth=1
	v_bfe_u32 v7, v6, 20, 1
	s_mov_b32 s8, exec_lo
	s_delay_alu instid0(VALU_DEP_1) | instskip(NEXT) | instid1(VALU_DEP_1)
	v_add3_u32 v7, v6, v7, 0x487ffff
	v_lshrrev_b32_e32 v7, 20, v7
	s_or_saveexec_b32 s9, s9
                                        ; implicit-def: $sgpr10
	s_delay_alu instid0(SALU_CYCLE_1)
	s_xor_b32 exec_lo, exec_lo, s9
	s_cbranch_execz .LBB9_75
.LBB9_77:                               ;   in Loop: Header=BB9_72 Depth=1
	v_add_f32_e64 v7, 0x46000000, |v6|
	s_and_not1_b32 s8, s8, exec_lo
	s_mov_b32 s10, 0
	s_delay_alu instid0(VALU_DEP_1) | instskip(NEXT) | instid1(VALU_DEP_1)
	v_and_b32_e32 v7, 0xff, v7
	v_cmp_ne_u32_e32 vcc_lo, 0, v7
	s_and_b32 s11, vcc_lo, exec_lo
	s_delay_alu instid0(SALU_CYCLE_1)
	s_or_b32 s8, s8, s11
	s_or_b32 exec_lo, exec_lo, s9
	v_mov_b32_e32 v10, s10
	s_and_saveexec_b32 s9, s8
	s_cbranch_execz .LBB9_70
.LBB9_78:                               ;   in Loop: Header=BB9_72 Depth=1
	v_lshrrev_b32_e32 v6, 24, v6
	s_delay_alu instid0(VALU_DEP_1)
	v_and_or_b32 v10, 0x80, v6, v7
	s_branch .LBB9_70
.LBB9_79:
	s_or_b32 exec_lo, exec_lo, s4
                                        ; implicit-def: $vgpr10
                                        ; implicit-def: $vgpr8
                                        ; implicit-def: $vgpr11
                                        ; implicit-def: $vgpr4_vgpr5
.LBB9_80:
	s_and_not1_saveexec_b32 s0, s1
	s_cbranch_execz .LBB9_116
; %bb.81:
	s_ashr_i32 s1, s14, 2
	s_mov_b32 s0, exec_lo
	v_cmpx_gt_i32_e64 s1, v10
	s_cbranch_execz .LBB9_116
; %bb.82:
	v_lshlrev_b32_e32 v0, 2, v10
	v_lshlrev_b32_e32 v1, 2, v11
	;; [unrolled: 1-line block ×3, first 2 shown]
	v_max_f32_e64 v7, s6, s6
	v_max_f32_e64 v9, s7, s7
	v_add_co_u32 v0, vcc_lo, v4, v0
	v_add_co_ci_u32_e32 v3, vcc_lo, 0, v5, vcc_lo
	v_add3_u32 v6, v1, v2, 0
	s_delay_alu instid0(VALU_DEP_3) | instskip(NEXT) | instid1(VALU_DEP_3)
	v_add_co_u32 v4, vcc_lo, s2, v0
	v_add_co_ci_u32_e32 v5, vcc_lo, s3, v3, vcc_lo
	s_mov_b32 s2, 0
	s_branch .LBB9_85
.LBB9_83:                               ;   in Loop: Header=BB9_85 Depth=1
	s_or_b32 exec_lo, exec_lo, s4
.LBB9_84:                               ;   in Loop: Header=BB9_85 Depth=1
	s_delay_alu instid0(SALU_CYCLE_1)
	s_or_b32 exec_lo, exec_lo, s0
	v_lshlrev_b32_e32 v2, 16, v2
	v_lshlrev_b32_e32 v0, 8, v0
	v_and_b32_e32 v3, 0xff, v11
	v_add_nc_u32_e32 v10, 16, v10
	v_add_nc_u32_e32 v6, 0x100, v6
	v_perm_b32 v1, v1, v2, 0x4020c0c
	v_and_b32_e32 v0, 0xff00, v0
	s_delay_alu instid0(VALU_DEP_4) | instskip(NEXT) | instid1(VALU_DEP_2)
	v_cmp_le_i32_e32 vcc_lo, s1, v10
	v_or3_b32 v0, v1, v0, v3
	s_or_b32 s2, vcc_lo, s2
	global_store_b32 v[4:5], v0, off
	v_add_co_u32 v4, s0, v4, 64
	s_delay_alu instid0(VALU_DEP_1)
	v_add_co_ci_u32_e64 v5, s0, 0, v5, s0
	s_and_not1_b32 exec_lo, exec_lo, s2
	s_cbranch_execz .LBB9_116
.LBB9_85:                               ; =>This Inner Loop Header: Depth=1
	ds_load_b128 v[0:3], v6
	s_mov_b32 s0, exec_lo
	s_waitcnt lgkmcnt(0)
	v_div_scale_f32 v11, null, v8, v8, v0
	v_div_scale_f32 v14, vcc_lo, v0, v8, v0
	s_delay_alu instid0(VALU_DEP_2) | instskip(SKIP_2) | instid1(VALU_DEP_1)
	v_rcp_f32_e32 v12, v11
	s_waitcnt_depctr 0xfff
	v_fma_f32 v13, -v11, v12, 1.0
	v_fmac_f32_e32 v12, v13, v12
	s_delay_alu instid0(VALU_DEP_1) | instskip(NEXT) | instid1(VALU_DEP_1)
	v_mul_f32_e32 v13, v14, v12
	v_fma_f32 v15, -v11, v13, v14
	s_delay_alu instid0(VALU_DEP_1) | instskip(NEXT) | instid1(VALU_DEP_1)
	v_fmac_f32_e32 v13, v15, v12
	v_fma_f32 v11, -v11, v13, v14
	s_delay_alu instid0(VALU_DEP_1) | instskip(NEXT) | instid1(VALU_DEP_1)
	v_div_fmas_f32 v11, v11, v12, v13
	v_div_fixup_f32 v0, v11, v8, v0
	v_mov_b32_e32 v11, 0x80
	s_delay_alu instid0(VALU_DEP_2) | instskip(SKIP_1) | instid1(VALU_DEP_2)
	v_maxmin_f32 v12, v0, v7, v9
	v_mov_b32_e32 v0, 0x80
	v_and_b32_e32 v13, 0x7fffffff, v12
	s_delay_alu instid0(VALU_DEP_1)
	v_cmpx_gt_u32_e32 0x43800000, v13
	s_cbranch_execz .LBB9_91
; %bb.86:                               ;   in Loop: Header=BB9_85 Depth=1
	v_cmp_lt_u32_e32 vcc_lo, 0x3bffffff, v13
	s_mov_b32 s3, 0
                                        ; implicit-def: $vgpr13
	s_and_saveexec_b32 s4, vcc_lo
	s_delay_alu instid0(SALU_CYCLE_1)
	s_xor_b32 s4, exec_lo, s4
	s_cbranch_execnz .LBB9_107
; %bb.87:                               ;   in Loop: Header=BB9_85 Depth=1
	s_or_saveexec_b32 s4, s4
                                        ; implicit-def: $sgpr5
	s_delay_alu instid0(SALU_CYCLE_1)
	s_xor_b32 exec_lo, exec_lo, s4
	s_cbranch_execnz .LBB9_108
.LBB9_88:                               ;   in Loop: Header=BB9_85 Depth=1
	s_or_b32 exec_lo, exec_lo, s4
	v_mov_b32_e32 v11, s5
	s_and_saveexec_b32 s4, s3
.LBB9_89:                               ;   in Loop: Header=BB9_85 Depth=1
	v_lshrrev_b32_e32 v11, 24, v12
	s_delay_alu instid0(VALU_DEP_1)
	v_and_or_b32 v11, 0x80, v11, v13
.LBB9_90:                               ;   in Loop: Header=BB9_85 Depth=1
	s_or_b32 exec_lo, exec_lo, s4
.LBB9_91:                               ;   in Loop: Header=BB9_85 Depth=1
	s_delay_alu instid0(SALU_CYCLE_1) | instskip(SKIP_2) | instid1(VALU_DEP_1)
	s_or_b32 exec_lo, exec_lo, s0
	v_div_scale_f32 v12, null, v8, v8, v1
	s_mov_b32 s0, exec_lo
	v_rcp_f32_e32 v13, v12
	s_waitcnt_depctr 0xfff
	v_fma_f32 v14, -v12, v13, 1.0
	s_delay_alu instid0(VALU_DEP_1) | instskip(SKIP_1) | instid1(VALU_DEP_1)
	v_fmac_f32_e32 v13, v14, v13
	v_div_scale_f32 v14, vcc_lo, v1, v8, v1
	v_mul_f32_e32 v15, v14, v13
	s_delay_alu instid0(VALU_DEP_1) | instskip(NEXT) | instid1(VALU_DEP_1)
	v_fma_f32 v16, -v12, v15, v14
	v_fmac_f32_e32 v15, v16, v13
	s_delay_alu instid0(VALU_DEP_1) | instskip(NEXT) | instid1(VALU_DEP_1)
	v_fma_f32 v12, -v12, v15, v14
	v_div_fmas_f32 v12, v12, v13, v15
	s_delay_alu instid0(VALU_DEP_1) | instskip(NEXT) | instid1(VALU_DEP_1)
	v_div_fixup_f32 v1, v12, v8, v1
	v_maxmin_f32 v1, v1, v7, v9
	s_delay_alu instid0(VALU_DEP_1) | instskip(NEXT) | instid1(VALU_DEP_1)
	v_and_b32_e32 v12, 0x7fffffff, v1
	v_cmpx_gt_u32_e32 0x43800000, v12
	s_cbranch_execz .LBB9_97
; %bb.92:                               ;   in Loop: Header=BB9_85 Depth=1
	v_cmp_lt_u32_e32 vcc_lo, 0x3bffffff, v12
	s_mov_b32 s3, 0
                                        ; implicit-def: $vgpr12
	s_and_saveexec_b32 s4, vcc_lo
	s_delay_alu instid0(SALU_CYCLE_1)
	s_xor_b32 s4, exec_lo, s4
	s_cbranch_execnz .LBB9_109
; %bb.93:                               ;   in Loop: Header=BB9_85 Depth=1
	s_or_saveexec_b32 s4, s4
                                        ; implicit-def: $sgpr5
	s_delay_alu instid0(SALU_CYCLE_1)
	s_xor_b32 exec_lo, exec_lo, s4
	s_cbranch_execnz .LBB9_110
.LBB9_94:                               ;   in Loop: Header=BB9_85 Depth=1
	s_or_b32 exec_lo, exec_lo, s4
	v_mov_b32_e32 v0, s5
	s_and_saveexec_b32 s4, s3
.LBB9_95:                               ;   in Loop: Header=BB9_85 Depth=1
	v_lshrrev_b32_e32 v0, 24, v1
	s_delay_alu instid0(VALU_DEP_1)
	v_and_or_b32 v0, 0x80, v0, v12
.LBB9_96:                               ;   in Loop: Header=BB9_85 Depth=1
	s_or_b32 exec_lo, exec_lo, s4
.LBB9_97:                               ;   in Loop: Header=BB9_85 Depth=1
	s_delay_alu instid0(SALU_CYCLE_1) | instskip(SKIP_3) | instid1(VALU_DEP_2)
	s_or_b32 exec_lo, exec_lo, s0
	v_div_scale_f32 v1, null, v8, v8, v2
	v_div_scale_f32 v14, vcc_lo, v2, v8, v2
	s_mov_b32 s0, exec_lo
	v_rcp_f32_e32 v12, v1
	s_waitcnt_depctr 0xfff
	v_fma_f32 v13, -v1, v12, 1.0
	s_delay_alu instid0(VALU_DEP_1) | instskip(NEXT) | instid1(VALU_DEP_1)
	v_fmac_f32_e32 v12, v13, v12
	v_mul_f32_e32 v13, v14, v12
	s_delay_alu instid0(VALU_DEP_1) | instskip(NEXT) | instid1(VALU_DEP_1)
	v_fma_f32 v15, -v1, v13, v14
	v_fmac_f32_e32 v13, v15, v12
	s_delay_alu instid0(VALU_DEP_1) | instskip(NEXT) | instid1(VALU_DEP_1)
	v_fma_f32 v1, -v1, v13, v14
	v_div_fmas_f32 v1, v1, v12, v13
	s_delay_alu instid0(VALU_DEP_1) | instskip(SKIP_1) | instid1(VALU_DEP_2)
	v_div_fixup_f32 v1, v1, v8, v2
	v_mov_b32_e32 v2, 0x80
	v_maxmin_f32 v12, v1, v7, v9
	v_mov_b32_e32 v1, 0x80
	s_delay_alu instid0(VALU_DEP_2) | instskip(NEXT) | instid1(VALU_DEP_1)
	v_and_b32_e32 v13, 0x7fffffff, v12
	v_cmpx_gt_u32_e32 0x43800000, v13
	s_cbranch_execz .LBB9_103
; %bb.98:                               ;   in Loop: Header=BB9_85 Depth=1
	v_cmp_lt_u32_e32 vcc_lo, 0x3bffffff, v13
	s_mov_b32 s3, 0
                                        ; implicit-def: $vgpr13
	s_and_saveexec_b32 s4, vcc_lo
	s_delay_alu instid0(SALU_CYCLE_1)
	s_xor_b32 s4, exec_lo, s4
	s_cbranch_execnz .LBB9_111
; %bb.99:                               ;   in Loop: Header=BB9_85 Depth=1
	s_or_saveexec_b32 s4, s4
                                        ; implicit-def: $sgpr5
	s_delay_alu instid0(SALU_CYCLE_1)
	s_xor_b32 exec_lo, exec_lo, s4
	s_cbranch_execnz .LBB9_112
.LBB9_100:                              ;   in Loop: Header=BB9_85 Depth=1
	s_or_b32 exec_lo, exec_lo, s4
	v_mov_b32_e32 v2, s5
	s_and_saveexec_b32 s4, s3
.LBB9_101:                              ;   in Loop: Header=BB9_85 Depth=1
	v_lshrrev_b32_e32 v2, 24, v12
	s_delay_alu instid0(VALU_DEP_1)
	v_and_or_b32 v2, 0x80, v2, v13
.LBB9_102:                              ;   in Loop: Header=BB9_85 Depth=1
	s_or_b32 exec_lo, exec_lo, s4
.LBB9_103:                              ;   in Loop: Header=BB9_85 Depth=1
	s_delay_alu instid0(SALU_CYCLE_1) | instskip(SKIP_2) | instid1(VALU_DEP_1)
	s_or_b32 exec_lo, exec_lo, s0
	v_div_scale_f32 v12, null, v8, v8, v3
	s_mov_b32 s0, exec_lo
	v_rcp_f32_e32 v13, v12
	s_waitcnt_depctr 0xfff
	v_fma_f32 v14, -v12, v13, 1.0
	s_delay_alu instid0(VALU_DEP_1) | instskip(SKIP_1) | instid1(VALU_DEP_1)
	v_fmac_f32_e32 v13, v14, v13
	v_div_scale_f32 v14, vcc_lo, v3, v8, v3
	v_mul_f32_e32 v15, v14, v13
	s_delay_alu instid0(VALU_DEP_1) | instskip(NEXT) | instid1(VALU_DEP_1)
	v_fma_f32 v16, -v12, v15, v14
	v_fmac_f32_e32 v15, v16, v13
	s_delay_alu instid0(VALU_DEP_1) | instskip(NEXT) | instid1(VALU_DEP_1)
	v_fma_f32 v12, -v12, v15, v14
	v_div_fmas_f32 v12, v12, v13, v15
	s_delay_alu instid0(VALU_DEP_1) | instskip(NEXT) | instid1(VALU_DEP_1)
	v_div_fixup_f32 v3, v12, v8, v3
	v_maxmin_f32 v3, v3, v7, v9
	s_delay_alu instid0(VALU_DEP_1) | instskip(NEXT) | instid1(VALU_DEP_1)
	v_and_b32_e32 v12, 0x7fffffff, v3
	v_cmpx_gt_u32_e32 0x43800000, v12
	s_cbranch_execz .LBB9_84
; %bb.104:                              ;   in Loop: Header=BB9_85 Depth=1
	v_cmp_lt_u32_e32 vcc_lo, 0x3bffffff, v12
	s_mov_b32 s3, 0
                                        ; implicit-def: $vgpr12
	s_and_saveexec_b32 s4, vcc_lo
	s_delay_alu instid0(SALU_CYCLE_1)
	s_xor_b32 s4, exec_lo, s4
	s_cbranch_execnz .LBB9_113
; %bb.105:                              ;   in Loop: Header=BB9_85 Depth=1
	s_or_saveexec_b32 s4, s4
                                        ; implicit-def: $sgpr5
	s_delay_alu instid0(SALU_CYCLE_1)
	s_xor_b32 exec_lo, exec_lo, s4
	s_cbranch_execnz .LBB9_114
.LBB9_106:                              ;   in Loop: Header=BB9_85 Depth=1
	s_or_b32 exec_lo, exec_lo, s4
	v_mov_b32_e32 v1, s5
	s_and_saveexec_b32 s4, s3
	s_cbranch_execz .LBB9_83
	s_branch .LBB9_115
.LBB9_107:                              ;   in Loop: Header=BB9_85 Depth=1
	v_bfe_u32 v11, v12, 20, 1
	s_mov_b32 s3, exec_lo
	s_delay_alu instid0(VALU_DEP_1) | instskip(NEXT) | instid1(VALU_DEP_1)
	v_add3_u32 v11, v12, v11, 0x487ffff
	v_lshrrev_b32_e32 v13, 20, v11
	s_or_saveexec_b32 s4, s4
                                        ; implicit-def: $sgpr5
	s_delay_alu instid0(SALU_CYCLE_1)
	s_xor_b32 exec_lo, exec_lo, s4
	s_cbranch_execz .LBB9_88
.LBB9_108:                              ;   in Loop: Header=BB9_85 Depth=1
	v_add_f32_e64 v11, 0x46000000, |v12|
	s_and_not1_b32 s3, s3, exec_lo
	s_mov_b32 s5, 0
	s_delay_alu instid0(VALU_DEP_1) | instskip(NEXT) | instid1(VALU_DEP_1)
	v_and_b32_e32 v13, 0xff, v11
	v_cmp_ne_u32_e32 vcc_lo, 0, v13
	s_and_b32 s6, vcc_lo, exec_lo
	s_delay_alu instid0(SALU_CYCLE_1)
	s_or_b32 s3, s3, s6
	s_or_b32 exec_lo, exec_lo, s4
	v_mov_b32_e32 v11, s5
	s_and_saveexec_b32 s4, s3
	s_cbranch_execnz .LBB9_89
	s_branch .LBB9_90
.LBB9_109:                              ;   in Loop: Header=BB9_85 Depth=1
	v_bfe_u32 v0, v1, 20, 1
	s_mov_b32 s3, exec_lo
	s_delay_alu instid0(VALU_DEP_1) | instskip(NEXT) | instid1(VALU_DEP_1)
	v_add3_u32 v0, v1, v0, 0x487ffff
	v_lshrrev_b32_e32 v12, 20, v0
	s_or_saveexec_b32 s4, s4
                                        ; implicit-def: $sgpr5
	s_delay_alu instid0(SALU_CYCLE_1)
	s_xor_b32 exec_lo, exec_lo, s4
	s_cbranch_execz .LBB9_94
.LBB9_110:                              ;   in Loop: Header=BB9_85 Depth=1
	v_add_f32_e64 v0, 0x46000000, |v1|
	s_and_not1_b32 s3, s3, exec_lo
	s_mov_b32 s5, 0
	s_delay_alu instid0(VALU_DEP_1) | instskip(NEXT) | instid1(VALU_DEP_1)
	v_and_b32_e32 v12, 0xff, v0
	v_cmp_ne_u32_e32 vcc_lo, 0, v12
	s_and_b32 s6, vcc_lo, exec_lo
	s_delay_alu instid0(SALU_CYCLE_1)
	s_or_b32 s3, s3, s6
	s_or_b32 exec_lo, exec_lo, s4
	v_mov_b32_e32 v0, s5
	s_and_saveexec_b32 s4, s3
	s_cbranch_execnz .LBB9_95
	s_branch .LBB9_96
.LBB9_111:                              ;   in Loop: Header=BB9_85 Depth=1
	v_bfe_u32 v2, v12, 20, 1
	s_mov_b32 s3, exec_lo
	s_delay_alu instid0(VALU_DEP_1) | instskip(NEXT) | instid1(VALU_DEP_1)
	v_add3_u32 v2, v12, v2, 0x487ffff
	v_lshrrev_b32_e32 v13, 20, v2
	s_or_saveexec_b32 s4, s4
                                        ; implicit-def: $sgpr5
	s_delay_alu instid0(SALU_CYCLE_1)
	s_xor_b32 exec_lo, exec_lo, s4
	s_cbranch_execz .LBB9_100
.LBB9_112:                              ;   in Loop: Header=BB9_85 Depth=1
	v_add_f32_e64 v2, 0x46000000, |v12|
	s_and_not1_b32 s3, s3, exec_lo
	s_mov_b32 s5, 0
	s_delay_alu instid0(VALU_DEP_1) | instskip(NEXT) | instid1(VALU_DEP_1)
	v_and_b32_e32 v13, 0xff, v2
	v_cmp_ne_u32_e32 vcc_lo, 0, v13
	s_and_b32 s6, vcc_lo, exec_lo
	s_delay_alu instid0(SALU_CYCLE_1)
	s_or_b32 s3, s3, s6
	s_or_b32 exec_lo, exec_lo, s4
	v_mov_b32_e32 v2, s5
	s_and_saveexec_b32 s4, s3
	s_cbranch_execnz .LBB9_101
	s_branch .LBB9_102
.LBB9_113:                              ;   in Loop: Header=BB9_85 Depth=1
	v_bfe_u32 v1, v3, 20, 1
	s_mov_b32 s3, exec_lo
	s_delay_alu instid0(VALU_DEP_1) | instskip(NEXT) | instid1(VALU_DEP_1)
	v_add3_u32 v1, v3, v1, 0x487ffff
	v_lshrrev_b32_e32 v12, 20, v1
	s_or_saveexec_b32 s4, s4
                                        ; implicit-def: $sgpr5
	s_delay_alu instid0(SALU_CYCLE_1)
	s_xor_b32 exec_lo, exec_lo, s4
	s_cbranch_execz .LBB9_106
.LBB9_114:                              ;   in Loop: Header=BB9_85 Depth=1
	v_add_f32_e64 v1, 0x46000000, |v3|
	s_and_not1_b32 s3, s3, exec_lo
	s_mov_b32 s5, 0
	s_delay_alu instid0(VALU_DEP_1) | instskip(NEXT) | instid1(VALU_DEP_1)
	v_and_b32_e32 v12, 0xff, v1
	v_cmp_ne_u32_e32 vcc_lo, 0, v12
	s_and_b32 s6, vcc_lo, exec_lo
	s_delay_alu instid0(SALU_CYCLE_1)
	s_or_b32 s3, s3, s6
	s_or_b32 exec_lo, exec_lo, s4
	v_mov_b32_e32 v1, s5
	s_and_saveexec_b32 s4, s3
	s_cbranch_execz .LBB9_83
.LBB9_115:                              ;   in Loop: Header=BB9_85 Depth=1
	v_lshrrev_b32_e32 v1, 24, v3
	s_delay_alu instid0(VALU_DEP_1)
	v_and_or_b32 v1, 0x80, v1, v12
	s_branch .LBB9_83
.LBB9_116:
	s_nop 0
	s_sendmsg sendmsg(MSG_DEALLOC_VGPRS)
	s_endpgm
.LBB9_117:
	v_bfe_u32 v1, v0, 20, 1
	s_mov_b32 s5, exec_lo
	s_delay_alu instid0(VALU_DEP_1) | instskip(NEXT) | instid1(VALU_DEP_1)
	v_add3_u32 v1, v0, v1, 0x487ffff
	v_lshrrev_b32_e32 v1, 20, v1
	s_or_saveexec_b32 s8, s8
                                        ; implicit-def: $sgpr9
	s_delay_alu instid0(SALU_CYCLE_1)
	s_xor_b32 exec_lo, exec_lo, s8
	s_cbranch_execz .LBB9_29
.LBB9_118:
	v_add_f32_e64 v1, 0x46000000, |v0|
	s_and_not1_b32 s5, s5, exec_lo
	s_mov_b32 s9, 0
	s_delay_alu instid0(VALU_DEP_1) | instskip(NEXT) | instid1(VALU_DEP_1)
	v_and_b32_e32 v1, 0xff, v1
	v_cmp_ne_u32_e32 vcc_lo, 0, v1
	s_and_b32 s10, vcc_lo, exec_lo
	s_delay_alu instid0(SALU_CYCLE_1)
	s_or_b32 s5, s5, s10
	s_or_b32 exec_lo, exec_lo, s8
	v_mov_b32_e32 v2, s9
	s_and_saveexec_b32 s8, s5
	s_cbranch_execnz .LBB9_30
	s_branch .LBB9_31
	.section	.rodata,"a",@progbits
	.p2align	6, 0x0
	.amdhsa_kernel _Z33per_token_group_quant_8bit_kernelIfN3c1015Float8_e4m3fnuzELb1ELb0EfEvPKT_PvPT3_iiifffii
		.amdhsa_group_segment_fixed_size 0
		.amdhsa_private_segment_fixed_size 0
		.amdhsa_kernarg_size 56
		.amdhsa_user_sgpr_count 15
		.amdhsa_user_sgpr_dispatch_ptr 0
		.amdhsa_user_sgpr_queue_ptr 0
		.amdhsa_user_sgpr_kernarg_segment_ptr 1
		.amdhsa_user_sgpr_dispatch_id 0
		.amdhsa_user_sgpr_private_segment_size 0
		.amdhsa_wavefront_size32 1
		.amdhsa_uses_dynamic_stack 0
		.amdhsa_enable_private_segment 0
		.amdhsa_system_sgpr_workgroup_id_x 1
		.amdhsa_system_sgpr_workgroup_id_y 0
		.amdhsa_system_sgpr_workgroup_id_z 0
		.amdhsa_system_sgpr_workgroup_info 0
		.amdhsa_system_vgpr_workitem_id 0
		.amdhsa_next_free_vgpr 26
		.amdhsa_next_free_sgpr 17
		.amdhsa_reserve_vcc 1
		.amdhsa_float_round_mode_32 0
		.amdhsa_float_round_mode_16_64 0
		.amdhsa_float_denorm_mode_32 3
		.amdhsa_float_denorm_mode_16_64 3
		.amdhsa_dx10_clamp 1
		.amdhsa_ieee_mode 1
		.amdhsa_fp16_overflow 0
		.amdhsa_workgroup_processor_mode 1
		.amdhsa_memory_ordered 1
		.amdhsa_forward_progress 0
		.amdhsa_shared_vgpr_count 0
		.amdhsa_exception_fp_ieee_invalid_op 0
		.amdhsa_exception_fp_denorm_src 0
		.amdhsa_exception_fp_ieee_div_zero 0
		.amdhsa_exception_fp_ieee_overflow 0
		.amdhsa_exception_fp_ieee_underflow 0
		.amdhsa_exception_fp_ieee_inexact 0
		.amdhsa_exception_int_div_zero 0
	.end_amdhsa_kernel
	.section	.text._Z33per_token_group_quant_8bit_kernelIfN3c1015Float8_e4m3fnuzELb1ELb0EfEvPKT_PvPT3_iiifffii,"axG",@progbits,_Z33per_token_group_quant_8bit_kernelIfN3c1015Float8_e4m3fnuzELb1ELb0EfEvPKT_PvPT3_iiifffii,comdat
.Lfunc_end9:
	.size	_Z33per_token_group_quant_8bit_kernelIfN3c1015Float8_e4m3fnuzELb1ELb0EfEvPKT_PvPT3_iiifffii, .Lfunc_end9-_Z33per_token_group_quant_8bit_kernelIfN3c1015Float8_e4m3fnuzELb1ELb0EfEvPKT_PvPT3_iiifffii
                                        ; -- End function
	.section	.AMDGPU.csdata,"",@progbits
; Kernel info:
; codeLenInByte = 6620
; NumSgprs: 19
; NumVgprs: 26
; ScratchSize: 0
; MemoryBound: 0
; FloatMode: 240
; IeeeMode: 1
; LDSByteSize: 0 bytes/workgroup (compile time only)
; SGPRBlocks: 2
; VGPRBlocks: 3
; NumSGPRsForWavesPerEU: 19
; NumVGPRsForWavesPerEU: 26
; Occupancy: 16
; WaveLimiterHint : 0
; COMPUTE_PGM_RSRC2:SCRATCH_EN: 0
; COMPUTE_PGM_RSRC2:USER_SGPR: 15
; COMPUTE_PGM_RSRC2:TRAP_HANDLER: 0
; COMPUTE_PGM_RSRC2:TGID_X_EN: 1
; COMPUTE_PGM_RSRC2:TGID_Y_EN: 0
; COMPUTE_PGM_RSRC2:TGID_Z_EN: 0
; COMPUTE_PGM_RSRC2:TIDIG_COMP_CNT: 0
	.section	.text._Z33per_token_group_quant_8bit_kernelIfN3c1015Float8_e4m3fnuzELb0ELb1EfEvPKT_PvPT3_iiifffii,"axG",@progbits,_Z33per_token_group_quant_8bit_kernelIfN3c1015Float8_e4m3fnuzELb0ELb1EfEvPKT_PvPT3_iiifffii,comdat
	.protected	_Z33per_token_group_quant_8bit_kernelIfN3c1015Float8_e4m3fnuzELb0ELb1EfEvPKT_PvPT3_iiifffii ; -- Begin function _Z33per_token_group_quant_8bit_kernelIfN3c1015Float8_e4m3fnuzELb0ELb1EfEvPKT_PvPT3_iiifffii
	.globl	_Z33per_token_group_quant_8bit_kernelIfN3c1015Float8_e4m3fnuzELb0ELb1EfEvPKT_PvPT3_iiifffii
	.p2align	8
	.type	_Z33per_token_group_quant_8bit_kernelIfN3c1015Float8_e4m3fnuzELb0ELb1EfEvPKT_PvPT3_iiifffii,@function
_Z33per_token_group_quant_8bit_kernelIfN3c1015Float8_e4m3fnuzELb0ELb1EfEvPKT_PvPT3_iiifffii: ; @_Z33per_token_group_quant_8bit_kernelIfN3c1015Float8_e4m3fnuzELb0ELb1EfEvPKT_PvPT3_iiifffii
; %bb.0:
	s_clause 0x1
	s_load_b128 s[4:7], s[0:1], 0x20
	s_load_b32 s8, s[0:1], 0x18
	v_lshrrev_b32_e32 v3, 4, v0
	v_and_b32_e32 v12, 15, v0
	s_waitcnt lgkmcnt(0)
	s_mul_i32 s15, s15, s4
	s_ashr_i32 s4, s8, 31
	v_add_co_u32 v1, s2, s15, v3
	s_delay_alu instid0(VALU_DEP_1) | instskip(SKIP_1) | instid1(VALU_DEP_2)
	v_add_co_ci_u32_e64 v2, null, 0, 0, s2
	s_load_b64 s[2:3], s[0:1], 0x0
	v_mul_lo_u32 v7, v1, s4
	v_mad_u64_u32 v[4:5], null, v1, s8, 0
	s_delay_alu instid0(VALU_DEP_3) | instskip(SKIP_2) | instid1(SALU_CYCLE_1)
	v_mul_lo_u32 v6, v2, s8
	v_mul_lo_u32 v13, v3, s8
	s_and_b32 s9, s8, 3
                                        ; implicit-def: $vgpr3
	s_cmp_eq_u32 s9, 0
	s_cselect_b32 s4, -1, 0
	s_cmp_lg_u32 s9, 0
	s_delay_alu instid0(VALU_DEP_2) | instskip(NEXT) | instid1(VALU_DEP_2)
	v_add3_u32 v5, v5, v7, v6
	v_lshl_add_u32 v0, v13, 2, 0
	s_cselect_b32 s9, -1, 0
	s_delay_alu instid0(VALU_DEP_2) | instskip(SKIP_1) | instid1(VALU_DEP_1)
	v_lshlrev_b64 v[6:7], 2, v[4:5]
	s_waitcnt lgkmcnt(0)
	v_add_co_u32 v8, vcc_lo, s2, v6
	v_mov_b32_e32 v11, 0
	s_delay_alu instid0(VALU_DEP_3) | instskip(NEXT) | instid1(VALU_DEP_3)
	v_add_co_ci_u32_e32 v9, vcc_lo, s3, v7, vcc_lo
	v_and_b32_e32 v10, 15, v8
	s_delay_alu instid0(VALU_DEP_1) | instskip(SKIP_1) | instid1(SALU_CYCLE_1)
	v_cmp_ne_u64_e32 vcc_lo, 0, v[10:11]
	s_or_b32 s9, s9, vcc_lo
	s_and_saveexec_b32 s10, s9
	s_delay_alu instid0(SALU_CYCLE_1)
	s_xor_b32 s9, exec_lo, s10
	s_cbranch_execz .LBB10_12
; %bb.1:
	v_sub_nc_u32_e32 v3, 0, v8
	s_mov_b32 s10, exec_lo
	s_delay_alu instid0(VALU_DEP_1) | instskip(NEXT) | instid1(VALU_DEP_1)
	v_bfe_u32 v3, v3, 2, 2
	v_min_i32_e32 v10, s8, v3
	v_mov_b32_e32 v3, s5
	s_delay_alu instid0(VALU_DEP_2)
	v_cmpx_gt_i32_e64 v10, v12
	s_cbranch_execz .LBB10_3
; %bb.2:
	v_lshlrev_b32_e32 v3, 2, v12
	v_max_f32_e64 v11, s5, s5
	s_delay_alu instid0(VALU_DEP_2) | instskip(SKIP_4) | instid1(VALU_DEP_1)
	v_add_co_u32 v8, vcc_lo, v8, v3
	v_add_co_ci_u32_e32 v9, vcc_lo, 0, v9, vcc_lo
	global_load_b32 v8, v[8:9], off
	s_waitcnt vmcnt(0)
	v_max_f32_e64 v9, |v8|, |v8|
	v_dual_max_f32 v3, v11, v9 :: v_dual_add_nc_u32 v14, v0, v3
	ds_store_b32 v14, v8
.LBB10_3:
	s_or_b32 exec_lo, exec_lo, s10
	v_sub_nc_u32_e32 v14, s8, v10
	v_ashrrev_i32_e32 v11, 31, v10
	v_lshlrev_b32_e32 v15, 2, v10
	s_mov_b32 s10, exec_lo
	s_delay_alu instid0(VALU_DEP_3) | instskip(NEXT) | instid1(VALU_DEP_1)
	v_ashrrev_i32_e32 v8, 31, v14
	v_lshrrev_b32_e32 v8, 30, v8
	s_delay_alu instid0(VALU_DEP_1) | instskip(NEXT) | instid1(VALU_DEP_1)
	v_add_nc_u32_e32 v8, v14, v8
	v_ashrrev_i32_e32 v16, 2, v8
	v_lshlrev_b64 v[8:9], 2, v[10:11]
	s_delay_alu instid0(VALU_DEP_2)
	v_cmpx_gt_i32_e64 v16, v12
	s_cbranch_execz .LBB10_7
; %bb.4:
	v_lshlrev_b32_e32 v10, 4, v12
	s_mov_b32 s11, 0
	s_delay_alu instid0(VALU_DEP_1) | instskip(SKIP_2) | instid1(VALU_DEP_3)
	v_add_co_u32 v11, vcc_lo, v6, v10
	v_add_co_ci_u32_e32 v17, vcc_lo, 0, v7, vcc_lo
	v_lshl_add_u32 v10, v13, 2, v10
	v_add_co_u32 v11, vcc_lo, v11, v8
	s_delay_alu instid0(VALU_DEP_3) | instskip(NEXT) | instid1(VALU_DEP_2)
	v_add_co_ci_u32_e32 v17, vcc_lo, v17, v9, vcc_lo
	v_add_co_u32 v11, vcc_lo, v11, s2
	s_delay_alu instid0(VALU_DEP_2) | instskip(SKIP_1) | instid1(VALU_DEP_3)
	v_add_co_ci_u32_e32 v18, vcc_lo, s3, v17, vcc_lo
	v_add3_u32 v17, v10, v15, 0
	v_add_co_u32 v10, vcc_lo, v11, 8
	s_delay_alu instid0(VALU_DEP_3)
	v_add_co_ci_u32_e32 v11, vcc_lo, 0, v18, vcc_lo
	v_mov_b32_e32 v18, v12
	.p2align	6
.LBB10_5:                               ; =>This Inner Loop Header: Depth=1
	global_load_b128 v[19:22], v[10:11], off offset:-8
	v_add_nc_u32_e32 v18, 16, v18
	v_add_co_u32 v10, vcc_lo, 0x100, v10
	v_add_co_ci_u32_e32 v11, vcc_lo, 0, v11, vcc_lo
	s_delay_alu instid0(VALU_DEP_3)
	v_cmp_ge_i32_e32 vcc_lo, v18, v16
	s_or_b32 s11, vcc_lo, s11
	s_waitcnt vmcnt(0)
	v_max3_f32 v3, v3, |v19|, |v20|
	ds_store_b128 v17, v[19:22]
	v_add_nc_u32_e32 v17, 0x100, v17
	v_max3_f32 v3, v3, |v21|, |v22|
	s_and_not1_b32 exec_lo, exec_lo, s11
	s_cbranch_execnz .LBB10_5
; %bb.6:
	s_or_b32 exec_lo, exec_lo, s11
.LBB10_7:
	s_delay_alu instid0(SALU_CYCLE_1) | instskip(SKIP_2) | instid1(VALU_DEP_1)
	s_or_b32 exec_lo, exec_lo, s10
	v_lshl_add_u32 v10, v16, 2, v12
	s_mov_b32 s10, exec_lo
	v_cmpx_lt_i32_e64 v10, v14
	s_cbranch_execz .LBB10_11
; %bb.8:
	v_ashrrev_i32_e32 v11, 31, v10
	v_lshlrev_b32_e32 v19, 4, v16
	v_add_co_u32 v6, vcc_lo, v6, v8
	v_lshlrev_b32_e32 v18, 2, v13
	s_delay_alu instid0(VALU_DEP_4) | instskip(SKIP_2) | instid1(VALU_DEP_4)
	v_lshlrev_b64 v[16:17], 2, v[10:11]
	v_add_co_ci_u32_e32 v7, vcc_lo, v7, v9, vcc_lo
	v_lshlrev_b32_e32 v20, 2, v12
	v_add3_u32 v8, v18, v19, v15
	s_mov_b32 s11, 0
	s_delay_alu instid0(VALU_DEP_4) | instskip(SKIP_1) | instid1(VALU_DEP_3)
	v_add_co_u32 v6, vcc_lo, v6, v16
	v_add_co_ci_u32_e32 v7, vcc_lo, v7, v17, vcc_lo
	v_add3_u32 v8, v8, v20, 0
	s_delay_alu instid0(VALU_DEP_3) | instskip(NEXT) | instid1(VALU_DEP_3)
	v_add_co_u32 v6, vcc_lo, s2, v6
	v_add_co_ci_u32_e32 v7, vcc_lo, s3, v7, vcc_lo
	.p2align	6
.LBB10_9:                               ; =>This Inner Loop Header: Depth=1
	global_load_b32 v9, v[6:7], off
	v_dual_max_f32 v3, v3, v3 :: v_dual_add_nc_u32 v10, 16, v10
	v_add_co_u32 v6, vcc_lo, v6, 64
	v_add_co_ci_u32_e32 v7, vcc_lo, 0, v7, vcc_lo
	s_delay_alu instid0(VALU_DEP_3)
	v_cmp_ge_i32_e32 vcc_lo, v10, v14
	s_or_b32 s11, vcc_lo, s11
	s_waitcnt vmcnt(0)
	v_max_f32_e64 v11, |v9|, |v9|
	ds_store_b32 v8, v9
	v_dual_max_f32 v3, v3, v11 :: v_dual_add_nc_u32 v8, 64, v8
	s_and_not1_b32 exec_lo, exec_lo, s11
	s_cbranch_execnz .LBB10_9
; %bb.10:
	s_or_b32 exec_lo, exec_lo, s11
.LBB10_11:
	s_delay_alu instid0(SALU_CYCLE_1)
	s_or_b32 exec_lo, exec_lo, s10
                                        ; implicit-def: $vgpr6_vgpr7
.LBB10_12:
	s_and_not1_saveexec_b32 s9, s9
	s_cbranch_execz .LBB10_18
; %bb.13:
	v_mov_b32_e32 v3, s5
	s_ashr_i32 s11, s8, 2
	s_mov_b32 s10, exec_lo
	v_cmpx_gt_i32_e64 s11, v12
	s_cbranch_execz .LBB10_17
; %bb.14:
	v_dual_mov_b32 v3, s5 :: v_dual_lshlrev_b32 v8, 4, v12
	v_lshlrev_b32_e32 v9, 2, v13
	s_delay_alu instid0(VALU_DEP_2) | instskip(SKIP_1) | instid1(VALU_DEP_3)
	v_add_co_u32 v6, vcc_lo, v6, v8
	v_add_co_ci_u32_e32 v7, vcc_lo, 0, v7, vcc_lo
	v_add3_u32 v8, v9, v8, 0
	s_delay_alu instid0(VALU_DEP_3) | instskip(NEXT) | instid1(VALU_DEP_3)
	v_add_co_u32 v6, vcc_lo, v6, s2
	v_add_co_ci_u32_e32 v7, vcc_lo, s3, v7, vcc_lo
	v_mov_b32_e32 v9, v12
	s_delay_alu instid0(VALU_DEP_3) | instskip(NEXT) | instid1(VALU_DEP_3)
	v_add_co_u32 v6, vcc_lo, v6, 8
	v_add_co_ci_u32_e32 v7, vcc_lo, 0, v7, vcc_lo
	s_mov_b32 s2, 0
	.p2align	6
.LBB10_15:                              ; =>This Inner Loop Header: Depth=1
	global_load_b128 v[14:17], v[6:7], off offset:-8
	v_add_nc_u32_e32 v9, 16, v9
	v_add_co_u32 v6, vcc_lo, 0x100, v6
	v_add_co_ci_u32_e32 v7, vcc_lo, 0, v7, vcc_lo
	s_delay_alu instid0(VALU_DEP_3)
	v_cmp_le_i32_e32 vcc_lo, s11, v9
	s_or_b32 s2, vcc_lo, s2
	s_waitcnt vmcnt(0)
	v_max3_f32 v3, v3, |v14|, |v15|
	ds_store_b128 v8, v[14:17]
	v_add_nc_u32_e32 v8, 0x100, v8
	v_max3_f32 v3, v3, |v16|, |v17|
	s_and_not1_b32 exec_lo, exec_lo, s2
	s_cbranch_execnz .LBB10_15
; %bb.16:
	s_or_b32 exec_lo, exec_lo, s2
.LBB10_17:
	s_delay_alu instid0(SALU_CYCLE_1)
	s_or_b32 exec_lo, exec_lo, s10
.LBB10_18:
	s_delay_alu instid0(SALU_CYCLE_1) | instskip(SKIP_3) | instid1(VALU_DEP_1)
	s_or_b32 exec_lo, exec_lo, s9
	v_mbcnt_lo_u32_b32 v6, -1, 0
	s_load_b64 s[2:3], s[0:1], 0x8
	s_mov_b32 s5, exec_lo
	v_xor_b32_e32 v8, 8, v6
	v_and_b32_e32 v7, 16, v6
	v_xor_b32_e32 v9, 4, v6
	s_delay_alu instid0(VALU_DEP_2) | instskip(NEXT) | instid1(VALU_DEP_1)
	v_add_nc_u32_e32 v7, 16, v7
	v_cmp_lt_i32_e32 vcc_lo, v8, v7
	v_cndmask_b32_e32 v8, v6, v8, vcc_lo
	s_delay_alu instid0(VALU_DEP_1) | instskip(SKIP_4) | instid1(VALU_DEP_2)
	v_lshlrev_b32_e32 v8, 2, v8
	ds_bpermute_b32 v8, v8, v3
	s_waitcnt lgkmcnt(0)
	v_dual_max_f32 v3, v3, v3 :: v_dual_max_f32 v8, v8, v8
	v_cmp_lt_i32_e32 vcc_lo, v9, v7
	v_max_f32_e32 v3, v3, v8
	v_cndmask_b32_e32 v9, v6, v9, vcc_lo
	s_delay_alu instid0(VALU_DEP_1) | instskip(SKIP_2) | instid1(VALU_DEP_1)
	v_lshlrev_b32_e32 v9, 2, v9
	ds_bpermute_b32 v8, v9, v3
	v_xor_b32_e32 v9, 2, v6
	v_cmp_lt_i32_e32 vcc_lo, v9, v7
	v_cndmask_b32_e32 v9, v6, v9, vcc_lo
	s_waitcnt lgkmcnt(0)
	s_delay_alu instid0(VALU_DEP_1) | instskip(NEXT) | instid1(VALU_DEP_1)
	v_dual_max_f32 v8, v8, v8 :: v_dual_lshlrev_b32 v9, 2, v9
	v_max_f32_e32 v3, v3, v8
	ds_bpermute_b32 v8, v9, v3
	v_xor_b32_e32 v9, 1, v6
	s_delay_alu instid0(VALU_DEP_1) | instskip(SKIP_2) | instid1(VALU_DEP_1)
	v_cmp_lt_i32_e32 vcc_lo, v9, v7
	v_cndmask_b32_e32 v6, v6, v9, vcc_lo
	s_waitcnt lgkmcnt(0)
	v_dual_max_f32 v7, v8, v8 :: v_dual_lshlrev_b32 v6, 2, v6
	s_delay_alu instid0(VALU_DEP_1) | instskip(SKIP_3) | instid1(VALU_DEP_1)
	v_max_f32_e32 v3, v3, v7
	ds_bpermute_b32 v6, v6, v3
	s_waitcnt lgkmcnt(0)
	v_max_f32_e32 v6, v6, v6
	v_max_f32_e32 v3, v3, v6
	s_delay_alu instid0(VALU_DEP_1) | instskip(SKIP_1) | instid1(VALU_DEP_2)
	v_div_scale_f32 v6, null, s7, s7, v3
	v_div_scale_f32 v9, vcc_lo, v3, s7, v3
	v_rcp_f32_e32 v7, v6
	s_waitcnt_depctr 0xfff
	v_fma_f32 v8, -v6, v7, 1.0
	s_delay_alu instid0(VALU_DEP_1) | instskip(NEXT) | instid1(VALU_DEP_1)
	v_fmac_f32_e32 v7, v8, v7
	v_mul_f32_e32 v8, v9, v7
	s_delay_alu instid0(VALU_DEP_1) | instskip(NEXT) | instid1(VALU_DEP_1)
	v_fma_f32 v10, -v6, v8, v9
	v_fmac_f32_e32 v8, v10, v7
	s_delay_alu instid0(VALU_DEP_1) | instskip(NEXT) | instid1(VALU_DEP_1)
	v_fma_f32 v6, -v6, v8, v9
	v_div_fmas_f32 v6, v6, v7, v8
	s_delay_alu instid0(VALU_DEP_1) | instskip(NEXT) | instid1(VALU_DEP_1)
	v_div_fixup_f32 v3, v6, s7, v3
	v_max_f32_e64 v3, 0x2edbe6ff, |v3|
	s_delay_alu instid0(VALU_DEP_1) | instskip(SKIP_1) | instid1(VALU_DEP_1)
	v_cmp_gt_f32_e32 vcc_lo, 0x800000, v3
	v_cndmask_b32_e64 v6, 1.0, 0x4f800000, vcc_lo
	v_mul_f32_e32 v3, v3, v6
	v_cndmask_b32_e64 v6, 0, 0x42000000, vcc_lo
	s_delay_alu instid0(VALU_DEP_2) | instskip(SKIP_2) | instid1(VALU_DEP_1)
	v_log_f32_e32 v3, v3
	s_waitcnt_depctr 0xfff
	v_sub_f32_e32 v3, v3, v6
	v_ceil_f32_e32 v3, v3
	s_delay_alu instid0(VALU_DEP_1) | instskip(SKIP_1) | instid1(VALU_DEP_1)
	v_cmp_gt_f32_e32 vcc_lo, 0xc2fc0000, v3
	v_cndmask_b32_e64 v6, 0, 0x42800000, vcc_lo
	v_add_f32_e32 v3, v3, v6
	v_cndmask_b32_e64 v6, 1.0, 0x1f800000, vcc_lo
	s_delay_alu instid0(VALU_DEP_2)
	v_exp_f32_e32 v3, v3
	s_waitcnt_depctr 0xfff
	v_mul_f32_e32 v8, v3, v6
	v_cmpx_eq_u32_e32 0, v12
	s_cbranch_execz .LBB10_20
; %bb.19:
	s_load_b64 s[0:1], s[0:1], 0x10
	v_lshlrev_b64 v[1:2], 2, v[1:2]
	s_waitcnt lgkmcnt(0)
	s_delay_alu instid0(VALU_DEP_1) | instskip(NEXT) | instid1(VALU_DEP_2)
	v_add_co_u32 v1, vcc_lo, s0, v1
	v_add_co_ci_u32_e32 v2, vcc_lo, s1, v2, vcc_lo
	global_store_b32 v[1:2], v8, off
.LBB10_20:
	s_or_b32 exec_lo, exec_lo, s5
	v_dual_mov_b32 v2, 0 :: v_dual_and_b32 v1, 15, v0
	s_xor_b32 s0, s4, -1
	s_waitcnt_vscnt null, 0x0
	s_barrier
	buffer_gl0_inv
	v_cmp_ne_u64_e32 vcc_lo, 0, v[1:2]
	s_or_b32 s0, s0, vcc_lo
	s_delay_alu instid0(SALU_CYCLE_1) | instskip(NEXT) | instid1(SALU_CYCLE_1)
	s_and_saveexec_b32 s1, s0
	s_xor_b32 s1, exec_lo, s1
	s_cbranch_execz .LBB10_76
; %bb.21:
	v_sub_nc_u32_e32 v1, 0, v0
	s_mov_b32 s0, exec_lo
	s_delay_alu instid0(VALU_DEP_1) | instskip(NEXT) | instid1(VALU_DEP_1)
	v_bfe_u32 v1, v1, 2, 2
	v_min_i32_e32 v10, s8, v1
	s_delay_alu instid0(VALU_DEP_1)
	v_cmpx_gt_i32_e64 v10, v12
	s_cbranch_execz .LBB10_29
; %bb.22:
	v_lshl_add_u32 v0, v12, 2, v0
	s_mov_b32 s4, exec_lo
	ds_load_b32 v0, v0
	s_waitcnt lgkmcnt(0)
	v_div_scale_f32 v1, null, v8, v8, v0
	v_div_scale_f32 v6, vcc_lo, v0, v8, v0
	s_delay_alu instid0(VALU_DEP_2) | instskip(SKIP_2) | instid1(VALU_DEP_1)
	v_rcp_f32_e32 v2, v1
	s_waitcnt_depctr 0xfff
	v_fma_f32 v3, -v1, v2, 1.0
	v_fmac_f32_e32 v2, v3, v2
	s_delay_alu instid0(VALU_DEP_1) | instskip(NEXT) | instid1(VALU_DEP_1)
	v_mul_f32_e32 v3, v6, v2
	v_fma_f32 v7, -v1, v3, v6
	s_delay_alu instid0(VALU_DEP_1) | instskip(NEXT) | instid1(VALU_DEP_1)
	v_fmac_f32_e32 v3, v7, v2
	v_fma_f32 v1, -v1, v3, v6
	s_delay_alu instid0(VALU_DEP_1) | instskip(SKIP_2) | instid1(VALU_DEP_3)
	v_div_fmas_f32 v1, v1, v2, v3
	v_max_f32_e64 v2, s6, s6
	v_max_f32_e64 v3, s7, s7
	v_div_fixup_f32 v0, v1, v8, v0
	s_delay_alu instid0(VALU_DEP_1) | instskip(SKIP_1) | instid1(VALU_DEP_2)
	v_maxmin_f32 v0, v0, v2, v3
	v_mov_b32_e32 v2, 0x80
	v_and_b32_e32 v1, 0x7fffffff, v0
	s_delay_alu instid0(VALU_DEP_1)
	v_cmpx_gt_u32_e32 0x43800000, v1
	s_cbranch_execz .LBB10_28
; %bb.23:
	v_cmp_lt_u32_e32 vcc_lo, 0x3bffffff, v1
	s_mov_b32 s5, 0
                                        ; implicit-def: $vgpr1
	s_and_saveexec_b32 s9, vcc_lo
	s_delay_alu instid0(SALU_CYCLE_1)
	s_xor_b32 s9, exec_lo, s9
	s_cbranch_execnz .LBB10_113
; %bb.24:
	s_or_saveexec_b32 s9, s9
                                        ; implicit-def: $sgpr10
	s_delay_alu instid0(SALU_CYCLE_1)
	s_xor_b32 exec_lo, exec_lo, s9
	s_cbranch_execnz .LBB10_114
.LBB10_25:
	s_or_b32 exec_lo, exec_lo, s9
	v_mov_b32_e32 v2, s10
	s_and_saveexec_b32 s9, s5
.LBB10_26:
	v_lshrrev_b32_e32 v0, 24, v0
	s_delay_alu instid0(VALU_DEP_1)
	v_and_or_b32 v2, 0x80, v0, v1
.LBB10_27:
	s_or_b32 exec_lo, exec_lo, s9
.LBB10_28:
	s_delay_alu instid0(SALU_CYCLE_1) | instskip(SKIP_2) | instid1(VALU_DEP_2)
	s_or_b32 exec_lo, exec_lo, s4
	v_add_co_u32 v0, vcc_lo, s2, v4
	v_add_co_ci_u32_e32 v1, vcc_lo, s3, v5, vcc_lo
	v_add_co_u32 v0, vcc_lo, v0, v12
	s_delay_alu instid0(VALU_DEP_2)
	v_add_co_ci_u32_e32 v1, vcc_lo, 0, v1, vcc_lo
	global_store_b8 v[0:1], v2, off
.LBB10_29:
	s_or_b32 exec_lo, exec_lo, s0
	v_sub_nc_u32_e32 v9, s8, v10
	v_ashrrev_i32_e32 v11, 31, v10
	v_lshlrev_b32_e32 v15, 2, v10
	s_mov_b32 s4, exec_lo
	s_delay_alu instid0(VALU_DEP_3) | instskip(NEXT) | instid1(VALU_DEP_1)
	v_ashrrev_i32_e32 v0, 31, v9
	v_lshrrev_b32_e32 v0, 30, v0
	s_delay_alu instid0(VALU_DEP_1) | instskip(NEXT) | instid1(VALU_DEP_1)
	v_add_nc_u32_e32 v0, v9, v0
	v_ashrrev_i32_e32 v14, 2, v0
	s_delay_alu instid0(VALU_DEP_1)
	v_cmpx_gt_i32_e64 v14, v12
	s_cbranch_execz .LBB10_64
; %bb.30:
	v_lshlrev_b32_e32 v1, 2, v12
	v_add_co_u32 v2, vcc_lo, v10, v4
	v_dual_mov_b32 v19, v12 :: v_dual_lshlrev_b32 v0, 4, v12
	v_add_co_ci_u32_e32 v3, vcc_lo, v11, v5, vcc_lo
	s_delay_alu instid0(VALU_DEP_3) | instskip(NEXT) | instid1(VALU_DEP_3)
	v_add_co_u32 v1, vcc_lo, v2, v1
	v_lshl_add_u32 v0, v13, 2, v0
	s_delay_alu instid0(VALU_DEP_3) | instskip(NEXT) | instid1(VALU_DEP_3)
	v_add_co_ci_u32_e32 v2, vcc_lo, 0, v3, vcc_lo
	v_add_co_u32 v6, vcc_lo, s2, v1
	s_delay_alu instid0(VALU_DEP_3) | instskip(NEXT) | instid1(VALU_DEP_3)
	v_add3_u32 v16, v0, v15, 0
	v_add_co_ci_u32_e32 v7, vcc_lo, s3, v2, vcc_lo
	v_max_f32_e64 v17, s6, s6
	v_max_f32_e64 v18, s7, s7
	s_mov_b32 s5, 0
	s_branch .LBB10_33
.LBB10_31:                              ;   in Loop: Header=BB10_33 Depth=1
	s_or_b32 exec_lo, exec_lo, s10
.LBB10_32:                              ;   in Loop: Header=BB10_33 Depth=1
	s_delay_alu instid0(SALU_CYCLE_1)
	s_or_b32 exec_lo, exec_lo, s0
	v_lshlrev_b32_e32 v2, 16, v2
	v_lshlrev_b32_e32 v0, 8, v0
	v_and_b32_e32 v3, 0xff, v20
	v_add_nc_u32_e32 v19, 16, v19
	v_add_nc_u32_e32 v16, 0x100, v16
	v_perm_b32 v1, v1, v2, 0x4020c0c
	v_and_b32_e32 v0, 0xff00, v0
	s_delay_alu instid0(VALU_DEP_4) | instskip(NEXT) | instid1(VALU_DEP_2)
	v_cmp_ge_i32_e32 vcc_lo, v19, v14
	v_or3_b32 v0, v1, v0, v3
	s_or_b32 s5, vcc_lo, s5
	global_store_b32 v[6:7], v0, off
	v_add_co_u32 v6, s0, v6, 64
	s_delay_alu instid0(VALU_DEP_1)
	v_add_co_ci_u32_e64 v7, s0, 0, v7, s0
	s_and_not1_b32 exec_lo, exec_lo, s5
	s_cbranch_execz .LBB10_64
.LBB10_33:                              ; =>This Inner Loop Header: Depth=1
	ds_load_b128 v[0:3], v16
	s_mov_b32 s0, exec_lo
	s_waitcnt lgkmcnt(0)
	v_div_scale_f32 v20, null, v8, v8, v0
	v_div_scale_f32 v23, vcc_lo, v0, v8, v0
	s_delay_alu instid0(VALU_DEP_2) | instskip(SKIP_2) | instid1(VALU_DEP_1)
	v_rcp_f32_e32 v21, v20
	s_waitcnt_depctr 0xfff
	v_fma_f32 v22, -v20, v21, 1.0
	v_fmac_f32_e32 v21, v22, v21
	s_delay_alu instid0(VALU_DEP_1) | instskip(NEXT) | instid1(VALU_DEP_1)
	v_mul_f32_e32 v22, v23, v21
	v_fma_f32 v24, -v20, v22, v23
	s_delay_alu instid0(VALU_DEP_1) | instskip(NEXT) | instid1(VALU_DEP_1)
	v_fmac_f32_e32 v22, v24, v21
	v_fma_f32 v20, -v20, v22, v23
	s_delay_alu instid0(VALU_DEP_1) | instskip(NEXT) | instid1(VALU_DEP_1)
	v_div_fmas_f32 v20, v20, v21, v22
	v_div_fixup_f32 v0, v20, v8, v0
	v_mov_b32_e32 v20, 0x80
	s_delay_alu instid0(VALU_DEP_2) | instskip(SKIP_1) | instid1(VALU_DEP_2)
	v_maxmin_f32 v21, v0, v17, v18
	v_mov_b32_e32 v0, 0x80
	v_and_b32_e32 v22, 0x7fffffff, v21
	s_delay_alu instid0(VALU_DEP_1)
	v_cmpx_gt_u32_e32 0x43800000, v22
	s_cbranch_execz .LBB10_39
; %bb.34:                               ;   in Loop: Header=BB10_33 Depth=1
	v_cmp_lt_u32_e32 vcc_lo, 0x3bffffff, v22
	s_mov_b32 s9, 0
                                        ; implicit-def: $vgpr22
	s_and_saveexec_b32 s10, vcc_lo
	s_delay_alu instid0(SALU_CYCLE_1)
	s_xor_b32 s10, exec_lo, s10
	s_cbranch_execnz .LBB10_55
; %bb.35:                               ;   in Loop: Header=BB10_33 Depth=1
	s_or_saveexec_b32 s10, s10
                                        ; implicit-def: $sgpr11
	s_delay_alu instid0(SALU_CYCLE_1)
	s_xor_b32 exec_lo, exec_lo, s10
	s_cbranch_execnz .LBB10_56
.LBB10_36:                              ;   in Loop: Header=BB10_33 Depth=1
	s_or_b32 exec_lo, exec_lo, s10
	v_mov_b32_e32 v20, s11
	s_and_saveexec_b32 s10, s9
.LBB10_37:                              ;   in Loop: Header=BB10_33 Depth=1
	v_lshrrev_b32_e32 v20, 24, v21
	s_delay_alu instid0(VALU_DEP_1)
	v_and_or_b32 v20, 0x80, v20, v22
.LBB10_38:                              ;   in Loop: Header=BB10_33 Depth=1
	s_or_b32 exec_lo, exec_lo, s10
.LBB10_39:                              ;   in Loop: Header=BB10_33 Depth=1
	s_delay_alu instid0(SALU_CYCLE_1) | instskip(SKIP_2) | instid1(VALU_DEP_1)
	s_or_b32 exec_lo, exec_lo, s0
	v_div_scale_f32 v21, null, v8, v8, v1
	s_mov_b32 s0, exec_lo
	v_rcp_f32_e32 v22, v21
	s_waitcnt_depctr 0xfff
	v_fma_f32 v23, -v21, v22, 1.0
	s_delay_alu instid0(VALU_DEP_1) | instskip(SKIP_1) | instid1(VALU_DEP_1)
	v_fmac_f32_e32 v22, v23, v22
	v_div_scale_f32 v23, vcc_lo, v1, v8, v1
	v_mul_f32_e32 v24, v23, v22
	s_delay_alu instid0(VALU_DEP_1) | instskip(NEXT) | instid1(VALU_DEP_1)
	v_fma_f32 v25, -v21, v24, v23
	v_fmac_f32_e32 v24, v25, v22
	s_delay_alu instid0(VALU_DEP_1) | instskip(NEXT) | instid1(VALU_DEP_1)
	v_fma_f32 v21, -v21, v24, v23
	v_div_fmas_f32 v21, v21, v22, v24
	s_delay_alu instid0(VALU_DEP_1) | instskip(NEXT) | instid1(VALU_DEP_1)
	v_div_fixup_f32 v1, v21, v8, v1
	v_maxmin_f32 v1, v1, v17, v18
	s_delay_alu instid0(VALU_DEP_1) | instskip(NEXT) | instid1(VALU_DEP_1)
	v_and_b32_e32 v21, 0x7fffffff, v1
	v_cmpx_gt_u32_e32 0x43800000, v21
	s_cbranch_execz .LBB10_45
; %bb.40:                               ;   in Loop: Header=BB10_33 Depth=1
	v_cmp_lt_u32_e32 vcc_lo, 0x3bffffff, v21
	s_mov_b32 s9, 0
                                        ; implicit-def: $vgpr21
	s_and_saveexec_b32 s10, vcc_lo
	s_delay_alu instid0(SALU_CYCLE_1)
	s_xor_b32 s10, exec_lo, s10
	s_cbranch_execnz .LBB10_57
; %bb.41:                               ;   in Loop: Header=BB10_33 Depth=1
	s_or_saveexec_b32 s10, s10
                                        ; implicit-def: $sgpr11
	s_delay_alu instid0(SALU_CYCLE_1)
	s_xor_b32 exec_lo, exec_lo, s10
	s_cbranch_execnz .LBB10_58
.LBB10_42:                              ;   in Loop: Header=BB10_33 Depth=1
	s_or_b32 exec_lo, exec_lo, s10
	v_mov_b32_e32 v0, s11
	s_and_saveexec_b32 s10, s9
.LBB10_43:                              ;   in Loop: Header=BB10_33 Depth=1
	v_lshrrev_b32_e32 v0, 24, v1
	s_delay_alu instid0(VALU_DEP_1)
	v_and_or_b32 v0, 0x80, v0, v21
.LBB10_44:                              ;   in Loop: Header=BB10_33 Depth=1
	s_or_b32 exec_lo, exec_lo, s10
.LBB10_45:                              ;   in Loop: Header=BB10_33 Depth=1
	s_delay_alu instid0(SALU_CYCLE_1) | instskip(SKIP_3) | instid1(VALU_DEP_2)
	s_or_b32 exec_lo, exec_lo, s0
	v_div_scale_f32 v1, null, v8, v8, v2
	v_div_scale_f32 v23, vcc_lo, v2, v8, v2
	s_mov_b32 s0, exec_lo
	v_rcp_f32_e32 v21, v1
	s_waitcnt_depctr 0xfff
	v_fma_f32 v22, -v1, v21, 1.0
	s_delay_alu instid0(VALU_DEP_1) | instskip(NEXT) | instid1(VALU_DEP_1)
	v_fmac_f32_e32 v21, v22, v21
	v_mul_f32_e32 v22, v23, v21
	s_delay_alu instid0(VALU_DEP_1) | instskip(NEXT) | instid1(VALU_DEP_1)
	v_fma_f32 v24, -v1, v22, v23
	v_fmac_f32_e32 v22, v24, v21
	s_delay_alu instid0(VALU_DEP_1) | instskip(NEXT) | instid1(VALU_DEP_1)
	v_fma_f32 v1, -v1, v22, v23
	v_div_fmas_f32 v1, v1, v21, v22
	s_delay_alu instid0(VALU_DEP_1) | instskip(SKIP_1) | instid1(VALU_DEP_2)
	v_div_fixup_f32 v1, v1, v8, v2
	v_mov_b32_e32 v2, 0x80
	v_maxmin_f32 v21, v1, v17, v18
	v_mov_b32_e32 v1, 0x80
	s_delay_alu instid0(VALU_DEP_2) | instskip(NEXT) | instid1(VALU_DEP_1)
	v_and_b32_e32 v22, 0x7fffffff, v21
	v_cmpx_gt_u32_e32 0x43800000, v22
	s_cbranch_execz .LBB10_51
; %bb.46:                               ;   in Loop: Header=BB10_33 Depth=1
	v_cmp_lt_u32_e32 vcc_lo, 0x3bffffff, v22
	s_mov_b32 s9, 0
                                        ; implicit-def: $vgpr22
	s_and_saveexec_b32 s10, vcc_lo
	s_delay_alu instid0(SALU_CYCLE_1)
	s_xor_b32 s10, exec_lo, s10
	s_cbranch_execnz .LBB10_59
; %bb.47:                               ;   in Loop: Header=BB10_33 Depth=1
	s_or_saveexec_b32 s10, s10
                                        ; implicit-def: $sgpr11
	s_delay_alu instid0(SALU_CYCLE_1)
	s_xor_b32 exec_lo, exec_lo, s10
	s_cbranch_execnz .LBB10_60
.LBB10_48:                              ;   in Loop: Header=BB10_33 Depth=1
	s_or_b32 exec_lo, exec_lo, s10
	v_mov_b32_e32 v2, s11
	s_and_saveexec_b32 s10, s9
.LBB10_49:                              ;   in Loop: Header=BB10_33 Depth=1
	v_lshrrev_b32_e32 v2, 24, v21
	s_delay_alu instid0(VALU_DEP_1)
	v_and_or_b32 v2, 0x80, v2, v22
.LBB10_50:                              ;   in Loop: Header=BB10_33 Depth=1
	s_or_b32 exec_lo, exec_lo, s10
.LBB10_51:                              ;   in Loop: Header=BB10_33 Depth=1
	s_delay_alu instid0(SALU_CYCLE_1) | instskip(SKIP_2) | instid1(VALU_DEP_1)
	s_or_b32 exec_lo, exec_lo, s0
	v_div_scale_f32 v21, null, v8, v8, v3
	s_mov_b32 s0, exec_lo
	v_rcp_f32_e32 v22, v21
	s_waitcnt_depctr 0xfff
	v_fma_f32 v23, -v21, v22, 1.0
	s_delay_alu instid0(VALU_DEP_1) | instskip(SKIP_1) | instid1(VALU_DEP_1)
	v_fmac_f32_e32 v22, v23, v22
	v_div_scale_f32 v23, vcc_lo, v3, v8, v3
	v_mul_f32_e32 v24, v23, v22
	s_delay_alu instid0(VALU_DEP_1) | instskip(NEXT) | instid1(VALU_DEP_1)
	v_fma_f32 v25, -v21, v24, v23
	v_fmac_f32_e32 v24, v25, v22
	s_delay_alu instid0(VALU_DEP_1) | instskip(NEXT) | instid1(VALU_DEP_1)
	v_fma_f32 v21, -v21, v24, v23
	v_div_fmas_f32 v21, v21, v22, v24
	s_delay_alu instid0(VALU_DEP_1) | instskip(NEXT) | instid1(VALU_DEP_1)
	v_div_fixup_f32 v3, v21, v8, v3
	v_maxmin_f32 v3, v3, v17, v18
	s_delay_alu instid0(VALU_DEP_1) | instskip(NEXT) | instid1(VALU_DEP_1)
	v_and_b32_e32 v21, 0x7fffffff, v3
	v_cmpx_gt_u32_e32 0x43800000, v21
	s_cbranch_execz .LBB10_32
; %bb.52:                               ;   in Loop: Header=BB10_33 Depth=1
	v_cmp_lt_u32_e32 vcc_lo, 0x3bffffff, v21
	s_mov_b32 s9, 0
                                        ; implicit-def: $vgpr21
	s_and_saveexec_b32 s10, vcc_lo
	s_delay_alu instid0(SALU_CYCLE_1)
	s_xor_b32 s10, exec_lo, s10
	s_cbranch_execnz .LBB10_61
; %bb.53:                               ;   in Loop: Header=BB10_33 Depth=1
	s_or_saveexec_b32 s10, s10
                                        ; implicit-def: $sgpr11
	s_delay_alu instid0(SALU_CYCLE_1)
	s_xor_b32 exec_lo, exec_lo, s10
	s_cbranch_execnz .LBB10_62
.LBB10_54:                              ;   in Loop: Header=BB10_33 Depth=1
	s_or_b32 exec_lo, exec_lo, s10
	v_mov_b32_e32 v1, s11
	s_and_saveexec_b32 s10, s9
	s_cbranch_execz .LBB10_31
	s_branch .LBB10_63
.LBB10_55:                              ;   in Loop: Header=BB10_33 Depth=1
	v_bfe_u32 v20, v21, 20, 1
	s_mov_b32 s9, exec_lo
	s_delay_alu instid0(VALU_DEP_1) | instskip(NEXT) | instid1(VALU_DEP_1)
	v_add3_u32 v20, v21, v20, 0x487ffff
	v_lshrrev_b32_e32 v22, 20, v20
	s_or_saveexec_b32 s10, s10
                                        ; implicit-def: $sgpr11
	s_delay_alu instid0(SALU_CYCLE_1)
	s_xor_b32 exec_lo, exec_lo, s10
	s_cbranch_execz .LBB10_36
.LBB10_56:                              ;   in Loop: Header=BB10_33 Depth=1
	v_add_f32_e64 v20, 0x46000000, |v21|
	s_and_not1_b32 s9, s9, exec_lo
	s_mov_b32 s11, 0
	s_delay_alu instid0(VALU_DEP_1) | instskip(NEXT) | instid1(VALU_DEP_1)
	v_and_b32_e32 v22, 0xff, v20
	v_cmp_ne_u32_e32 vcc_lo, 0, v22
	s_and_b32 s12, vcc_lo, exec_lo
	s_delay_alu instid0(SALU_CYCLE_1)
	s_or_b32 s9, s9, s12
	s_or_b32 exec_lo, exec_lo, s10
	v_mov_b32_e32 v20, s11
	s_and_saveexec_b32 s10, s9
	s_cbranch_execnz .LBB10_37
	s_branch .LBB10_38
.LBB10_57:                              ;   in Loop: Header=BB10_33 Depth=1
	v_bfe_u32 v0, v1, 20, 1
	s_mov_b32 s9, exec_lo
	s_delay_alu instid0(VALU_DEP_1) | instskip(NEXT) | instid1(VALU_DEP_1)
	v_add3_u32 v0, v1, v0, 0x487ffff
	v_lshrrev_b32_e32 v21, 20, v0
	s_or_saveexec_b32 s10, s10
                                        ; implicit-def: $sgpr11
	s_delay_alu instid0(SALU_CYCLE_1)
	s_xor_b32 exec_lo, exec_lo, s10
	s_cbranch_execz .LBB10_42
.LBB10_58:                              ;   in Loop: Header=BB10_33 Depth=1
	v_add_f32_e64 v0, 0x46000000, |v1|
	s_and_not1_b32 s9, s9, exec_lo
	s_mov_b32 s11, 0
	s_delay_alu instid0(VALU_DEP_1) | instskip(NEXT) | instid1(VALU_DEP_1)
	v_and_b32_e32 v21, 0xff, v0
	v_cmp_ne_u32_e32 vcc_lo, 0, v21
	s_and_b32 s12, vcc_lo, exec_lo
	s_delay_alu instid0(SALU_CYCLE_1)
	s_or_b32 s9, s9, s12
	s_or_b32 exec_lo, exec_lo, s10
	v_mov_b32_e32 v0, s11
	s_and_saveexec_b32 s10, s9
	s_cbranch_execnz .LBB10_43
	s_branch .LBB10_44
.LBB10_59:                              ;   in Loop: Header=BB10_33 Depth=1
	v_bfe_u32 v2, v21, 20, 1
	s_mov_b32 s9, exec_lo
	s_delay_alu instid0(VALU_DEP_1) | instskip(NEXT) | instid1(VALU_DEP_1)
	v_add3_u32 v2, v21, v2, 0x487ffff
	v_lshrrev_b32_e32 v22, 20, v2
	s_or_saveexec_b32 s10, s10
                                        ; implicit-def: $sgpr11
	s_delay_alu instid0(SALU_CYCLE_1)
	s_xor_b32 exec_lo, exec_lo, s10
	s_cbranch_execz .LBB10_48
.LBB10_60:                              ;   in Loop: Header=BB10_33 Depth=1
	v_add_f32_e64 v2, 0x46000000, |v21|
	s_and_not1_b32 s9, s9, exec_lo
	s_mov_b32 s11, 0
	s_delay_alu instid0(VALU_DEP_1) | instskip(NEXT) | instid1(VALU_DEP_1)
	v_and_b32_e32 v22, 0xff, v2
	v_cmp_ne_u32_e32 vcc_lo, 0, v22
	s_and_b32 s12, vcc_lo, exec_lo
	s_delay_alu instid0(SALU_CYCLE_1)
	s_or_b32 s9, s9, s12
	s_or_b32 exec_lo, exec_lo, s10
	v_mov_b32_e32 v2, s11
	s_and_saveexec_b32 s10, s9
	s_cbranch_execnz .LBB10_49
	s_branch .LBB10_50
.LBB10_61:                              ;   in Loop: Header=BB10_33 Depth=1
	v_bfe_u32 v1, v3, 20, 1
	s_mov_b32 s9, exec_lo
	s_delay_alu instid0(VALU_DEP_1) | instskip(NEXT) | instid1(VALU_DEP_1)
	v_add3_u32 v1, v3, v1, 0x487ffff
	v_lshrrev_b32_e32 v21, 20, v1
	s_or_saveexec_b32 s10, s10
                                        ; implicit-def: $sgpr11
	s_delay_alu instid0(SALU_CYCLE_1)
	s_xor_b32 exec_lo, exec_lo, s10
	s_cbranch_execz .LBB10_54
.LBB10_62:                              ;   in Loop: Header=BB10_33 Depth=1
	v_add_f32_e64 v1, 0x46000000, |v3|
	s_and_not1_b32 s9, s9, exec_lo
	s_mov_b32 s11, 0
	s_delay_alu instid0(VALU_DEP_1) | instskip(NEXT) | instid1(VALU_DEP_1)
	v_and_b32_e32 v21, 0xff, v1
	v_cmp_ne_u32_e32 vcc_lo, 0, v21
	s_and_b32 s12, vcc_lo, exec_lo
	s_delay_alu instid0(SALU_CYCLE_1)
	s_or_b32 s9, s9, s12
	s_or_b32 exec_lo, exec_lo, s10
	v_mov_b32_e32 v1, s11
	s_and_saveexec_b32 s10, s9
	s_cbranch_execz .LBB10_31
.LBB10_63:                              ;   in Loop: Header=BB10_33 Depth=1
	v_lshrrev_b32_e32 v1, 24, v3
	s_delay_alu instid0(VALU_DEP_1)
	v_and_or_b32 v1, 0x80, v1, v21
	s_branch .LBB10_31
.LBB10_64:
	s_or_b32 exec_lo, exec_lo, s4
	v_lshl_add_u32 v2, v14, 2, v12
	s_mov_b32 s4, exec_lo
	s_delay_alu instid0(VALU_DEP_1)
	v_cmpx_lt_i32_e64 v2, v9
	s_cbranch_execz .LBB10_75
; %bb.65:
	v_lshlrev_b32_e32 v0, 2, v13
	v_lshlrev_b32_e32 v1, 4, v14
	s_mov_b32 s5, 0
	s_delay_alu instid0(VALU_DEP_1) | instskip(SKIP_4) | instid1(VALU_DEP_4)
	v_add3_u32 v0, v0, v1, v15
	v_add_co_u32 v1, vcc_lo, v10, v4
	v_add_co_ci_u32_e32 v3, vcc_lo, v11, v5, vcc_lo
	v_ashrrev_i32_e32 v4, 31, v2
	v_lshlrev_b32_e32 v5, 2, v12
	v_add_co_u32 v1, vcc_lo, v1, v2
	s_delay_alu instid0(VALU_DEP_3) | instskip(NEXT) | instid1(VALU_DEP_3)
	v_add_co_ci_u32_e32 v4, vcc_lo, v3, v4, vcc_lo
	v_add3_u32 v3, v0, v5, 0
	s_delay_alu instid0(VALU_DEP_3) | instskip(NEXT) | instid1(VALU_DEP_3)
	v_add_co_u32 v0, vcc_lo, s2, v1
	v_add_co_ci_u32_e32 v1, vcc_lo, s3, v4, vcc_lo
	v_max_f32_e64 v4, s6, s6
	v_max_f32_e64 v5, s7, s7
	s_branch .LBB10_68
.LBB10_66:                              ;   in Loop: Header=BB10_68 Depth=1
	s_or_b32 exec_lo, exec_lo, s10
.LBB10_67:                              ;   in Loop: Header=BB10_68 Depth=1
	s_delay_alu instid0(SALU_CYCLE_1)
	s_or_b32 exec_lo, exec_lo, s0
	v_add_nc_u32_e32 v2, 16, v2
	global_store_b8 v[0:1], v10, off
	v_add_co_u32 v0, s0, v0, 16
	v_add_nc_u32_e32 v3, 64, v3
	v_cmp_ge_i32_e32 vcc_lo, v2, v9
	v_add_co_ci_u32_e64 v1, s0, 0, v1, s0
	s_or_b32 s5, vcc_lo, s5
	s_delay_alu instid0(SALU_CYCLE_1)
	s_and_not1_b32 exec_lo, exec_lo, s5
	s_cbranch_execz .LBB10_75
.LBB10_68:                              ; =>This Inner Loop Header: Depth=1
	ds_load_b32 v6, v3
	s_mov_b32 s0, exec_lo
	s_waitcnt lgkmcnt(0)
	v_div_scale_f32 v7, null, v8, v8, v6
	v_div_scale_f32 v12, vcc_lo, v6, v8, v6
	s_delay_alu instid0(VALU_DEP_2) | instskip(SKIP_2) | instid1(VALU_DEP_1)
	v_rcp_f32_e32 v10, v7
	s_waitcnt_depctr 0xfff
	v_fma_f32 v11, -v7, v10, 1.0
	v_fmac_f32_e32 v10, v11, v10
	s_delay_alu instid0(VALU_DEP_1) | instskip(NEXT) | instid1(VALU_DEP_1)
	v_mul_f32_e32 v11, v12, v10
	v_fma_f32 v13, -v7, v11, v12
	s_delay_alu instid0(VALU_DEP_1) | instskip(NEXT) | instid1(VALU_DEP_1)
	v_fmac_f32_e32 v11, v13, v10
	v_fma_f32 v7, -v7, v11, v12
	s_delay_alu instid0(VALU_DEP_1) | instskip(SKIP_1) | instid1(VALU_DEP_2)
	v_div_fmas_f32 v7, v7, v10, v11
	v_mov_b32_e32 v10, 0x80
	v_div_fixup_f32 v6, v7, v8, v6
	s_delay_alu instid0(VALU_DEP_1) | instskip(NEXT) | instid1(VALU_DEP_1)
	v_maxmin_f32 v6, v6, v4, v5
	v_and_b32_e32 v7, 0x7fffffff, v6
	s_delay_alu instid0(VALU_DEP_1)
	v_cmpx_gt_u32_e32 0x43800000, v7
	s_cbranch_execz .LBB10_67
; %bb.69:                               ;   in Loop: Header=BB10_68 Depth=1
	v_cmp_lt_u32_e32 vcc_lo, 0x3bffffff, v7
	s_mov_b32 s9, 0
                                        ; implicit-def: $vgpr7
	s_and_saveexec_b32 s10, vcc_lo
	s_delay_alu instid0(SALU_CYCLE_1)
	s_xor_b32 s10, exec_lo, s10
	s_cbranch_execnz .LBB10_72
; %bb.70:                               ;   in Loop: Header=BB10_68 Depth=1
	s_or_saveexec_b32 s10, s10
                                        ; implicit-def: $sgpr11
	s_delay_alu instid0(SALU_CYCLE_1)
	s_xor_b32 exec_lo, exec_lo, s10
	s_cbranch_execnz .LBB10_73
.LBB10_71:                              ;   in Loop: Header=BB10_68 Depth=1
	s_or_b32 exec_lo, exec_lo, s10
	v_mov_b32_e32 v10, s11
	s_and_saveexec_b32 s10, s9
	s_cbranch_execz .LBB10_66
	s_branch .LBB10_74
.LBB10_72:                              ;   in Loop: Header=BB10_68 Depth=1
	v_bfe_u32 v7, v6, 20, 1
	s_mov_b32 s9, exec_lo
	s_delay_alu instid0(VALU_DEP_1) | instskip(NEXT) | instid1(VALU_DEP_1)
	v_add3_u32 v7, v6, v7, 0x487ffff
	v_lshrrev_b32_e32 v7, 20, v7
	s_or_saveexec_b32 s10, s10
                                        ; implicit-def: $sgpr11
	s_delay_alu instid0(SALU_CYCLE_1)
	s_xor_b32 exec_lo, exec_lo, s10
	s_cbranch_execz .LBB10_71
.LBB10_73:                              ;   in Loop: Header=BB10_68 Depth=1
	v_add_f32_e64 v7, 0x46000000, |v6|
	s_and_not1_b32 s9, s9, exec_lo
	s_mov_b32 s11, 0
	s_delay_alu instid0(VALU_DEP_1) | instskip(NEXT) | instid1(VALU_DEP_1)
	v_and_b32_e32 v7, 0xff, v7
	v_cmp_ne_u32_e32 vcc_lo, 0, v7
	s_and_b32 s12, vcc_lo, exec_lo
	s_delay_alu instid0(SALU_CYCLE_1)
	s_or_b32 s9, s9, s12
	s_or_b32 exec_lo, exec_lo, s10
	v_mov_b32_e32 v10, s11
	s_and_saveexec_b32 s10, s9
	s_cbranch_execz .LBB10_66
.LBB10_74:                              ;   in Loop: Header=BB10_68 Depth=1
	v_lshrrev_b32_e32 v6, 24, v6
	s_delay_alu instid0(VALU_DEP_1)
	v_and_or_b32 v10, 0x80, v6, v7
	s_branch .LBB10_66
.LBB10_75:
	s_or_b32 exec_lo, exec_lo, s4
                                        ; implicit-def: $vgpr12
                                        ; implicit-def: $vgpr8
                                        ; implicit-def: $vgpr13
                                        ; implicit-def: $vgpr4_vgpr5
.LBB10_76:
	s_and_not1_saveexec_b32 s0, s1
	s_cbranch_execz .LBB10_112
; %bb.77:
	s_ashr_i32 s1, s8, 2
	s_mov_b32 s0, exec_lo
	v_cmpx_gt_i32_e64 s1, v12
	s_cbranch_execz .LBB10_112
; %bb.78:
	v_lshlrev_b32_e32 v0, 2, v12
	v_lshlrev_b32_e32 v1, 2, v13
	;; [unrolled: 1-line block ×3, first 2 shown]
	v_max_f32_e64 v7, s6, s6
	v_max_f32_e64 v9, s7, s7
	v_add_co_u32 v0, vcc_lo, v4, v0
	v_add_co_ci_u32_e32 v3, vcc_lo, 0, v5, vcc_lo
	v_add3_u32 v6, v1, v2, 0
	s_delay_alu instid0(VALU_DEP_3) | instskip(NEXT) | instid1(VALU_DEP_3)
	v_add_co_u32 v4, vcc_lo, s2, v0
	v_add_co_ci_u32_e32 v5, vcc_lo, s3, v3, vcc_lo
	s_mov_b32 s2, 0
	s_branch .LBB10_81
.LBB10_79:                              ;   in Loop: Header=BB10_81 Depth=1
	s_or_b32 exec_lo, exec_lo, s4
.LBB10_80:                              ;   in Loop: Header=BB10_81 Depth=1
	s_delay_alu instid0(SALU_CYCLE_1)
	s_or_b32 exec_lo, exec_lo, s0
	v_lshlrev_b32_e32 v2, 16, v2
	v_lshlrev_b32_e32 v0, 8, v0
	v_and_b32_e32 v3, 0xff, v10
	v_add_nc_u32_e32 v12, 16, v12
	v_add_nc_u32_e32 v6, 0x100, v6
	v_perm_b32 v1, v1, v2, 0x4020c0c
	v_and_b32_e32 v0, 0xff00, v0
	s_delay_alu instid0(VALU_DEP_4) | instskip(NEXT) | instid1(VALU_DEP_2)
	v_cmp_le_i32_e32 vcc_lo, s1, v12
	v_or3_b32 v0, v1, v0, v3
	s_or_b32 s2, vcc_lo, s2
	global_store_b32 v[4:5], v0, off
	v_add_co_u32 v4, s0, v4, 64
	s_delay_alu instid0(VALU_DEP_1)
	v_add_co_ci_u32_e64 v5, s0, 0, v5, s0
	s_and_not1_b32 exec_lo, exec_lo, s2
	s_cbranch_execz .LBB10_112
.LBB10_81:                              ; =>This Inner Loop Header: Depth=1
	ds_load_b128 v[0:3], v6
	s_mov_b32 s0, exec_lo
	s_waitcnt lgkmcnt(0)
	v_div_scale_f32 v10, null, v8, v8, v0
	v_div_scale_f32 v14, vcc_lo, v0, v8, v0
	s_delay_alu instid0(VALU_DEP_2) | instskip(SKIP_2) | instid1(VALU_DEP_1)
	v_rcp_f32_e32 v11, v10
	s_waitcnt_depctr 0xfff
	v_fma_f32 v13, -v10, v11, 1.0
	v_fmac_f32_e32 v11, v13, v11
	s_delay_alu instid0(VALU_DEP_1) | instskip(NEXT) | instid1(VALU_DEP_1)
	v_mul_f32_e32 v13, v14, v11
	v_fma_f32 v15, -v10, v13, v14
	s_delay_alu instid0(VALU_DEP_1) | instskip(NEXT) | instid1(VALU_DEP_1)
	v_fmac_f32_e32 v13, v15, v11
	v_fma_f32 v10, -v10, v13, v14
	s_delay_alu instid0(VALU_DEP_1) | instskip(NEXT) | instid1(VALU_DEP_1)
	v_div_fmas_f32 v10, v10, v11, v13
	v_div_fixup_f32 v0, v10, v8, v0
	v_mov_b32_e32 v10, 0x80
	s_delay_alu instid0(VALU_DEP_2) | instskip(SKIP_1) | instid1(VALU_DEP_2)
	v_maxmin_f32 v11, v0, v7, v9
	v_mov_b32_e32 v0, 0x80
	v_and_b32_e32 v13, 0x7fffffff, v11
	s_delay_alu instid0(VALU_DEP_1)
	v_cmpx_gt_u32_e32 0x43800000, v13
	s_cbranch_execz .LBB10_87
; %bb.82:                               ;   in Loop: Header=BB10_81 Depth=1
	v_cmp_lt_u32_e32 vcc_lo, 0x3bffffff, v13
	s_mov_b32 s3, 0
                                        ; implicit-def: $vgpr13
	s_and_saveexec_b32 s4, vcc_lo
	s_delay_alu instid0(SALU_CYCLE_1)
	s_xor_b32 s4, exec_lo, s4
	s_cbranch_execnz .LBB10_103
; %bb.83:                               ;   in Loop: Header=BB10_81 Depth=1
	s_or_saveexec_b32 s4, s4
                                        ; implicit-def: $sgpr5
	s_delay_alu instid0(SALU_CYCLE_1)
	s_xor_b32 exec_lo, exec_lo, s4
	s_cbranch_execnz .LBB10_104
.LBB10_84:                              ;   in Loop: Header=BB10_81 Depth=1
	s_or_b32 exec_lo, exec_lo, s4
	v_mov_b32_e32 v10, s5
	s_and_saveexec_b32 s4, s3
.LBB10_85:                              ;   in Loop: Header=BB10_81 Depth=1
	v_lshrrev_b32_e32 v10, 24, v11
	s_delay_alu instid0(VALU_DEP_1)
	v_and_or_b32 v10, 0x80, v10, v13
.LBB10_86:                              ;   in Loop: Header=BB10_81 Depth=1
	s_or_b32 exec_lo, exec_lo, s4
.LBB10_87:                              ;   in Loop: Header=BB10_81 Depth=1
	s_delay_alu instid0(SALU_CYCLE_1) | instskip(SKIP_2) | instid1(VALU_DEP_1)
	s_or_b32 exec_lo, exec_lo, s0
	v_div_scale_f32 v11, null, v8, v8, v1
	s_mov_b32 s0, exec_lo
	v_rcp_f32_e32 v13, v11
	s_waitcnt_depctr 0xfff
	v_fma_f32 v14, -v11, v13, 1.0
	s_delay_alu instid0(VALU_DEP_1) | instskip(SKIP_1) | instid1(VALU_DEP_1)
	v_fmac_f32_e32 v13, v14, v13
	v_div_scale_f32 v14, vcc_lo, v1, v8, v1
	v_mul_f32_e32 v15, v14, v13
	s_delay_alu instid0(VALU_DEP_1) | instskip(NEXT) | instid1(VALU_DEP_1)
	v_fma_f32 v16, -v11, v15, v14
	v_fmac_f32_e32 v15, v16, v13
	s_delay_alu instid0(VALU_DEP_1) | instskip(NEXT) | instid1(VALU_DEP_1)
	v_fma_f32 v11, -v11, v15, v14
	v_div_fmas_f32 v11, v11, v13, v15
	s_delay_alu instid0(VALU_DEP_1) | instskip(NEXT) | instid1(VALU_DEP_1)
	v_div_fixup_f32 v1, v11, v8, v1
	v_maxmin_f32 v1, v1, v7, v9
	s_delay_alu instid0(VALU_DEP_1) | instskip(NEXT) | instid1(VALU_DEP_1)
	v_and_b32_e32 v11, 0x7fffffff, v1
	v_cmpx_gt_u32_e32 0x43800000, v11
	s_cbranch_execz .LBB10_93
; %bb.88:                               ;   in Loop: Header=BB10_81 Depth=1
	v_cmp_lt_u32_e32 vcc_lo, 0x3bffffff, v11
	s_mov_b32 s3, 0
                                        ; implicit-def: $vgpr11
	s_and_saveexec_b32 s4, vcc_lo
	s_delay_alu instid0(SALU_CYCLE_1)
	s_xor_b32 s4, exec_lo, s4
	s_cbranch_execnz .LBB10_105
; %bb.89:                               ;   in Loop: Header=BB10_81 Depth=1
	s_or_saveexec_b32 s4, s4
                                        ; implicit-def: $sgpr5
	s_delay_alu instid0(SALU_CYCLE_1)
	s_xor_b32 exec_lo, exec_lo, s4
	s_cbranch_execnz .LBB10_106
.LBB10_90:                              ;   in Loop: Header=BB10_81 Depth=1
	s_or_b32 exec_lo, exec_lo, s4
	v_mov_b32_e32 v0, s5
	s_and_saveexec_b32 s4, s3
.LBB10_91:                              ;   in Loop: Header=BB10_81 Depth=1
	v_lshrrev_b32_e32 v0, 24, v1
	s_delay_alu instid0(VALU_DEP_1)
	v_and_or_b32 v0, 0x80, v0, v11
.LBB10_92:                              ;   in Loop: Header=BB10_81 Depth=1
	s_or_b32 exec_lo, exec_lo, s4
.LBB10_93:                              ;   in Loop: Header=BB10_81 Depth=1
	s_delay_alu instid0(SALU_CYCLE_1) | instskip(SKIP_3) | instid1(VALU_DEP_2)
	s_or_b32 exec_lo, exec_lo, s0
	v_div_scale_f32 v1, null, v8, v8, v2
	v_div_scale_f32 v14, vcc_lo, v2, v8, v2
	s_mov_b32 s0, exec_lo
	v_rcp_f32_e32 v11, v1
	s_waitcnt_depctr 0xfff
	v_fma_f32 v13, -v1, v11, 1.0
	s_delay_alu instid0(VALU_DEP_1) | instskip(NEXT) | instid1(VALU_DEP_1)
	v_fmac_f32_e32 v11, v13, v11
	v_mul_f32_e32 v13, v14, v11
	s_delay_alu instid0(VALU_DEP_1) | instskip(NEXT) | instid1(VALU_DEP_1)
	v_fma_f32 v15, -v1, v13, v14
	v_fmac_f32_e32 v13, v15, v11
	s_delay_alu instid0(VALU_DEP_1) | instskip(NEXT) | instid1(VALU_DEP_1)
	v_fma_f32 v1, -v1, v13, v14
	v_div_fmas_f32 v1, v1, v11, v13
	s_delay_alu instid0(VALU_DEP_1) | instskip(SKIP_1) | instid1(VALU_DEP_2)
	v_div_fixup_f32 v1, v1, v8, v2
	v_mov_b32_e32 v2, 0x80
	v_maxmin_f32 v11, v1, v7, v9
	v_mov_b32_e32 v1, 0x80
	s_delay_alu instid0(VALU_DEP_2) | instskip(NEXT) | instid1(VALU_DEP_1)
	v_and_b32_e32 v13, 0x7fffffff, v11
	v_cmpx_gt_u32_e32 0x43800000, v13
	s_cbranch_execz .LBB10_99
; %bb.94:                               ;   in Loop: Header=BB10_81 Depth=1
	v_cmp_lt_u32_e32 vcc_lo, 0x3bffffff, v13
	s_mov_b32 s3, 0
                                        ; implicit-def: $vgpr13
	s_and_saveexec_b32 s4, vcc_lo
	s_delay_alu instid0(SALU_CYCLE_1)
	s_xor_b32 s4, exec_lo, s4
	s_cbranch_execnz .LBB10_107
; %bb.95:                               ;   in Loop: Header=BB10_81 Depth=1
	s_or_saveexec_b32 s4, s4
                                        ; implicit-def: $sgpr5
	s_delay_alu instid0(SALU_CYCLE_1)
	s_xor_b32 exec_lo, exec_lo, s4
	s_cbranch_execnz .LBB10_108
.LBB10_96:                              ;   in Loop: Header=BB10_81 Depth=1
	s_or_b32 exec_lo, exec_lo, s4
	v_mov_b32_e32 v2, s5
	s_and_saveexec_b32 s4, s3
.LBB10_97:                              ;   in Loop: Header=BB10_81 Depth=1
	v_lshrrev_b32_e32 v2, 24, v11
	s_delay_alu instid0(VALU_DEP_1)
	v_and_or_b32 v2, 0x80, v2, v13
.LBB10_98:                              ;   in Loop: Header=BB10_81 Depth=1
	s_or_b32 exec_lo, exec_lo, s4
.LBB10_99:                              ;   in Loop: Header=BB10_81 Depth=1
	s_delay_alu instid0(SALU_CYCLE_1) | instskip(SKIP_2) | instid1(VALU_DEP_1)
	s_or_b32 exec_lo, exec_lo, s0
	v_div_scale_f32 v11, null, v8, v8, v3
	s_mov_b32 s0, exec_lo
	v_rcp_f32_e32 v13, v11
	s_waitcnt_depctr 0xfff
	v_fma_f32 v14, -v11, v13, 1.0
	s_delay_alu instid0(VALU_DEP_1) | instskip(SKIP_1) | instid1(VALU_DEP_1)
	v_fmac_f32_e32 v13, v14, v13
	v_div_scale_f32 v14, vcc_lo, v3, v8, v3
	v_mul_f32_e32 v15, v14, v13
	s_delay_alu instid0(VALU_DEP_1) | instskip(NEXT) | instid1(VALU_DEP_1)
	v_fma_f32 v16, -v11, v15, v14
	v_fmac_f32_e32 v15, v16, v13
	s_delay_alu instid0(VALU_DEP_1) | instskip(NEXT) | instid1(VALU_DEP_1)
	v_fma_f32 v11, -v11, v15, v14
	v_div_fmas_f32 v11, v11, v13, v15
	s_delay_alu instid0(VALU_DEP_1) | instskip(NEXT) | instid1(VALU_DEP_1)
	v_div_fixup_f32 v3, v11, v8, v3
	v_maxmin_f32 v3, v3, v7, v9
	s_delay_alu instid0(VALU_DEP_1) | instskip(NEXT) | instid1(VALU_DEP_1)
	v_and_b32_e32 v11, 0x7fffffff, v3
	v_cmpx_gt_u32_e32 0x43800000, v11
	s_cbranch_execz .LBB10_80
; %bb.100:                              ;   in Loop: Header=BB10_81 Depth=1
	v_cmp_lt_u32_e32 vcc_lo, 0x3bffffff, v11
	s_mov_b32 s3, 0
                                        ; implicit-def: $vgpr11
	s_and_saveexec_b32 s4, vcc_lo
	s_delay_alu instid0(SALU_CYCLE_1)
	s_xor_b32 s4, exec_lo, s4
	s_cbranch_execnz .LBB10_109
; %bb.101:                              ;   in Loop: Header=BB10_81 Depth=1
	s_or_saveexec_b32 s4, s4
                                        ; implicit-def: $sgpr5
	s_delay_alu instid0(SALU_CYCLE_1)
	s_xor_b32 exec_lo, exec_lo, s4
	s_cbranch_execnz .LBB10_110
.LBB10_102:                             ;   in Loop: Header=BB10_81 Depth=1
	s_or_b32 exec_lo, exec_lo, s4
	v_mov_b32_e32 v1, s5
	s_and_saveexec_b32 s4, s3
	s_cbranch_execz .LBB10_79
	s_branch .LBB10_111
.LBB10_103:                             ;   in Loop: Header=BB10_81 Depth=1
	v_bfe_u32 v10, v11, 20, 1
	s_mov_b32 s3, exec_lo
	s_delay_alu instid0(VALU_DEP_1) | instskip(NEXT) | instid1(VALU_DEP_1)
	v_add3_u32 v10, v11, v10, 0x487ffff
	v_lshrrev_b32_e32 v13, 20, v10
	s_or_saveexec_b32 s4, s4
                                        ; implicit-def: $sgpr5
	s_delay_alu instid0(SALU_CYCLE_1)
	s_xor_b32 exec_lo, exec_lo, s4
	s_cbranch_execz .LBB10_84
.LBB10_104:                             ;   in Loop: Header=BB10_81 Depth=1
	v_add_f32_e64 v10, 0x46000000, |v11|
	s_and_not1_b32 s3, s3, exec_lo
	s_mov_b32 s5, 0
	s_delay_alu instid0(VALU_DEP_1) | instskip(NEXT) | instid1(VALU_DEP_1)
	v_and_b32_e32 v13, 0xff, v10
	v_cmp_ne_u32_e32 vcc_lo, 0, v13
	s_and_b32 s6, vcc_lo, exec_lo
	s_delay_alu instid0(SALU_CYCLE_1)
	s_or_b32 s3, s3, s6
	s_or_b32 exec_lo, exec_lo, s4
	v_mov_b32_e32 v10, s5
	s_and_saveexec_b32 s4, s3
	s_cbranch_execnz .LBB10_85
	s_branch .LBB10_86
.LBB10_105:                             ;   in Loop: Header=BB10_81 Depth=1
	v_bfe_u32 v0, v1, 20, 1
	s_mov_b32 s3, exec_lo
	s_delay_alu instid0(VALU_DEP_1) | instskip(NEXT) | instid1(VALU_DEP_1)
	v_add3_u32 v0, v1, v0, 0x487ffff
	v_lshrrev_b32_e32 v11, 20, v0
	s_or_saveexec_b32 s4, s4
                                        ; implicit-def: $sgpr5
	s_delay_alu instid0(SALU_CYCLE_1)
	s_xor_b32 exec_lo, exec_lo, s4
	s_cbranch_execz .LBB10_90
.LBB10_106:                             ;   in Loop: Header=BB10_81 Depth=1
	v_add_f32_e64 v0, 0x46000000, |v1|
	s_and_not1_b32 s3, s3, exec_lo
	s_mov_b32 s5, 0
	s_delay_alu instid0(VALU_DEP_1) | instskip(NEXT) | instid1(VALU_DEP_1)
	v_and_b32_e32 v11, 0xff, v0
	v_cmp_ne_u32_e32 vcc_lo, 0, v11
	s_and_b32 s6, vcc_lo, exec_lo
	s_delay_alu instid0(SALU_CYCLE_1)
	s_or_b32 s3, s3, s6
	s_or_b32 exec_lo, exec_lo, s4
	v_mov_b32_e32 v0, s5
	s_and_saveexec_b32 s4, s3
	s_cbranch_execnz .LBB10_91
	s_branch .LBB10_92
.LBB10_107:                             ;   in Loop: Header=BB10_81 Depth=1
	v_bfe_u32 v2, v11, 20, 1
	s_mov_b32 s3, exec_lo
	s_delay_alu instid0(VALU_DEP_1) | instskip(NEXT) | instid1(VALU_DEP_1)
	v_add3_u32 v2, v11, v2, 0x487ffff
	v_lshrrev_b32_e32 v13, 20, v2
	s_or_saveexec_b32 s4, s4
                                        ; implicit-def: $sgpr5
	s_delay_alu instid0(SALU_CYCLE_1)
	s_xor_b32 exec_lo, exec_lo, s4
	s_cbranch_execz .LBB10_96
.LBB10_108:                             ;   in Loop: Header=BB10_81 Depth=1
	v_add_f32_e64 v2, 0x46000000, |v11|
	s_and_not1_b32 s3, s3, exec_lo
	s_mov_b32 s5, 0
	s_delay_alu instid0(VALU_DEP_1) | instskip(NEXT) | instid1(VALU_DEP_1)
	v_and_b32_e32 v13, 0xff, v2
	v_cmp_ne_u32_e32 vcc_lo, 0, v13
	s_and_b32 s6, vcc_lo, exec_lo
	s_delay_alu instid0(SALU_CYCLE_1)
	s_or_b32 s3, s3, s6
	s_or_b32 exec_lo, exec_lo, s4
	v_mov_b32_e32 v2, s5
	s_and_saveexec_b32 s4, s3
	s_cbranch_execnz .LBB10_97
	s_branch .LBB10_98
.LBB10_109:                             ;   in Loop: Header=BB10_81 Depth=1
	v_bfe_u32 v1, v3, 20, 1
	s_mov_b32 s3, exec_lo
	s_delay_alu instid0(VALU_DEP_1) | instskip(NEXT) | instid1(VALU_DEP_1)
	v_add3_u32 v1, v3, v1, 0x487ffff
	v_lshrrev_b32_e32 v11, 20, v1
	s_or_saveexec_b32 s4, s4
                                        ; implicit-def: $sgpr5
	s_delay_alu instid0(SALU_CYCLE_1)
	s_xor_b32 exec_lo, exec_lo, s4
	s_cbranch_execz .LBB10_102
.LBB10_110:                             ;   in Loop: Header=BB10_81 Depth=1
	v_add_f32_e64 v1, 0x46000000, |v3|
	s_and_not1_b32 s3, s3, exec_lo
	s_mov_b32 s5, 0
	s_delay_alu instid0(VALU_DEP_1) | instskip(NEXT) | instid1(VALU_DEP_1)
	v_and_b32_e32 v11, 0xff, v1
	v_cmp_ne_u32_e32 vcc_lo, 0, v11
	s_and_b32 s6, vcc_lo, exec_lo
	s_delay_alu instid0(SALU_CYCLE_1)
	s_or_b32 s3, s3, s6
	s_or_b32 exec_lo, exec_lo, s4
	v_mov_b32_e32 v1, s5
	s_and_saveexec_b32 s4, s3
	s_cbranch_execz .LBB10_79
.LBB10_111:                             ;   in Loop: Header=BB10_81 Depth=1
	v_lshrrev_b32_e32 v1, 24, v3
	s_delay_alu instid0(VALU_DEP_1)
	v_and_or_b32 v1, 0x80, v1, v11
	s_branch .LBB10_79
.LBB10_112:
	s_nop 0
	s_sendmsg sendmsg(MSG_DEALLOC_VGPRS)
	s_endpgm
.LBB10_113:
	v_bfe_u32 v1, v0, 20, 1
	s_mov_b32 s5, exec_lo
	s_delay_alu instid0(VALU_DEP_1) | instskip(NEXT) | instid1(VALU_DEP_1)
	v_add3_u32 v1, v0, v1, 0x487ffff
	v_lshrrev_b32_e32 v1, 20, v1
	s_or_saveexec_b32 s9, s9
                                        ; implicit-def: $sgpr10
	s_delay_alu instid0(SALU_CYCLE_1)
	s_xor_b32 exec_lo, exec_lo, s9
	s_cbranch_execz .LBB10_25
.LBB10_114:
	v_add_f32_e64 v1, 0x46000000, |v0|
	s_and_not1_b32 s5, s5, exec_lo
	s_mov_b32 s10, 0
	s_delay_alu instid0(VALU_DEP_1) | instskip(NEXT) | instid1(VALU_DEP_1)
	v_and_b32_e32 v1, 0xff, v1
	v_cmp_ne_u32_e32 vcc_lo, 0, v1
	s_and_b32 s11, vcc_lo, exec_lo
	s_delay_alu instid0(SALU_CYCLE_1)
	s_or_b32 s5, s5, s11
	s_or_b32 exec_lo, exec_lo, s9
	v_mov_b32_e32 v2, s10
	s_and_saveexec_b32 s9, s5
	s_cbranch_execnz .LBB10_26
	s_branch .LBB10_27
	.section	.rodata,"a",@progbits
	.p2align	6, 0x0
	.amdhsa_kernel _Z33per_token_group_quant_8bit_kernelIfN3c1015Float8_e4m3fnuzELb0ELb1EfEvPKT_PvPT3_iiifffii
		.amdhsa_group_segment_fixed_size 0
		.amdhsa_private_segment_fixed_size 0
		.amdhsa_kernarg_size 56
		.amdhsa_user_sgpr_count 15
		.amdhsa_user_sgpr_dispatch_ptr 0
		.amdhsa_user_sgpr_queue_ptr 0
		.amdhsa_user_sgpr_kernarg_segment_ptr 1
		.amdhsa_user_sgpr_dispatch_id 0
		.amdhsa_user_sgpr_private_segment_size 0
		.amdhsa_wavefront_size32 1
		.amdhsa_uses_dynamic_stack 0
		.amdhsa_enable_private_segment 0
		.amdhsa_system_sgpr_workgroup_id_x 1
		.amdhsa_system_sgpr_workgroup_id_y 0
		.amdhsa_system_sgpr_workgroup_id_z 0
		.amdhsa_system_sgpr_workgroup_info 0
		.amdhsa_system_vgpr_workitem_id 0
		.amdhsa_next_free_vgpr 26
		.amdhsa_next_free_sgpr 16
		.amdhsa_reserve_vcc 1
		.amdhsa_float_round_mode_32 0
		.amdhsa_float_round_mode_16_64 0
		.amdhsa_float_denorm_mode_32 3
		.amdhsa_float_denorm_mode_16_64 3
		.amdhsa_dx10_clamp 1
		.amdhsa_ieee_mode 1
		.amdhsa_fp16_overflow 0
		.amdhsa_workgroup_processor_mode 1
		.amdhsa_memory_ordered 1
		.amdhsa_forward_progress 0
		.amdhsa_shared_vgpr_count 0
		.amdhsa_exception_fp_ieee_invalid_op 0
		.amdhsa_exception_fp_denorm_src 0
		.amdhsa_exception_fp_ieee_div_zero 0
		.amdhsa_exception_fp_ieee_overflow 0
		.amdhsa_exception_fp_ieee_underflow 0
		.amdhsa_exception_fp_ieee_inexact 0
		.amdhsa_exception_int_div_zero 0
	.end_amdhsa_kernel
	.section	.text._Z33per_token_group_quant_8bit_kernelIfN3c1015Float8_e4m3fnuzELb0ELb1EfEvPKT_PvPT3_iiifffii,"axG",@progbits,_Z33per_token_group_quant_8bit_kernelIfN3c1015Float8_e4m3fnuzELb0ELb1EfEvPKT_PvPT3_iiifffii,comdat
.Lfunc_end10:
	.size	_Z33per_token_group_quant_8bit_kernelIfN3c1015Float8_e4m3fnuzELb0ELb1EfEvPKT_PvPT3_iiifffii, .Lfunc_end10-_Z33per_token_group_quant_8bit_kernelIfN3c1015Float8_e4m3fnuzELb0ELb1EfEvPKT_PvPT3_iiifffii
                                        ; -- End function
	.section	.AMDGPU.csdata,"",@progbits
; Kernel info:
; codeLenInByte = 5784
; NumSgprs: 18
; NumVgprs: 26
; ScratchSize: 0
; MemoryBound: 0
; FloatMode: 240
; IeeeMode: 1
; LDSByteSize: 0 bytes/workgroup (compile time only)
; SGPRBlocks: 2
; VGPRBlocks: 3
; NumSGPRsForWavesPerEU: 18
; NumVGPRsForWavesPerEU: 26
; Occupancy: 16
; WaveLimiterHint : 0
; COMPUTE_PGM_RSRC2:SCRATCH_EN: 0
; COMPUTE_PGM_RSRC2:USER_SGPR: 15
; COMPUTE_PGM_RSRC2:TRAP_HANDLER: 0
; COMPUTE_PGM_RSRC2:TGID_X_EN: 1
; COMPUTE_PGM_RSRC2:TGID_Y_EN: 0
; COMPUTE_PGM_RSRC2:TGID_Z_EN: 0
; COMPUTE_PGM_RSRC2:TIDIG_COMP_CNT: 0
	.section	.text._Z33per_token_group_quant_8bit_kernelIfN3c1015Float8_e4m3fnuzELb0ELb0EfEvPKT_PvPT3_iiifffii,"axG",@progbits,_Z33per_token_group_quant_8bit_kernelIfN3c1015Float8_e4m3fnuzELb0ELb0EfEvPKT_PvPT3_iiifffii,comdat
	.protected	_Z33per_token_group_quant_8bit_kernelIfN3c1015Float8_e4m3fnuzELb0ELb0EfEvPKT_PvPT3_iiifffii ; -- Begin function _Z33per_token_group_quant_8bit_kernelIfN3c1015Float8_e4m3fnuzELb0ELb0EfEvPKT_PvPT3_iiifffii
	.globl	_Z33per_token_group_quant_8bit_kernelIfN3c1015Float8_e4m3fnuzELb0ELb0EfEvPKT_PvPT3_iiifffii
	.p2align	8
	.type	_Z33per_token_group_quant_8bit_kernelIfN3c1015Float8_e4m3fnuzELb0ELb0EfEvPKT_PvPT3_iiifffii,@function
_Z33per_token_group_quant_8bit_kernelIfN3c1015Float8_e4m3fnuzELb0ELb0EfEvPKT_PvPT3_iiifffii: ; @_Z33per_token_group_quant_8bit_kernelIfN3c1015Float8_e4m3fnuzELb0ELb0EfEvPKT_PvPT3_iiifffii
; %bb.0:
	s_clause 0x1
	s_load_b128 s[4:7], s[0:1], 0x20
	s_load_b32 s8, s[0:1], 0x18
	v_lshrrev_b32_e32 v3, 4, v0
	v_and_b32_e32 v12, 15, v0
	s_waitcnt lgkmcnt(0)
	s_mul_i32 s15, s15, s4
	s_ashr_i32 s4, s8, 31
	v_add_co_u32 v1, s2, s15, v3
	s_delay_alu instid0(VALU_DEP_1) | instskip(SKIP_1) | instid1(VALU_DEP_2)
	v_add_co_ci_u32_e64 v2, null, 0, 0, s2
	s_load_b64 s[2:3], s[0:1], 0x0
	v_mul_lo_u32 v7, v1, s4
	v_mad_u64_u32 v[4:5], null, v1, s8, 0
	s_delay_alu instid0(VALU_DEP_3) | instskip(SKIP_2) | instid1(SALU_CYCLE_1)
	v_mul_lo_u32 v6, v2, s8
	v_mul_lo_u32 v13, v3, s8
	s_and_b32 s9, s8, 3
                                        ; implicit-def: $vgpr3
	s_cmp_eq_u32 s9, 0
	s_cselect_b32 s4, -1, 0
	s_cmp_lg_u32 s9, 0
	s_delay_alu instid0(VALU_DEP_2) | instskip(NEXT) | instid1(VALU_DEP_2)
	v_add3_u32 v5, v5, v7, v6
	v_lshl_add_u32 v0, v13, 2, 0
	s_cselect_b32 s9, -1, 0
	s_delay_alu instid0(VALU_DEP_2) | instskip(SKIP_1) | instid1(VALU_DEP_1)
	v_lshlrev_b64 v[6:7], 2, v[4:5]
	s_waitcnt lgkmcnt(0)
	v_add_co_u32 v8, vcc_lo, s2, v6
	v_mov_b32_e32 v11, 0
	s_delay_alu instid0(VALU_DEP_3) | instskip(NEXT) | instid1(VALU_DEP_3)
	v_add_co_ci_u32_e32 v9, vcc_lo, s3, v7, vcc_lo
	v_and_b32_e32 v10, 15, v8
	s_delay_alu instid0(VALU_DEP_1) | instskip(SKIP_1) | instid1(SALU_CYCLE_1)
	v_cmp_ne_u64_e32 vcc_lo, 0, v[10:11]
	s_or_b32 s9, s9, vcc_lo
	s_and_saveexec_b32 s10, s9
	s_delay_alu instid0(SALU_CYCLE_1)
	s_xor_b32 s9, exec_lo, s10
	s_cbranch_execz .LBB11_12
; %bb.1:
	v_sub_nc_u32_e32 v3, 0, v8
	s_mov_b32 s10, exec_lo
	s_delay_alu instid0(VALU_DEP_1) | instskip(NEXT) | instid1(VALU_DEP_1)
	v_bfe_u32 v3, v3, 2, 2
	v_min_i32_e32 v10, s8, v3
	v_mov_b32_e32 v3, s5
	s_delay_alu instid0(VALU_DEP_2)
	v_cmpx_gt_i32_e64 v10, v12
	s_cbranch_execz .LBB11_3
; %bb.2:
	v_lshlrev_b32_e32 v3, 2, v12
	v_max_f32_e64 v11, s5, s5
	s_delay_alu instid0(VALU_DEP_2) | instskip(SKIP_4) | instid1(VALU_DEP_1)
	v_add_co_u32 v8, vcc_lo, v8, v3
	v_add_co_ci_u32_e32 v9, vcc_lo, 0, v9, vcc_lo
	global_load_b32 v8, v[8:9], off
	s_waitcnt vmcnt(0)
	v_max_f32_e64 v9, |v8|, |v8|
	v_dual_max_f32 v3, v11, v9 :: v_dual_add_nc_u32 v14, v0, v3
	ds_store_b32 v14, v8
.LBB11_3:
	s_or_b32 exec_lo, exec_lo, s10
	v_sub_nc_u32_e32 v14, s8, v10
	v_ashrrev_i32_e32 v11, 31, v10
	v_lshlrev_b32_e32 v15, 2, v10
	s_mov_b32 s10, exec_lo
	s_delay_alu instid0(VALU_DEP_3) | instskip(NEXT) | instid1(VALU_DEP_1)
	v_ashrrev_i32_e32 v8, 31, v14
	v_lshrrev_b32_e32 v8, 30, v8
	s_delay_alu instid0(VALU_DEP_1) | instskip(NEXT) | instid1(VALU_DEP_1)
	v_add_nc_u32_e32 v8, v14, v8
	v_ashrrev_i32_e32 v16, 2, v8
	v_lshlrev_b64 v[8:9], 2, v[10:11]
	s_delay_alu instid0(VALU_DEP_2)
	v_cmpx_gt_i32_e64 v16, v12
	s_cbranch_execz .LBB11_7
; %bb.4:
	v_lshlrev_b32_e32 v10, 4, v12
	s_mov_b32 s11, 0
	s_delay_alu instid0(VALU_DEP_1) | instskip(SKIP_2) | instid1(VALU_DEP_3)
	v_add_co_u32 v11, vcc_lo, v6, v10
	v_add_co_ci_u32_e32 v17, vcc_lo, 0, v7, vcc_lo
	v_lshl_add_u32 v10, v13, 2, v10
	v_add_co_u32 v11, vcc_lo, v11, v8
	s_delay_alu instid0(VALU_DEP_3) | instskip(NEXT) | instid1(VALU_DEP_2)
	v_add_co_ci_u32_e32 v17, vcc_lo, v17, v9, vcc_lo
	v_add_co_u32 v11, vcc_lo, v11, s2
	s_delay_alu instid0(VALU_DEP_2) | instskip(SKIP_1) | instid1(VALU_DEP_3)
	v_add_co_ci_u32_e32 v18, vcc_lo, s3, v17, vcc_lo
	v_add3_u32 v17, v10, v15, 0
	v_add_co_u32 v10, vcc_lo, v11, 8
	s_delay_alu instid0(VALU_DEP_3)
	v_add_co_ci_u32_e32 v11, vcc_lo, 0, v18, vcc_lo
	v_mov_b32_e32 v18, v12
	.p2align	6
.LBB11_5:                               ; =>This Inner Loop Header: Depth=1
	global_load_b128 v[19:22], v[10:11], off offset:-8
	v_add_nc_u32_e32 v18, 16, v18
	v_add_co_u32 v10, vcc_lo, 0x100, v10
	v_add_co_ci_u32_e32 v11, vcc_lo, 0, v11, vcc_lo
	s_delay_alu instid0(VALU_DEP_3)
	v_cmp_ge_i32_e32 vcc_lo, v18, v16
	s_or_b32 s11, vcc_lo, s11
	s_waitcnt vmcnt(0)
	v_max3_f32 v3, v3, |v19|, |v20|
	ds_store_b128 v17, v[19:22]
	v_add_nc_u32_e32 v17, 0x100, v17
	v_max3_f32 v3, v3, |v21|, |v22|
	s_and_not1_b32 exec_lo, exec_lo, s11
	s_cbranch_execnz .LBB11_5
; %bb.6:
	s_or_b32 exec_lo, exec_lo, s11
.LBB11_7:
	s_delay_alu instid0(SALU_CYCLE_1) | instskip(SKIP_2) | instid1(VALU_DEP_1)
	s_or_b32 exec_lo, exec_lo, s10
	v_lshl_add_u32 v10, v16, 2, v12
	s_mov_b32 s10, exec_lo
	v_cmpx_lt_i32_e64 v10, v14
	s_cbranch_execz .LBB11_11
; %bb.8:
	v_ashrrev_i32_e32 v11, 31, v10
	v_lshlrev_b32_e32 v19, 4, v16
	v_add_co_u32 v6, vcc_lo, v6, v8
	v_lshlrev_b32_e32 v18, 2, v13
	s_delay_alu instid0(VALU_DEP_4) | instskip(SKIP_2) | instid1(VALU_DEP_4)
	v_lshlrev_b64 v[16:17], 2, v[10:11]
	v_add_co_ci_u32_e32 v7, vcc_lo, v7, v9, vcc_lo
	v_lshlrev_b32_e32 v20, 2, v12
	v_add3_u32 v8, v18, v19, v15
	s_mov_b32 s11, 0
	s_delay_alu instid0(VALU_DEP_4) | instskip(SKIP_1) | instid1(VALU_DEP_3)
	v_add_co_u32 v6, vcc_lo, v6, v16
	v_add_co_ci_u32_e32 v7, vcc_lo, v7, v17, vcc_lo
	v_add3_u32 v8, v8, v20, 0
	s_delay_alu instid0(VALU_DEP_3) | instskip(NEXT) | instid1(VALU_DEP_3)
	v_add_co_u32 v6, vcc_lo, s2, v6
	v_add_co_ci_u32_e32 v7, vcc_lo, s3, v7, vcc_lo
	.p2align	6
.LBB11_9:                               ; =>This Inner Loop Header: Depth=1
	global_load_b32 v9, v[6:7], off
	v_dual_max_f32 v3, v3, v3 :: v_dual_add_nc_u32 v10, 16, v10
	v_add_co_u32 v6, vcc_lo, v6, 64
	v_add_co_ci_u32_e32 v7, vcc_lo, 0, v7, vcc_lo
	s_delay_alu instid0(VALU_DEP_3)
	v_cmp_ge_i32_e32 vcc_lo, v10, v14
	s_or_b32 s11, vcc_lo, s11
	s_waitcnt vmcnt(0)
	v_max_f32_e64 v11, |v9|, |v9|
	ds_store_b32 v8, v9
	v_dual_max_f32 v3, v3, v11 :: v_dual_add_nc_u32 v8, 64, v8
	s_and_not1_b32 exec_lo, exec_lo, s11
	s_cbranch_execnz .LBB11_9
; %bb.10:
	s_or_b32 exec_lo, exec_lo, s11
.LBB11_11:
	s_delay_alu instid0(SALU_CYCLE_1)
	s_or_b32 exec_lo, exec_lo, s10
                                        ; implicit-def: $vgpr6_vgpr7
.LBB11_12:
	s_and_not1_saveexec_b32 s9, s9
	s_cbranch_execz .LBB11_18
; %bb.13:
	v_mov_b32_e32 v3, s5
	s_ashr_i32 s11, s8, 2
	s_mov_b32 s10, exec_lo
	v_cmpx_gt_i32_e64 s11, v12
	s_cbranch_execz .LBB11_17
; %bb.14:
	v_dual_mov_b32 v3, s5 :: v_dual_lshlrev_b32 v8, 4, v12
	v_lshlrev_b32_e32 v9, 2, v13
	s_delay_alu instid0(VALU_DEP_2) | instskip(SKIP_1) | instid1(VALU_DEP_3)
	v_add_co_u32 v6, vcc_lo, v6, v8
	v_add_co_ci_u32_e32 v7, vcc_lo, 0, v7, vcc_lo
	v_add3_u32 v8, v9, v8, 0
	s_delay_alu instid0(VALU_DEP_3) | instskip(NEXT) | instid1(VALU_DEP_3)
	v_add_co_u32 v6, vcc_lo, v6, s2
	v_add_co_ci_u32_e32 v7, vcc_lo, s3, v7, vcc_lo
	v_mov_b32_e32 v9, v12
	s_delay_alu instid0(VALU_DEP_3) | instskip(NEXT) | instid1(VALU_DEP_3)
	v_add_co_u32 v6, vcc_lo, v6, 8
	v_add_co_ci_u32_e32 v7, vcc_lo, 0, v7, vcc_lo
	s_mov_b32 s2, 0
	.p2align	6
.LBB11_15:                              ; =>This Inner Loop Header: Depth=1
	global_load_b128 v[14:17], v[6:7], off offset:-8
	v_add_nc_u32_e32 v9, 16, v9
	v_add_co_u32 v6, vcc_lo, 0x100, v6
	v_add_co_ci_u32_e32 v7, vcc_lo, 0, v7, vcc_lo
	s_delay_alu instid0(VALU_DEP_3)
	v_cmp_le_i32_e32 vcc_lo, s11, v9
	s_or_b32 s2, vcc_lo, s2
	s_waitcnt vmcnt(0)
	v_max3_f32 v3, v3, |v14|, |v15|
	ds_store_b128 v8, v[14:17]
	v_add_nc_u32_e32 v8, 0x100, v8
	v_max3_f32 v3, v3, |v16|, |v17|
	s_and_not1_b32 exec_lo, exec_lo, s2
	s_cbranch_execnz .LBB11_15
; %bb.16:
	s_or_b32 exec_lo, exec_lo, s2
.LBB11_17:
	s_delay_alu instid0(SALU_CYCLE_1)
	s_or_b32 exec_lo, exec_lo, s10
.LBB11_18:
	s_delay_alu instid0(SALU_CYCLE_1) | instskip(SKIP_3) | instid1(VALU_DEP_1)
	s_or_b32 exec_lo, exec_lo, s9
	v_mbcnt_lo_u32_b32 v6, -1, 0
	s_load_b64 s[2:3], s[0:1], 0x8
	s_mov_b32 s5, exec_lo
	v_xor_b32_e32 v8, 8, v6
	v_and_b32_e32 v7, 16, v6
	v_xor_b32_e32 v9, 4, v6
	s_delay_alu instid0(VALU_DEP_2) | instskip(NEXT) | instid1(VALU_DEP_1)
	v_add_nc_u32_e32 v7, 16, v7
	v_cmp_lt_i32_e32 vcc_lo, v8, v7
	v_cndmask_b32_e32 v8, v6, v8, vcc_lo
	s_delay_alu instid0(VALU_DEP_1) | instskip(SKIP_4) | instid1(VALU_DEP_2)
	v_lshlrev_b32_e32 v8, 2, v8
	ds_bpermute_b32 v8, v8, v3
	s_waitcnt lgkmcnt(0)
	v_dual_max_f32 v3, v3, v3 :: v_dual_max_f32 v8, v8, v8
	v_cmp_lt_i32_e32 vcc_lo, v9, v7
	v_max_f32_e32 v3, v3, v8
	v_cndmask_b32_e32 v9, v6, v9, vcc_lo
	s_delay_alu instid0(VALU_DEP_1) | instskip(SKIP_2) | instid1(VALU_DEP_1)
	v_lshlrev_b32_e32 v9, 2, v9
	ds_bpermute_b32 v8, v9, v3
	v_xor_b32_e32 v9, 2, v6
	v_cmp_lt_i32_e32 vcc_lo, v9, v7
	v_cndmask_b32_e32 v9, v6, v9, vcc_lo
	s_waitcnt lgkmcnt(0)
	s_delay_alu instid0(VALU_DEP_1) | instskip(NEXT) | instid1(VALU_DEP_1)
	v_dual_max_f32 v8, v8, v8 :: v_dual_lshlrev_b32 v9, 2, v9
	v_max_f32_e32 v3, v3, v8
	ds_bpermute_b32 v8, v9, v3
	v_xor_b32_e32 v9, 1, v6
	s_delay_alu instid0(VALU_DEP_1) | instskip(SKIP_2) | instid1(VALU_DEP_1)
	v_cmp_lt_i32_e32 vcc_lo, v9, v7
	v_cndmask_b32_e32 v6, v6, v9, vcc_lo
	s_waitcnt lgkmcnt(0)
	v_dual_max_f32 v7, v8, v8 :: v_dual_lshlrev_b32 v6, 2, v6
	s_delay_alu instid0(VALU_DEP_1) | instskip(SKIP_3) | instid1(VALU_DEP_1)
	v_max_f32_e32 v3, v3, v7
	ds_bpermute_b32 v6, v6, v3
	s_waitcnt lgkmcnt(0)
	v_max_f32_e32 v6, v6, v6
	v_max_f32_e32 v3, v3, v6
	s_delay_alu instid0(VALU_DEP_1) | instskip(SKIP_1) | instid1(VALU_DEP_2)
	v_div_scale_f32 v6, null, s7, s7, v3
	v_div_scale_f32 v9, vcc_lo, v3, s7, v3
	v_rcp_f32_e32 v7, v6
	s_waitcnt_depctr 0xfff
	v_fma_f32 v8, -v6, v7, 1.0
	s_delay_alu instid0(VALU_DEP_1) | instskip(NEXT) | instid1(VALU_DEP_1)
	v_fmac_f32_e32 v7, v8, v7
	v_mul_f32_e32 v8, v9, v7
	s_delay_alu instid0(VALU_DEP_1) | instskip(NEXT) | instid1(VALU_DEP_1)
	v_fma_f32 v10, -v6, v8, v9
	v_fmac_f32_e32 v8, v10, v7
	s_delay_alu instid0(VALU_DEP_1) | instskip(NEXT) | instid1(VALU_DEP_1)
	v_fma_f32 v6, -v6, v8, v9
	v_div_fmas_f32 v6, v6, v7, v8
	s_delay_alu instid0(VALU_DEP_1)
	v_div_fixup_f32 v8, v6, s7, v3
	v_cmpx_eq_u32_e32 0, v12
	s_cbranch_execz .LBB11_20
; %bb.19:
	s_load_b64 s[0:1], s[0:1], 0x10
	v_lshlrev_b64 v[1:2], 2, v[1:2]
	s_waitcnt lgkmcnt(0)
	s_delay_alu instid0(VALU_DEP_1) | instskip(NEXT) | instid1(VALU_DEP_2)
	v_add_co_u32 v1, vcc_lo, s0, v1
	v_add_co_ci_u32_e32 v2, vcc_lo, s1, v2, vcc_lo
	global_store_b32 v[1:2], v8, off
.LBB11_20:
	s_or_b32 exec_lo, exec_lo, s5
	v_dual_mov_b32 v2, 0 :: v_dual_and_b32 v1, 15, v0
	s_xor_b32 s0, s4, -1
	s_waitcnt_vscnt null, 0x0
	s_barrier
	buffer_gl0_inv
	v_cmp_ne_u64_e32 vcc_lo, 0, v[1:2]
	s_or_b32 s0, s0, vcc_lo
	s_delay_alu instid0(SALU_CYCLE_1) | instskip(NEXT) | instid1(SALU_CYCLE_1)
	s_and_saveexec_b32 s1, s0
	s_xor_b32 s1, exec_lo, s1
	s_cbranch_execz .LBB11_76
; %bb.21:
	v_sub_nc_u32_e32 v1, 0, v0
	s_mov_b32 s0, exec_lo
	s_delay_alu instid0(VALU_DEP_1) | instskip(NEXT) | instid1(VALU_DEP_1)
	v_bfe_u32 v1, v1, 2, 2
	v_min_i32_e32 v10, s8, v1
	s_delay_alu instid0(VALU_DEP_1)
	v_cmpx_gt_i32_e64 v10, v12
	s_cbranch_execz .LBB11_29
; %bb.22:
	v_lshl_add_u32 v0, v12, 2, v0
	s_mov_b32 s4, exec_lo
	ds_load_b32 v0, v0
	s_waitcnt lgkmcnt(0)
	v_div_scale_f32 v1, null, v8, v8, v0
	v_div_scale_f32 v6, vcc_lo, v0, v8, v0
	s_delay_alu instid0(VALU_DEP_2) | instskip(SKIP_2) | instid1(VALU_DEP_1)
	v_rcp_f32_e32 v2, v1
	s_waitcnt_depctr 0xfff
	v_fma_f32 v3, -v1, v2, 1.0
	v_fmac_f32_e32 v2, v3, v2
	s_delay_alu instid0(VALU_DEP_1) | instskip(NEXT) | instid1(VALU_DEP_1)
	v_mul_f32_e32 v3, v6, v2
	v_fma_f32 v7, -v1, v3, v6
	s_delay_alu instid0(VALU_DEP_1) | instskip(NEXT) | instid1(VALU_DEP_1)
	v_fmac_f32_e32 v3, v7, v2
	v_fma_f32 v1, -v1, v3, v6
	s_delay_alu instid0(VALU_DEP_1) | instskip(SKIP_2) | instid1(VALU_DEP_3)
	v_div_fmas_f32 v1, v1, v2, v3
	v_max_f32_e64 v2, s6, s6
	v_max_f32_e64 v3, s7, s7
	v_div_fixup_f32 v0, v1, v8, v0
	s_delay_alu instid0(VALU_DEP_1) | instskip(SKIP_1) | instid1(VALU_DEP_2)
	v_maxmin_f32 v0, v0, v2, v3
	v_mov_b32_e32 v2, 0x80
	v_and_b32_e32 v1, 0x7fffffff, v0
	s_delay_alu instid0(VALU_DEP_1)
	v_cmpx_gt_u32_e32 0x43800000, v1
	s_cbranch_execz .LBB11_28
; %bb.23:
	v_cmp_lt_u32_e32 vcc_lo, 0x3bffffff, v1
	s_mov_b32 s5, 0
                                        ; implicit-def: $vgpr1
	s_and_saveexec_b32 s9, vcc_lo
	s_delay_alu instid0(SALU_CYCLE_1)
	s_xor_b32 s9, exec_lo, s9
	s_cbranch_execnz .LBB11_113
; %bb.24:
	s_or_saveexec_b32 s9, s9
                                        ; implicit-def: $sgpr10
	s_delay_alu instid0(SALU_CYCLE_1)
	s_xor_b32 exec_lo, exec_lo, s9
	s_cbranch_execnz .LBB11_114
.LBB11_25:
	s_or_b32 exec_lo, exec_lo, s9
	v_mov_b32_e32 v2, s10
	s_and_saveexec_b32 s9, s5
.LBB11_26:
	v_lshrrev_b32_e32 v0, 24, v0
	s_delay_alu instid0(VALU_DEP_1)
	v_and_or_b32 v2, 0x80, v0, v1
.LBB11_27:
	s_or_b32 exec_lo, exec_lo, s9
.LBB11_28:
	s_delay_alu instid0(SALU_CYCLE_1) | instskip(SKIP_2) | instid1(VALU_DEP_2)
	s_or_b32 exec_lo, exec_lo, s4
	v_add_co_u32 v0, vcc_lo, s2, v4
	v_add_co_ci_u32_e32 v1, vcc_lo, s3, v5, vcc_lo
	v_add_co_u32 v0, vcc_lo, v0, v12
	s_delay_alu instid0(VALU_DEP_2)
	v_add_co_ci_u32_e32 v1, vcc_lo, 0, v1, vcc_lo
	global_store_b8 v[0:1], v2, off
.LBB11_29:
	s_or_b32 exec_lo, exec_lo, s0
	v_sub_nc_u32_e32 v9, s8, v10
	v_ashrrev_i32_e32 v11, 31, v10
	v_lshlrev_b32_e32 v15, 2, v10
	s_mov_b32 s4, exec_lo
	s_delay_alu instid0(VALU_DEP_3) | instskip(NEXT) | instid1(VALU_DEP_1)
	v_ashrrev_i32_e32 v0, 31, v9
	v_lshrrev_b32_e32 v0, 30, v0
	s_delay_alu instid0(VALU_DEP_1) | instskip(NEXT) | instid1(VALU_DEP_1)
	v_add_nc_u32_e32 v0, v9, v0
	v_ashrrev_i32_e32 v14, 2, v0
	s_delay_alu instid0(VALU_DEP_1)
	v_cmpx_gt_i32_e64 v14, v12
	s_cbranch_execz .LBB11_64
; %bb.30:
	v_lshlrev_b32_e32 v1, 2, v12
	v_add_co_u32 v2, vcc_lo, v10, v4
	v_dual_mov_b32 v19, v12 :: v_dual_lshlrev_b32 v0, 4, v12
	v_add_co_ci_u32_e32 v3, vcc_lo, v11, v5, vcc_lo
	s_delay_alu instid0(VALU_DEP_3) | instskip(NEXT) | instid1(VALU_DEP_3)
	v_add_co_u32 v1, vcc_lo, v2, v1
	v_lshl_add_u32 v0, v13, 2, v0
	s_delay_alu instid0(VALU_DEP_3) | instskip(NEXT) | instid1(VALU_DEP_3)
	v_add_co_ci_u32_e32 v2, vcc_lo, 0, v3, vcc_lo
	v_add_co_u32 v6, vcc_lo, s2, v1
	s_delay_alu instid0(VALU_DEP_3) | instskip(NEXT) | instid1(VALU_DEP_3)
	v_add3_u32 v16, v0, v15, 0
	v_add_co_ci_u32_e32 v7, vcc_lo, s3, v2, vcc_lo
	v_max_f32_e64 v17, s6, s6
	v_max_f32_e64 v18, s7, s7
	s_mov_b32 s5, 0
	s_branch .LBB11_33
.LBB11_31:                              ;   in Loop: Header=BB11_33 Depth=1
	s_or_b32 exec_lo, exec_lo, s10
.LBB11_32:                              ;   in Loop: Header=BB11_33 Depth=1
	s_delay_alu instid0(SALU_CYCLE_1)
	s_or_b32 exec_lo, exec_lo, s0
	v_lshlrev_b32_e32 v2, 16, v2
	v_lshlrev_b32_e32 v0, 8, v0
	v_and_b32_e32 v3, 0xff, v20
	v_add_nc_u32_e32 v19, 16, v19
	v_add_nc_u32_e32 v16, 0x100, v16
	v_perm_b32 v1, v1, v2, 0x4020c0c
	v_and_b32_e32 v0, 0xff00, v0
	s_delay_alu instid0(VALU_DEP_4) | instskip(NEXT) | instid1(VALU_DEP_2)
	v_cmp_ge_i32_e32 vcc_lo, v19, v14
	v_or3_b32 v0, v1, v0, v3
	s_or_b32 s5, vcc_lo, s5
	global_store_b32 v[6:7], v0, off
	v_add_co_u32 v6, s0, v6, 64
	s_delay_alu instid0(VALU_DEP_1)
	v_add_co_ci_u32_e64 v7, s0, 0, v7, s0
	s_and_not1_b32 exec_lo, exec_lo, s5
	s_cbranch_execz .LBB11_64
.LBB11_33:                              ; =>This Inner Loop Header: Depth=1
	ds_load_b128 v[0:3], v16
	s_mov_b32 s0, exec_lo
	s_waitcnt lgkmcnt(0)
	v_div_scale_f32 v20, null, v8, v8, v0
	v_div_scale_f32 v23, vcc_lo, v0, v8, v0
	s_delay_alu instid0(VALU_DEP_2) | instskip(SKIP_2) | instid1(VALU_DEP_1)
	v_rcp_f32_e32 v21, v20
	s_waitcnt_depctr 0xfff
	v_fma_f32 v22, -v20, v21, 1.0
	v_fmac_f32_e32 v21, v22, v21
	s_delay_alu instid0(VALU_DEP_1) | instskip(NEXT) | instid1(VALU_DEP_1)
	v_mul_f32_e32 v22, v23, v21
	v_fma_f32 v24, -v20, v22, v23
	s_delay_alu instid0(VALU_DEP_1) | instskip(NEXT) | instid1(VALU_DEP_1)
	v_fmac_f32_e32 v22, v24, v21
	v_fma_f32 v20, -v20, v22, v23
	s_delay_alu instid0(VALU_DEP_1) | instskip(NEXT) | instid1(VALU_DEP_1)
	v_div_fmas_f32 v20, v20, v21, v22
	v_div_fixup_f32 v0, v20, v8, v0
	v_mov_b32_e32 v20, 0x80
	s_delay_alu instid0(VALU_DEP_2) | instskip(SKIP_1) | instid1(VALU_DEP_2)
	v_maxmin_f32 v21, v0, v17, v18
	v_mov_b32_e32 v0, 0x80
	v_and_b32_e32 v22, 0x7fffffff, v21
	s_delay_alu instid0(VALU_DEP_1)
	v_cmpx_gt_u32_e32 0x43800000, v22
	s_cbranch_execz .LBB11_39
; %bb.34:                               ;   in Loop: Header=BB11_33 Depth=1
	v_cmp_lt_u32_e32 vcc_lo, 0x3bffffff, v22
	s_mov_b32 s9, 0
                                        ; implicit-def: $vgpr22
	s_and_saveexec_b32 s10, vcc_lo
	s_delay_alu instid0(SALU_CYCLE_1)
	s_xor_b32 s10, exec_lo, s10
	s_cbranch_execnz .LBB11_55
; %bb.35:                               ;   in Loop: Header=BB11_33 Depth=1
	s_or_saveexec_b32 s10, s10
                                        ; implicit-def: $sgpr11
	s_delay_alu instid0(SALU_CYCLE_1)
	s_xor_b32 exec_lo, exec_lo, s10
	s_cbranch_execnz .LBB11_56
.LBB11_36:                              ;   in Loop: Header=BB11_33 Depth=1
	s_or_b32 exec_lo, exec_lo, s10
	v_mov_b32_e32 v20, s11
	s_and_saveexec_b32 s10, s9
.LBB11_37:                              ;   in Loop: Header=BB11_33 Depth=1
	v_lshrrev_b32_e32 v20, 24, v21
	s_delay_alu instid0(VALU_DEP_1)
	v_and_or_b32 v20, 0x80, v20, v22
.LBB11_38:                              ;   in Loop: Header=BB11_33 Depth=1
	s_or_b32 exec_lo, exec_lo, s10
.LBB11_39:                              ;   in Loop: Header=BB11_33 Depth=1
	s_delay_alu instid0(SALU_CYCLE_1) | instskip(SKIP_2) | instid1(VALU_DEP_1)
	s_or_b32 exec_lo, exec_lo, s0
	v_div_scale_f32 v21, null, v8, v8, v1
	s_mov_b32 s0, exec_lo
	v_rcp_f32_e32 v22, v21
	s_waitcnt_depctr 0xfff
	v_fma_f32 v23, -v21, v22, 1.0
	s_delay_alu instid0(VALU_DEP_1) | instskip(SKIP_1) | instid1(VALU_DEP_1)
	v_fmac_f32_e32 v22, v23, v22
	v_div_scale_f32 v23, vcc_lo, v1, v8, v1
	v_mul_f32_e32 v24, v23, v22
	s_delay_alu instid0(VALU_DEP_1) | instskip(NEXT) | instid1(VALU_DEP_1)
	v_fma_f32 v25, -v21, v24, v23
	v_fmac_f32_e32 v24, v25, v22
	s_delay_alu instid0(VALU_DEP_1) | instskip(NEXT) | instid1(VALU_DEP_1)
	v_fma_f32 v21, -v21, v24, v23
	v_div_fmas_f32 v21, v21, v22, v24
	s_delay_alu instid0(VALU_DEP_1) | instskip(NEXT) | instid1(VALU_DEP_1)
	v_div_fixup_f32 v1, v21, v8, v1
	v_maxmin_f32 v1, v1, v17, v18
	s_delay_alu instid0(VALU_DEP_1) | instskip(NEXT) | instid1(VALU_DEP_1)
	v_and_b32_e32 v21, 0x7fffffff, v1
	v_cmpx_gt_u32_e32 0x43800000, v21
	s_cbranch_execz .LBB11_45
; %bb.40:                               ;   in Loop: Header=BB11_33 Depth=1
	v_cmp_lt_u32_e32 vcc_lo, 0x3bffffff, v21
	s_mov_b32 s9, 0
                                        ; implicit-def: $vgpr21
	s_and_saveexec_b32 s10, vcc_lo
	s_delay_alu instid0(SALU_CYCLE_1)
	s_xor_b32 s10, exec_lo, s10
	s_cbranch_execnz .LBB11_57
; %bb.41:                               ;   in Loop: Header=BB11_33 Depth=1
	s_or_saveexec_b32 s10, s10
                                        ; implicit-def: $sgpr11
	s_delay_alu instid0(SALU_CYCLE_1)
	s_xor_b32 exec_lo, exec_lo, s10
	s_cbranch_execnz .LBB11_58
.LBB11_42:                              ;   in Loop: Header=BB11_33 Depth=1
	s_or_b32 exec_lo, exec_lo, s10
	v_mov_b32_e32 v0, s11
	s_and_saveexec_b32 s10, s9
.LBB11_43:                              ;   in Loop: Header=BB11_33 Depth=1
	v_lshrrev_b32_e32 v0, 24, v1
	s_delay_alu instid0(VALU_DEP_1)
	v_and_or_b32 v0, 0x80, v0, v21
.LBB11_44:                              ;   in Loop: Header=BB11_33 Depth=1
	s_or_b32 exec_lo, exec_lo, s10
.LBB11_45:                              ;   in Loop: Header=BB11_33 Depth=1
	s_delay_alu instid0(SALU_CYCLE_1) | instskip(SKIP_3) | instid1(VALU_DEP_2)
	s_or_b32 exec_lo, exec_lo, s0
	v_div_scale_f32 v1, null, v8, v8, v2
	v_div_scale_f32 v23, vcc_lo, v2, v8, v2
	s_mov_b32 s0, exec_lo
	v_rcp_f32_e32 v21, v1
	s_waitcnt_depctr 0xfff
	v_fma_f32 v22, -v1, v21, 1.0
	s_delay_alu instid0(VALU_DEP_1) | instskip(NEXT) | instid1(VALU_DEP_1)
	v_fmac_f32_e32 v21, v22, v21
	v_mul_f32_e32 v22, v23, v21
	s_delay_alu instid0(VALU_DEP_1) | instskip(NEXT) | instid1(VALU_DEP_1)
	v_fma_f32 v24, -v1, v22, v23
	v_fmac_f32_e32 v22, v24, v21
	s_delay_alu instid0(VALU_DEP_1) | instskip(NEXT) | instid1(VALU_DEP_1)
	v_fma_f32 v1, -v1, v22, v23
	v_div_fmas_f32 v1, v1, v21, v22
	s_delay_alu instid0(VALU_DEP_1) | instskip(SKIP_1) | instid1(VALU_DEP_2)
	v_div_fixup_f32 v1, v1, v8, v2
	v_mov_b32_e32 v2, 0x80
	v_maxmin_f32 v21, v1, v17, v18
	v_mov_b32_e32 v1, 0x80
	s_delay_alu instid0(VALU_DEP_2) | instskip(NEXT) | instid1(VALU_DEP_1)
	v_and_b32_e32 v22, 0x7fffffff, v21
	v_cmpx_gt_u32_e32 0x43800000, v22
	s_cbranch_execz .LBB11_51
; %bb.46:                               ;   in Loop: Header=BB11_33 Depth=1
	v_cmp_lt_u32_e32 vcc_lo, 0x3bffffff, v22
	s_mov_b32 s9, 0
                                        ; implicit-def: $vgpr22
	s_and_saveexec_b32 s10, vcc_lo
	s_delay_alu instid0(SALU_CYCLE_1)
	s_xor_b32 s10, exec_lo, s10
	s_cbranch_execnz .LBB11_59
; %bb.47:                               ;   in Loop: Header=BB11_33 Depth=1
	s_or_saveexec_b32 s10, s10
                                        ; implicit-def: $sgpr11
	s_delay_alu instid0(SALU_CYCLE_1)
	s_xor_b32 exec_lo, exec_lo, s10
	s_cbranch_execnz .LBB11_60
.LBB11_48:                              ;   in Loop: Header=BB11_33 Depth=1
	s_or_b32 exec_lo, exec_lo, s10
	v_mov_b32_e32 v2, s11
	s_and_saveexec_b32 s10, s9
.LBB11_49:                              ;   in Loop: Header=BB11_33 Depth=1
	v_lshrrev_b32_e32 v2, 24, v21
	s_delay_alu instid0(VALU_DEP_1)
	v_and_or_b32 v2, 0x80, v2, v22
.LBB11_50:                              ;   in Loop: Header=BB11_33 Depth=1
	s_or_b32 exec_lo, exec_lo, s10
.LBB11_51:                              ;   in Loop: Header=BB11_33 Depth=1
	s_delay_alu instid0(SALU_CYCLE_1) | instskip(SKIP_2) | instid1(VALU_DEP_1)
	s_or_b32 exec_lo, exec_lo, s0
	v_div_scale_f32 v21, null, v8, v8, v3
	s_mov_b32 s0, exec_lo
	v_rcp_f32_e32 v22, v21
	s_waitcnt_depctr 0xfff
	v_fma_f32 v23, -v21, v22, 1.0
	s_delay_alu instid0(VALU_DEP_1) | instskip(SKIP_1) | instid1(VALU_DEP_1)
	v_fmac_f32_e32 v22, v23, v22
	v_div_scale_f32 v23, vcc_lo, v3, v8, v3
	v_mul_f32_e32 v24, v23, v22
	s_delay_alu instid0(VALU_DEP_1) | instskip(NEXT) | instid1(VALU_DEP_1)
	v_fma_f32 v25, -v21, v24, v23
	v_fmac_f32_e32 v24, v25, v22
	s_delay_alu instid0(VALU_DEP_1) | instskip(NEXT) | instid1(VALU_DEP_1)
	v_fma_f32 v21, -v21, v24, v23
	v_div_fmas_f32 v21, v21, v22, v24
	s_delay_alu instid0(VALU_DEP_1) | instskip(NEXT) | instid1(VALU_DEP_1)
	v_div_fixup_f32 v3, v21, v8, v3
	v_maxmin_f32 v3, v3, v17, v18
	s_delay_alu instid0(VALU_DEP_1) | instskip(NEXT) | instid1(VALU_DEP_1)
	v_and_b32_e32 v21, 0x7fffffff, v3
	v_cmpx_gt_u32_e32 0x43800000, v21
	s_cbranch_execz .LBB11_32
; %bb.52:                               ;   in Loop: Header=BB11_33 Depth=1
	v_cmp_lt_u32_e32 vcc_lo, 0x3bffffff, v21
	s_mov_b32 s9, 0
                                        ; implicit-def: $vgpr21
	s_and_saveexec_b32 s10, vcc_lo
	s_delay_alu instid0(SALU_CYCLE_1)
	s_xor_b32 s10, exec_lo, s10
	s_cbranch_execnz .LBB11_61
; %bb.53:                               ;   in Loop: Header=BB11_33 Depth=1
	s_or_saveexec_b32 s10, s10
                                        ; implicit-def: $sgpr11
	s_delay_alu instid0(SALU_CYCLE_1)
	s_xor_b32 exec_lo, exec_lo, s10
	s_cbranch_execnz .LBB11_62
.LBB11_54:                              ;   in Loop: Header=BB11_33 Depth=1
	s_or_b32 exec_lo, exec_lo, s10
	v_mov_b32_e32 v1, s11
	s_and_saveexec_b32 s10, s9
	s_cbranch_execz .LBB11_31
	s_branch .LBB11_63
.LBB11_55:                              ;   in Loop: Header=BB11_33 Depth=1
	v_bfe_u32 v20, v21, 20, 1
	s_mov_b32 s9, exec_lo
	s_delay_alu instid0(VALU_DEP_1) | instskip(NEXT) | instid1(VALU_DEP_1)
	v_add3_u32 v20, v21, v20, 0x487ffff
	v_lshrrev_b32_e32 v22, 20, v20
	s_or_saveexec_b32 s10, s10
                                        ; implicit-def: $sgpr11
	s_delay_alu instid0(SALU_CYCLE_1)
	s_xor_b32 exec_lo, exec_lo, s10
	s_cbranch_execz .LBB11_36
.LBB11_56:                              ;   in Loop: Header=BB11_33 Depth=1
	v_add_f32_e64 v20, 0x46000000, |v21|
	s_and_not1_b32 s9, s9, exec_lo
	s_mov_b32 s11, 0
	s_delay_alu instid0(VALU_DEP_1) | instskip(NEXT) | instid1(VALU_DEP_1)
	v_and_b32_e32 v22, 0xff, v20
	v_cmp_ne_u32_e32 vcc_lo, 0, v22
	s_and_b32 s12, vcc_lo, exec_lo
	s_delay_alu instid0(SALU_CYCLE_1)
	s_or_b32 s9, s9, s12
	s_or_b32 exec_lo, exec_lo, s10
	v_mov_b32_e32 v20, s11
	s_and_saveexec_b32 s10, s9
	s_cbranch_execnz .LBB11_37
	s_branch .LBB11_38
.LBB11_57:                              ;   in Loop: Header=BB11_33 Depth=1
	v_bfe_u32 v0, v1, 20, 1
	s_mov_b32 s9, exec_lo
	s_delay_alu instid0(VALU_DEP_1) | instskip(NEXT) | instid1(VALU_DEP_1)
	v_add3_u32 v0, v1, v0, 0x487ffff
	v_lshrrev_b32_e32 v21, 20, v0
	s_or_saveexec_b32 s10, s10
                                        ; implicit-def: $sgpr11
	s_delay_alu instid0(SALU_CYCLE_1)
	s_xor_b32 exec_lo, exec_lo, s10
	s_cbranch_execz .LBB11_42
.LBB11_58:                              ;   in Loop: Header=BB11_33 Depth=1
	v_add_f32_e64 v0, 0x46000000, |v1|
	s_and_not1_b32 s9, s9, exec_lo
	s_mov_b32 s11, 0
	s_delay_alu instid0(VALU_DEP_1) | instskip(NEXT) | instid1(VALU_DEP_1)
	v_and_b32_e32 v21, 0xff, v0
	v_cmp_ne_u32_e32 vcc_lo, 0, v21
	s_and_b32 s12, vcc_lo, exec_lo
	s_delay_alu instid0(SALU_CYCLE_1)
	s_or_b32 s9, s9, s12
	s_or_b32 exec_lo, exec_lo, s10
	v_mov_b32_e32 v0, s11
	s_and_saveexec_b32 s10, s9
	s_cbranch_execnz .LBB11_43
	s_branch .LBB11_44
.LBB11_59:                              ;   in Loop: Header=BB11_33 Depth=1
	v_bfe_u32 v2, v21, 20, 1
	s_mov_b32 s9, exec_lo
	s_delay_alu instid0(VALU_DEP_1) | instskip(NEXT) | instid1(VALU_DEP_1)
	v_add3_u32 v2, v21, v2, 0x487ffff
	v_lshrrev_b32_e32 v22, 20, v2
	s_or_saveexec_b32 s10, s10
                                        ; implicit-def: $sgpr11
	s_delay_alu instid0(SALU_CYCLE_1)
	s_xor_b32 exec_lo, exec_lo, s10
	s_cbranch_execz .LBB11_48
.LBB11_60:                              ;   in Loop: Header=BB11_33 Depth=1
	v_add_f32_e64 v2, 0x46000000, |v21|
	s_and_not1_b32 s9, s9, exec_lo
	s_mov_b32 s11, 0
	s_delay_alu instid0(VALU_DEP_1) | instskip(NEXT) | instid1(VALU_DEP_1)
	v_and_b32_e32 v22, 0xff, v2
	v_cmp_ne_u32_e32 vcc_lo, 0, v22
	s_and_b32 s12, vcc_lo, exec_lo
	s_delay_alu instid0(SALU_CYCLE_1)
	s_or_b32 s9, s9, s12
	s_or_b32 exec_lo, exec_lo, s10
	v_mov_b32_e32 v2, s11
	s_and_saveexec_b32 s10, s9
	s_cbranch_execnz .LBB11_49
	s_branch .LBB11_50
.LBB11_61:                              ;   in Loop: Header=BB11_33 Depth=1
	v_bfe_u32 v1, v3, 20, 1
	s_mov_b32 s9, exec_lo
	s_delay_alu instid0(VALU_DEP_1) | instskip(NEXT) | instid1(VALU_DEP_1)
	v_add3_u32 v1, v3, v1, 0x487ffff
	v_lshrrev_b32_e32 v21, 20, v1
	s_or_saveexec_b32 s10, s10
                                        ; implicit-def: $sgpr11
	s_delay_alu instid0(SALU_CYCLE_1)
	s_xor_b32 exec_lo, exec_lo, s10
	s_cbranch_execz .LBB11_54
.LBB11_62:                              ;   in Loop: Header=BB11_33 Depth=1
	v_add_f32_e64 v1, 0x46000000, |v3|
	s_and_not1_b32 s9, s9, exec_lo
	s_mov_b32 s11, 0
	s_delay_alu instid0(VALU_DEP_1) | instskip(NEXT) | instid1(VALU_DEP_1)
	v_and_b32_e32 v21, 0xff, v1
	v_cmp_ne_u32_e32 vcc_lo, 0, v21
	s_and_b32 s12, vcc_lo, exec_lo
	s_delay_alu instid0(SALU_CYCLE_1)
	s_or_b32 s9, s9, s12
	s_or_b32 exec_lo, exec_lo, s10
	v_mov_b32_e32 v1, s11
	s_and_saveexec_b32 s10, s9
	s_cbranch_execz .LBB11_31
.LBB11_63:                              ;   in Loop: Header=BB11_33 Depth=1
	v_lshrrev_b32_e32 v1, 24, v3
	s_delay_alu instid0(VALU_DEP_1)
	v_and_or_b32 v1, 0x80, v1, v21
	s_branch .LBB11_31
.LBB11_64:
	s_or_b32 exec_lo, exec_lo, s4
	v_lshl_add_u32 v2, v14, 2, v12
	s_mov_b32 s4, exec_lo
	s_delay_alu instid0(VALU_DEP_1)
	v_cmpx_lt_i32_e64 v2, v9
	s_cbranch_execz .LBB11_75
; %bb.65:
	v_lshlrev_b32_e32 v0, 2, v13
	v_lshlrev_b32_e32 v1, 4, v14
	s_mov_b32 s5, 0
	s_delay_alu instid0(VALU_DEP_1) | instskip(SKIP_4) | instid1(VALU_DEP_4)
	v_add3_u32 v0, v0, v1, v15
	v_add_co_u32 v1, vcc_lo, v10, v4
	v_add_co_ci_u32_e32 v3, vcc_lo, v11, v5, vcc_lo
	v_ashrrev_i32_e32 v4, 31, v2
	v_lshlrev_b32_e32 v5, 2, v12
	v_add_co_u32 v1, vcc_lo, v1, v2
	s_delay_alu instid0(VALU_DEP_3) | instskip(NEXT) | instid1(VALU_DEP_3)
	v_add_co_ci_u32_e32 v4, vcc_lo, v3, v4, vcc_lo
	v_add3_u32 v3, v0, v5, 0
	s_delay_alu instid0(VALU_DEP_3) | instskip(NEXT) | instid1(VALU_DEP_3)
	v_add_co_u32 v0, vcc_lo, s2, v1
	v_add_co_ci_u32_e32 v1, vcc_lo, s3, v4, vcc_lo
	v_max_f32_e64 v4, s6, s6
	v_max_f32_e64 v5, s7, s7
	s_branch .LBB11_68
.LBB11_66:                              ;   in Loop: Header=BB11_68 Depth=1
	s_or_b32 exec_lo, exec_lo, s10
.LBB11_67:                              ;   in Loop: Header=BB11_68 Depth=1
	s_delay_alu instid0(SALU_CYCLE_1)
	s_or_b32 exec_lo, exec_lo, s0
	v_add_nc_u32_e32 v2, 16, v2
	global_store_b8 v[0:1], v10, off
	v_add_co_u32 v0, s0, v0, 16
	v_add_nc_u32_e32 v3, 64, v3
	v_cmp_ge_i32_e32 vcc_lo, v2, v9
	v_add_co_ci_u32_e64 v1, s0, 0, v1, s0
	s_or_b32 s5, vcc_lo, s5
	s_delay_alu instid0(SALU_CYCLE_1)
	s_and_not1_b32 exec_lo, exec_lo, s5
	s_cbranch_execz .LBB11_75
.LBB11_68:                              ; =>This Inner Loop Header: Depth=1
	ds_load_b32 v6, v3
	s_mov_b32 s0, exec_lo
	s_waitcnt lgkmcnt(0)
	v_div_scale_f32 v7, null, v8, v8, v6
	v_div_scale_f32 v12, vcc_lo, v6, v8, v6
	s_delay_alu instid0(VALU_DEP_2) | instskip(SKIP_2) | instid1(VALU_DEP_1)
	v_rcp_f32_e32 v10, v7
	s_waitcnt_depctr 0xfff
	v_fma_f32 v11, -v7, v10, 1.0
	v_fmac_f32_e32 v10, v11, v10
	s_delay_alu instid0(VALU_DEP_1) | instskip(NEXT) | instid1(VALU_DEP_1)
	v_mul_f32_e32 v11, v12, v10
	v_fma_f32 v13, -v7, v11, v12
	s_delay_alu instid0(VALU_DEP_1) | instskip(NEXT) | instid1(VALU_DEP_1)
	v_fmac_f32_e32 v11, v13, v10
	v_fma_f32 v7, -v7, v11, v12
	s_delay_alu instid0(VALU_DEP_1) | instskip(SKIP_1) | instid1(VALU_DEP_2)
	v_div_fmas_f32 v7, v7, v10, v11
	v_mov_b32_e32 v10, 0x80
	v_div_fixup_f32 v6, v7, v8, v6
	s_delay_alu instid0(VALU_DEP_1) | instskip(NEXT) | instid1(VALU_DEP_1)
	v_maxmin_f32 v6, v6, v4, v5
	v_and_b32_e32 v7, 0x7fffffff, v6
	s_delay_alu instid0(VALU_DEP_1)
	v_cmpx_gt_u32_e32 0x43800000, v7
	s_cbranch_execz .LBB11_67
; %bb.69:                               ;   in Loop: Header=BB11_68 Depth=1
	v_cmp_lt_u32_e32 vcc_lo, 0x3bffffff, v7
	s_mov_b32 s9, 0
                                        ; implicit-def: $vgpr7
	s_and_saveexec_b32 s10, vcc_lo
	s_delay_alu instid0(SALU_CYCLE_1)
	s_xor_b32 s10, exec_lo, s10
	s_cbranch_execnz .LBB11_72
; %bb.70:                               ;   in Loop: Header=BB11_68 Depth=1
	s_or_saveexec_b32 s10, s10
                                        ; implicit-def: $sgpr11
	s_delay_alu instid0(SALU_CYCLE_1)
	s_xor_b32 exec_lo, exec_lo, s10
	s_cbranch_execnz .LBB11_73
.LBB11_71:                              ;   in Loop: Header=BB11_68 Depth=1
	s_or_b32 exec_lo, exec_lo, s10
	v_mov_b32_e32 v10, s11
	s_and_saveexec_b32 s10, s9
	s_cbranch_execz .LBB11_66
	s_branch .LBB11_74
.LBB11_72:                              ;   in Loop: Header=BB11_68 Depth=1
	v_bfe_u32 v7, v6, 20, 1
	s_mov_b32 s9, exec_lo
	s_delay_alu instid0(VALU_DEP_1) | instskip(NEXT) | instid1(VALU_DEP_1)
	v_add3_u32 v7, v6, v7, 0x487ffff
	v_lshrrev_b32_e32 v7, 20, v7
	s_or_saveexec_b32 s10, s10
                                        ; implicit-def: $sgpr11
	s_delay_alu instid0(SALU_CYCLE_1)
	s_xor_b32 exec_lo, exec_lo, s10
	s_cbranch_execz .LBB11_71
.LBB11_73:                              ;   in Loop: Header=BB11_68 Depth=1
	v_add_f32_e64 v7, 0x46000000, |v6|
	s_and_not1_b32 s9, s9, exec_lo
	s_mov_b32 s11, 0
	s_delay_alu instid0(VALU_DEP_1) | instskip(NEXT) | instid1(VALU_DEP_1)
	v_and_b32_e32 v7, 0xff, v7
	v_cmp_ne_u32_e32 vcc_lo, 0, v7
	s_and_b32 s12, vcc_lo, exec_lo
	s_delay_alu instid0(SALU_CYCLE_1)
	s_or_b32 s9, s9, s12
	s_or_b32 exec_lo, exec_lo, s10
	v_mov_b32_e32 v10, s11
	s_and_saveexec_b32 s10, s9
	s_cbranch_execz .LBB11_66
.LBB11_74:                              ;   in Loop: Header=BB11_68 Depth=1
	v_lshrrev_b32_e32 v6, 24, v6
	s_delay_alu instid0(VALU_DEP_1)
	v_and_or_b32 v10, 0x80, v6, v7
	s_branch .LBB11_66
.LBB11_75:
	s_or_b32 exec_lo, exec_lo, s4
                                        ; implicit-def: $vgpr12
                                        ; implicit-def: $vgpr8
                                        ; implicit-def: $vgpr13
                                        ; implicit-def: $vgpr4_vgpr5
.LBB11_76:
	s_and_not1_saveexec_b32 s0, s1
	s_cbranch_execz .LBB11_112
; %bb.77:
	s_ashr_i32 s1, s8, 2
	s_mov_b32 s0, exec_lo
	v_cmpx_gt_i32_e64 s1, v12
	s_cbranch_execz .LBB11_112
; %bb.78:
	v_lshlrev_b32_e32 v0, 2, v12
	v_lshlrev_b32_e32 v1, 2, v13
	;; [unrolled: 1-line block ×3, first 2 shown]
	v_max_f32_e64 v7, s6, s6
	v_max_f32_e64 v9, s7, s7
	v_add_co_u32 v0, vcc_lo, v4, v0
	v_add_co_ci_u32_e32 v3, vcc_lo, 0, v5, vcc_lo
	v_add3_u32 v6, v1, v2, 0
	s_delay_alu instid0(VALU_DEP_3) | instskip(NEXT) | instid1(VALU_DEP_3)
	v_add_co_u32 v4, vcc_lo, s2, v0
	v_add_co_ci_u32_e32 v5, vcc_lo, s3, v3, vcc_lo
	s_mov_b32 s2, 0
	s_branch .LBB11_81
.LBB11_79:                              ;   in Loop: Header=BB11_81 Depth=1
	s_or_b32 exec_lo, exec_lo, s4
.LBB11_80:                              ;   in Loop: Header=BB11_81 Depth=1
	s_delay_alu instid0(SALU_CYCLE_1)
	s_or_b32 exec_lo, exec_lo, s0
	v_lshlrev_b32_e32 v2, 16, v2
	v_lshlrev_b32_e32 v0, 8, v0
	v_and_b32_e32 v3, 0xff, v10
	v_add_nc_u32_e32 v12, 16, v12
	v_add_nc_u32_e32 v6, 0x100, v6
	v_perm_b32 v1, v1, v2, 0x4020c0c
	v_and_b32_e32 v0, 0xff00, v0
	s_delay_alu instid0(VALU_DEP_4) | instskip(NEXT) | instid1(VALU_DEP_2)
	v_cmp_le_i32_e32 vcc_lo, s1, v12
	v_or3_b32 v0, v1, v0, v3
	s_or_b32 s2, vcc_lo, s2
	global_store_b32 v[4:5], v0, off
	v_add_co_u32 v4, s0, v4, 64
	s_delay_alu instid0(VALU_DEP_1)
	v_add_co_ci_u32_e64 v5, s0, 0, v5, s0
	s_and_not1_b32 exec_lo, exec_lo, s2
	s_cbranch_execz .LBB11_112
.LBB11_81:                              ; =>This Inner Loop Header: Depth=1
	ds_load_b128 v[0:3], v6
	s_mov_b32 s0, exec_lo
	s_waitcnt lgkmcnt(0)
	v_div_scale_f32 v10, null, v8, v8, v0
	v_div_scale_f32 v14, vcc_lo, v0, v8, v0
	s_delay_alu instid0(VALU_DEP_2) | instskip(SKIP_2) | instid1(VALU_DEP_1)
	v_rcp_f32_e32 v11, v10
	s_waitcnt_depctr 0xfff
	v_fma_f32 v13, -v10, v11, 1.0
	v_fmac_f32_e32 v11, v13, v11
	s_delay_alu instid0(VALU_DEP_1) | instskip(NEXT) | instid1(VALU_DEP_1)
	v_mul_f32_e32 v13, v14, v11
	v_fma_f32 v15, -v10, v13, v14
	s_delay_alu instid0(VALU_DEP_1) | instskip(NEXT) | instid1(VALU_DEP_1)
	v_fmac_f32_e32 v13, v15, v11
	v_fma_f32 v10, -v10, v13, v14
	s_delay_alu instid0(VALU_DEP_1) | instskip(NEXT) | instid1(VALU_DEP_1)
	v_div_fmas_f32 v10, v10, v11, v13
	v_div_fixup_f32 v0, v10, v8, v0
	v_mov_b32_e32 v10, 0x80
	s_delay_alu instid0(VALU_DEP_2) | instskip(SKIP_1) | instid1(VALU_DEP_2)
	v_maxmin_f32 v11, v0, v7, v9
	v_mov_b32_e32 v0, 0x80
	v_and_b32_e32 v13, 0x7fffffff, v11
	s_delay_alu instid0(VALU_DEP_1)
	v_cmpx_gt_u32_e32 0x43800000, v13
	s_cbranch_execz .LBB11_87
; %bb.82:                               ;   in Loop: Header=BB11_81 Depth=1
	v_cmp_lt_u32_e32 vcc_lo, 0x3bffffff, v13
	s_mov_b32 s3, 0
                                        ; implicit-def: $vgpr13
	s_and_saveexec_b32 s4, vcc_lo
	s_delay_alu instid0(SALU_CYCLE_1)
	s_xor_b32 s4, exec_lo, s4
	s_cbranch_execnz .LBB11_103
; %bb.83:                               ;   in Loop: Header=BB11_81 Depth=1
	s_or_saveexec_b32 s4, s4
                                        ; implicit-def: $sgpr5
	s_delay_alu instid0(SALU_CYCLE_1)
	s_xor_b32 exec_lo, exec_lo, s4
	s_cbranch_execnz .LBB11_104
.LBB11_84:                              ;   in Loop: Header=BB11_81 Depth=1
	s_or_b32 exec_lo, exec_lo, s4
	v_mov_b32_e32 v10, s5
	s_and_saveexec_b32 s4, s3
.LBB11_85:                              ;   in Loop: Header=BB11_81 Depth=1
	v_lshrrev_b32_e32 v10, 24, v11
	s_delay_alu instid0(VALU_DEP_1)
	v_and_or_b32 v10, 0x80, v10, v13
.LBB11_86:                              ;   in Loop: Header=BB11_81 Depth=1
	s_or_b32 exec_lo, exec_lo, s4
.LBB11_87:                              ;   in Loop: Header=BB11_81 Depth=1
	s_delay_alu instid0(SALU_CYCLE_1) | instskip(SKIP_2) | instid1(VALU_DEP_1)
	s_or_b32 exec_lo, exec_lo, s0
	v_div_scale_f32 v11, null, v8, v8, v1
	s_mov_b32 s0, exec_lo
	v_rcp_f32_e32 v13, v11
	s_waitcnt_depctr 0xfff
	v_fma_f32 v14, -v11, v13, 1.0
	s_delay_alu instid0(VALU_DEP_1) | instskip(SKIP_1) | instid1(VALU_DEP_1)
	v_fmac_f32_e32 v13, v14, v13
	v_div_scale_f32 v14, vcc_lo, v1, v8, v1
	v_mul_f32_e32 v15, v14, v13
	s_delay_alu instid0(VALU_DEP_1) | instskip(NEXT) | instid1(VALU_DEP_1)
	v_fma_f32 v16, -v11, v15, v14
	v_fmac_f32_e32 v15, v16, v13
	s_delay_alu instid0(VALU_DEP_1) | instskip(NEXT) | instid1(VALU_DEP_1)
	v_fma_f32 v11, -v11, v15, v14
	v_div_fmas_f32 v11, v11, v13, v15
	s_delay_alu instid0(VALU_DEP_1) | instskip(NEXT) | instid1(VALU_DEP_1)
	v_div_fixup_f32 v1, v11, v8, v1
	v_maxmin_f32 v1, v1, v7, v9
	s_delay_alu instid0(VALU_DEP_1) | instskip(NEXT) | instid1(VALU_DEP_1)
	v_and_b32_e32 v11, 0x7fffffff, v1
	v_cmpx_gt_u32_e32 0x43800000, v11
	s_cbranch_execz .LBB11_93
; %bb.88:                               ;   in Loop: Header=BB11_81 Depth=1
	v_cmp_lt_u32_e32 vcc_lo, 0x3bffffff, v11
	s_mov_b32 s3, 0
                                        ; implicit-def: $vgpr11
	s_and_saveexec_b32 s4, vcc_lo
	s_delay_alu instid0(SALU_CYCLE_1)
	s_xor_b32 s4, exec_lo, s4
	s_cbranch_execnz .LBB11_105
; %bb.89:                               ;   in Loop: Header=BB11_81 Depth=1
	s_or_saveexec_b32 s4, s4
                                        ; implicit-def: $sgpr5
	s_delay_alu instid0(SALU_CYCLE_1)
	s_xor_b32 exec_lo, exec_lo, s4
	s_cbranch_execnz .LBB11_106
.LBB11_90:                              ;   in Loop: Header=BB11_81 Depth=1
	s_or_b32 exec_lo, exec_lo, s4
	v_mov_b32_e32 v0, s5
	s_and_saveexec_b32 s4, s3
.LBB11_91:                              ;   in Loop: Header=BB11_81 Depth=1
	v_lshrrev_b32_e32 v0, 24, v1
	s_delay_alu instid0(VALU_DEP_1)
	v_and_or_b32 v0, 0x80, v0, v11
.LBB11_92:                              ;   in Loop: Header=BB11_81 Depth=1
	s_or_b32 exec_lo, exec_lo, s4
.LBB11_93:                              ;   in Loop: Header=BB11_81 Depth=1
	s_delay_alu instid0(SALU_CYCLE_1) | instskip(SKIP_3) | instid1(VALU_DEP_2)
	s_or_b32 exec_lo, exec_lo, s0
	v_div_scale_f32 v1, null, v8, v8, v2
	v_div_scale_f32 v14, vcc_lo, v2, v8, v2
	s_mov_b32 s0, exec_lo
	v_rcp_f32_e32 v11, v1
	s_waitcnt_depctr 0xfff
	v_fma_f32 v13, -v1, v11, 1.0
	s_delay_alu instid0(VALU_DEP_1) | instskip(NEXT) | instid1(VALU_DEP_1)
	v_fmac_f32_e32 v11, v13, v11
	v_mul_f32_e32 v13, v14, v11
	s_delay_alu instid0(VALU_DEP_1) | instskip(NEXT) | instid1(VALU_DEP_1)
	v_fma_f32 v15, -v1, v13, v14
	v_fmac_f32_e32 v13, v15, v11
	s_delay_alu instid0(VALU_DEP_1) | instskip(NEXT) | instid1(VALU_DEP_1)
	v_fma_f32 v1, -v1, v13, v14
	v_div_fmas_f32 v1, v1, v11, v13
	s_delay_alu instid0(VALU_DEP_1) | instskip(SKIP_1) | instid1(VALU_DEP_2)
	v_div_fixup_f32 v1, v1, v8, v2
	v_mov_b32_e32 v2, 0x80
	v_maxmin_f32 v11, v1, v7, v9
	v_mov_b32_e32 v1, 0x80
	s_delay_alu instid0(VALU_DEP_2) | instskip(NEXT) | instid1(VALU_DEP_1)
	v_and_b32_e32 v13, 0x7fffffff, v11
	v_cmpx_gt_u32_e32 0x43800000, v13
	s_cbranch_execz .LBB11_99
; %bb.94:                               ;   in Loop: Header=BB11_81 Depth=1
	v_cmp_lt_u32_e32 vcc_lo, 0x3bffffff, v13
	s_mov_b32 s3, 0
                                        ; implicit-def: $vgpr13
	s_and_saveexec_b32 s4, vcc_lo
	s_delay_alu instid0(SALU_CYCLE_1)
	s_xor_b32 s4, exec_lo, s4
	s_cbranch_execnz .LBB11_107
; %bb.95:                               ;   in Loop: Header=BB11_81 Depth=1
	s_or_saveexec_b32 s4, s4
                                        ; implicit-def: $sgpr5
	s_delay_alu instid0(SALU_CYCLE_1)
	s_xor_b32 exec_lo, exec_lo, s4
	s_cbranch_execnz .LBB11_108
.LBB11_96:                              ;   in Loop: Header=BB11_81 Depth=1
	s_or_b32 exec_lo, exec_lo, s4
	v_mov_b32_e32 v2, s5
	s_and_saveexec_b32 s4, s3
.LBB11_97:                              ;   in Loop: Header=BB11_81 Depth=1
	v_lshrrev_b32_e32 v2, 24, v11
	s_delay_alu instid0(VALU_DEP_1)
	v_and_or_b32 v2, 0x80, v2, v13
.LBB11_98:                              ;   in Loop: Header=BB11_81 Depth=1
	s_or_b32 exec_lo, exec_lo, s4
.LBB11_99:                              ;   in Loop: Header=BB11_81 Depth=1
	s_delay_alu instid0(SALU_CYCLE_1) | instskip(SKIP_2) | instid1(VALU_DEP_1)
	s_or_b32 exec_lo, exec_lo, s0
	v_div_scale_f32 v11, null, v8, v8, v3
	s_mov_b32 s0, exec_lo
	v_rcp_f32_e32 v13, v11
	s_waitcnt_depctr 0xfff
	v_fma_f32 v14, -v11, v13, 1.0
	s_delay_alu instid0(VALU_DEP_1) | instskip(SKIP_1) | instid1(VALU_DEP_1)
	v_fmac_f32_e32 v13, v14, v13
	v_div_scale_f32 v14, vcc_lo, v3, v8, v3
	v_mul_f32_e32 v15, v14, v13
	s_delay_alu instid0(VALU_DEP_1) | instskip(NEXT) | instid1(VALU_DEP_1)
	v_fma_f32 v16, -v11, v15, v14
	v_fmac_f32_e32 v15, v16, v13
	s_delay_alu instid0(VALU_DEP_1) | instskip(NEXT) | instid1(VALU_DEP_1)
	v_fma_f32 v11, -v11, v15, v14
	v_div_fmas_f32 v11, v11, v13, v15
	s_delay_alu instid0(VALU_DEP_1) | instskip(NEXT) | instid1(VALU_DEP_1)
	v_div_fixup_f32 v3, v11, v8, v3
	v_maxmin_f32 v3, v3, v7, v9
	s_delay_alu instid0(VALU_DEP_1) | instskip(NEXT) | instid1(VALU_DEP_1)
	v_and_b32_e32 v11, 0x7fffffff, v3
	v_cmpx_gt_u32_e32 0x43800000, v11
	s_cbranch_execz .LBB11_80
; %bb.100:                              ;   in Loop: Header=BB11_81 Depth=1
	v_cmp_lt_u32_e32 vcc_lo, 0x3bffffff, v11
	s_mov_b32 s3, 0
                                        ; implicit-def: $vgpr11
	s_and_saveexec_b32 s4, vcc_lo
	s_delay_alu instid0(SALU_CYCLE_1)
	s_xor_b32 s4, exec_lo, s4
	s_cbranch_execnz .LBB11_109
; %bb.101:                              ;   in Loop: Header=BB11_81 Depth=1
	s_or_saveexec_b32 s4, s4
                                        ; implicit-def: $sgpr5
	s_delay_alu instid0(SALU_CYCLE_1)
	s_xor_b32 exec_lo, exec_lo, s4
	s_cbranch_execnz .LBB11_110
.LBB11_102:                             ;   in Loop: Header=BB11_81 Depth=1
	s_or_b32 exec_lo, exec_lo, s4
	v_mov_b32_e32 v1, s5
	s_and_saveexec_b32 s4, s3
	s_cbranch_execz .LBB11_79
	s_branch .LBB11_111
.LBB11_103:                             ;   in Loop: Header=BB11_81 Depth=1
	v_bfe_u32 v10, v11, 20, 1
	s_mov_b32 s3, exec_lo
	s_delay_alu instid0(VALU_DEP_1) | instskip(NEXT) | instid1(VALU_DEP_1)
	v_add3_u32 v10, v11, v10, 0x487ffff
	v_lshrrev_b32_e32 v13, 20, v10
	s_or_saveexec_b32 s4, s4
                                        ; implicit-def: $sgpr5
	s_delay_alu instid0(SALU_CYCLE_1)
	s_xor_b32 exec_lo, exec_lo, s4
	s_cbranch_execz .LBB11_84
.LBB11_104:                             ;   in Loop: Header=BB11_81 Depth=1
	v_add_f32_e64 v10, 0x46000000, |v11|
	s_and_not1_b32 s3, s3, exec_lo
	s_mov_b32 s5, 0
	s_delay_alu instid0(VALU_DEP_1) | instskip(NEXT) | instid1(VALU_DEP_1)
	v_and_b32_e32 v13, 0xff, v10
	v_cmp_ne_u32_e32 vcc_lo, 0, v13
	s_and_b32 s6, vcc_lo, exec_lo
	s_delay_alu instid0(SALU_CYCLE_1)
	s_or_b32 s3, s3, s6
	s_or_b32 exec_lo, exec_lo, s4
	v_mov_b32_e32 v10, s5
	s_and_saveexec_b32 s4, s3
	s_cbranch_execnz .LBB11_85
	s_branch .LBB11_86
.LBB11_105:                             ;   in Loop: Header=BB11_81 Depth=1
	v_bfe_u32 v0, v1, 20, 1
	s_mov_b32 s3, exec_lo
	s_delay_alu instid0(VALU_DEP_1) | instskip(NEXT) | instid1(VALU_DEP_1)
	v_add3_u32 v0, v1, v0, 0x487ffff
	v_lshrrev_b32_e32 v11, 20, v0
	s_or_saveexec_b32 s4, s4
                                        ; implicit-def: $sgpr5
	s_delay_alu instid0(SALU_CYCLE_1)
	s_xor_b32 exec_lo, exec_lo, s4
	s_cbranch_execz .LBB11_90
.LBB11_106:                             ;   in Loop: Header=BB11_81 Depth=1
	v_add_f32_e64 v0, 0x46000000, |v1|
	s_and_not1_b32 s3, s3, exec_lo
	s_mov_b32 s5, 0
	s_delay_alu instid0(VALU_DEP_1) | instskip(NEXT) | instid1(VALU_DEP_1)
	v_and_b32_e32 v11, 0xff, v0
	v_cmp_ne_u32_e32 vcc_lo, 0, v11
	s_and_b32 s6, vcc_lo, exec_lo
	s_delay_alu instid0(SALU_CYCLE_1)
	s_or_b32 s3, s3, s6
	s_or_b32 exec_lo, exec_lo, s4
	v_mov_b32_e32 v0, s5
	s_and_saveexec_b32 s4, s3
	s_cbranch_execnz .LBB11_91
	s_branch .LBB11_92
.LBB11_107:                             ;   in Loop: Header=BB11_81 Depth=1
	v_bfe_u32 v2, v11, 20, 1
	s_mov_b32 s3, exec_lo
	s_delay_alu instid0(VALU_DEP_1) | instskip(NEXT) | instid1(VALU_DEP_1)
	v_add3_u32 v2, v11, v2, 0x487ffff
	v_lshrrev_b32_e32 v13, 20, v2
	s_or_saveexec_b32 s4, s4
                                        ; implicit-def: $sgpr5
	s_delay_alu instid0(SALU_CYCLE_1)
	s_xor_b32 exec_lo, exec_lo, s4
	s_cbranch_execz .LBB11_96
.LBB11_108:                             ;   in Loop: Header=BB11_81 Depth=1
	v_add_f32_e64 v2, 0x46000000, |v11|
	s_and_not1_b32 s3, s3, exec_lo
	s_mov_b32 s5, 0
	s_delay_alu instid0(VALU_DEP_1) | instskip(NEXT) | instid1(VALU_DEP_1)
	v_and_b32_e32 v13, 0xff, v2
	v_cmp_ne_u32_e32 vcc_lo, 0, v13
	s_and_b32 s6, vcc_lo, exec_lo
	s_delay_alu instid0(SALU_CYCLE_1)
	s_or_b32 s3, s3, s6
	s_or_b32 exec_lo, exec_lo, s4
	v_mov_b32_e32 v2, s5
	s_and_saveexec_b32 s4, s3
	s_cbranch_execnz .LBB11_97
	s_branch .LBB11_98
.LBB11_109:                             ;   in Loop: Header=BB11_81 Depth=1
	v_bfe_u32 v1, v3, 20, 1
	s_mov_b32 s3, exec_lo
	s_delay_alu instid0(VALU_DEP_1) | instskip(NEXT) | instid1(VALU_DEP_1)
	v_add3_u32 v1, v3, v1, 0x487ffff
	v_lshrrev_b32_e32 v11, 20, v1
	s_or_saveexec_b32 s4, s4
                                        ; implicit-def: $sgpr5
	s_delay_alu instid0(SALU_CYCLE_1)
	s_xor_b32 exec_lo, exec_lo, s4
	s_cbranch_execz .LBB11_102
.LBB11_110:                             ;   in Loop: Header=BB11_81 Depth=1
	v_add_f32_e64 v1, 0x46000000, |v3|
	s_and_not1_b32 s3, s3, exec_lo
	s_mov_b32 s5, 0
	s_delay_alu instid0(VALU_DEP_1) | instskip(NEXT) | instid1(VALU_DEP_1)
	v_and_b32_e32 v11, 0xff, v1
	v_cmp_ne_u32_e32 vcc_lo, 0, v11
	s_and_b32 s6, vcc_lo, exec_lo
	s_delay_alu instid0(SALU_CYCLE_1)
	s_or_b32 s3, s3, s6
	s_or_b32 exec_lo, exec_lo, s4
	v_mov_b32_e32 v1, s5
	s_and_saveexec_b32 s4, s3
	s_cbranch_execz .LBB11_79
.LBB11_111:                             ;   in Loop: Header=BB11_81 Depth=1
	v_lshrrev_b32_e32 v1, 24, v3
	s_delay_alu instid0(VALU_DEP_1)
	v_and_or_b32 v1, 0x80, v1, v11
	s_branch .LBB11_79
.LBB11_112:
	s_nop 0
	s_sendmsg sendmsg(MSG_DEALLOC_VGPRS)
	s_endpgm
.LBB11_113:
	v_bfe_u32 v1, v0, 20, 1
	s_mov_b32 s5, exec_lo
	s_delay_alu instid0(VALU_DEP_1) | instskip(NEXT) | instid1(VALU_DEP_1)
	v_add3_u32 v1, v0, v1, 0x487ffff
	v_lshrrev_b32_e32 v1, 20, v1
	s_or_saveexec_b32 s9, s9
                                        ; implicit-def: $sgpr10
	s_delay_alu instid0(SALU_CYCLE_1)
	s_xor_b32 exec_lo, exec_lo, s9
	s_cbranch_execz .LBB11_25
.LBB11_114:
	v_add_f32_e64 v1, 0x46000000, |v0|
	s_and_not1_b32 s5, s5, exec_lo
	s_mov_b32 s10, 0
	s_delay_alu instid0(VALU_DEP_1) | instskip(NEXT) | instid1(VALU_DEP_1)
	v_and_b32_e32 v1, 0xff, v1
	v_cmp_ne_u32_e32 vcc_lo, 0, v1
	s_and_b32 s11, vcc_lo, exec_lo
	s_delay_alu instid0(SALU_CYCLE_1)
	s_or_b32 s5, s5, s11
	s_or_b32 exec_lo, exec_lo, s9
	v_mov_b32_e32 v2, s10
	s_and_saveexec_b32 s9, s5
	s_cbranch_execnz .LBB11_26
	s_branch .LBB11_27
	.section	.rodata,"a",@progbits
	.p2align	6, 0x0
	.amdhsa_kernel _Z33per_token_group_quant_8bit_kernelIfN3c1015Float8_e4m3fnuzELb0ELb0EfEvPKT_PvPT3_iiifffii
		.amdhsa_group_segment_fixed_size 0
		.amdhsa_private_segment_fixed_size 0
		.amdhsa_kernarg_size 56
		.amdhsa_user_sgpr_count 15
		.amdhsa_user_sgpr_dispatch_ptr 0
		.amdhsa_user_sgpr_queue_ptr 0
		.amdhsa_user_sgpr_kernarg_segment_ptr 1
		.amdhsa_user_sgpr_dispatch_id 0
		.amdhsa_user_sgpr_private_segment_size 0
		.amdhsa_wavefront_size32 1
		.amdhsa_uses_dynamic_stack 0
		.amdhsa_enable_private_segment 0
		.amdhsa_system_sgpr_workgroup_id_x 1
		.amdhsa_system_sgpr_workgroup_id_y 0
		.amdhsa_system_sgpr_workgroup_id_z 0
		.amdhsa_system_sgpr_workgroup_info 0
		.amdhsa_system_vgpr_workitem_id 0
		.amdhsa_next_free_vgpr 26
		.amdhsa_next_free_sgpr 16
		.amdhsa_reserve_vcc 1
		.amdhsa_float_round_mode_32 0
		.amdhsa_float_round_mode_16_64 0
		.amdhsa_float_denorm_mode_32 3
		.amdhsa_float_denorm_mode_16_64 3
		.amdhsa_dx10_clamp 1
		.amdhsa_ieee_mode 1
		.amdhsa_fp16_overflow 0
		.amdhsa_workgroup_processor_mode 1
		.amdhsa_memory_ordered 1
		.amdhsa_forward_progress 0
		.amdhsa_shared_vgpr_count 0
		.amdhsa_exception_fp_ieee_invalid_op 0
		.amdhsa_exception_fp_denorm_src 0
		.amdhsa_exception_fp_ieee_div_zero 0
		.amdhsa_exception_fp_ieee_overflow 0
		.amdhsa_exception_fp_ieee_underflow 0
		.amdhsa_exception_fp_ieee_inexact 0
		.amdhsa_exception_int_div_zero 0
	.end_amdhsa_kernel
	.section	.text._Z33per_token_group_quant_8bit_kernelIfN3c1015Float8_e4m3fnuzELb0ELb0EfEvPKT_PvPT3_iiifffii,"axG",@progbits,_Z33per_token_group_quant_8bit_kernelIfN3c1015Float8_e4m3fnuzELb0ELb0EfEvPKT_PvPT3_iiifffii,comdat
.Lfunc_end11:
	.size	_Z33per_token_group_quant_8bit_kernelIfN3c1015Float8_e4m3fnuzELb0ELb0EfEvPKT_PvPT3_iiifffii, .Lfunc_end11-_Z33per_token_group_quant_8bit_kernelIfN3c1015Float8_e4m3fnuzELb0ELb0EfEvPKT_PvPT3_iiifffii
                                        ; -- End function
	.section	.AMDGPU.csdata,"",@progbits
; Kernel info:
; codeLenInByte = 5656
; NumSgprs: 18
; NumVgprs: 26
; ScratchSize: 0
; MemoryBound: 0
; FloatMode: 240
; IeeeMode: 1
; LDSByteSize: 0 bytes/workgroup (compile time only)
; SGPRBlocks: 2
; VGPRBlocks: 3
; NumSGPRsForWavesPerEU: 18
; NumVGPRsForWavesPerEU: 26
; Occupancy: 16
; WaveLimiterHint : 0
; COMPUTE_PGM_RSRC2:SCRATCH_EN: 0
; COMPUTE_PGM_RSRC2:USER_SGPR: 15
; COMPUTE_PGM_RSRC2:TRAP_HANDLER: 0
; COMPUTE_PGM_RSRC2:TGID_X_EN: 1
; COMPUTE_PGM_RSRC2:TGID_Y_EN: 0
; COMPUTE_PGM_RSRC2:TGID_Z_EN: 0
; COMPUTE_PGM_RSRC2:TIDIG_COMP_CNT: 0
	.section	.text._Z33per_token_group_quant_8bit_kernelIN3c104HalfEaLb1ELb1EfEvPKT_PvPT3_iiifffii,"axG",@progbits,_Z33per_token_group_quant_8bit_kernelIN3c104HalfEaLb1ELb1EfEvPKT_PvPT3_iiifffii,comdat
	.protected	_Z33per_token_group_quant_8bit_kernelIN3c104HalfEaLb1ELb1EfEvPKT_PvPT3_iiifffii ; -- Begin function _Z33per_token_group_quant_8bit_kernelIN3c104HalfEaLb1ELb1EfEvPKT_PvPT3_iiifffii
	.globl	_Z33per_token_group_quant_8bit_kernelIN3c104HalfEaLb1ELb1EfEvPKT_PvPT3_iiifffii
	.p2align	8
	.type	_Z33per_token_group_quant_8bit_kernelIN3c104HalfEaLb1ELb1EfEvPKT_PvPT3_iiifffii,@function
_Z33per_token_group_quant_8bit_kernelIN3c104HalfEaLb1ELb1EfEvPKT_PvPT3_iiifffii: ; @_Z33per_token_group_quant_8bit_kernelIN3c104HalfEaLb1ELb1EfEvPKT_PvPT3_iiifffii
; %bb.0:
	s_clause 0x1
	s_load_b128 s[8:11], s[0:1], 0x20
	s_load_b32 s14, s[0:1], 0x18
	v_lshrrev_b32_e32 v7, 4, v0
	s_load_b64 s[2:3], s[0:1], 0x30
	v_and_b32_e32 v9, 15, v0
                                        ; implicit-def: $vgpr13
	s_waitcnt lgkmcnt(0)
	s_mul_i32 s15, s15, s8
	s_ashr_i32 s6, s14, 31
	v_add_co_u32 v11, s4, s15, v7
	s_delay_alu instid0(VALU_DEP_1) | instskip(SKIP_1) | instid1(VALU_DEP_2)
	v_add_co_ci_u32_e64 v12, null, 0, 0, s4
	s_load_b64 s[4:5], s[0:1], 0x0
	v_mul_lo_u32 v4, v11, s6
	v_mad_u64_u32 v[1:2], null, v11, s14, 0
	s_delay_alu instid0(VALU_DEP_3) | instskip(SKIP_2) | instid1(SALU_CYCLE_1)
	v_mul_lo_u32 v3, v12, s14
	v_mul_lo_u32 v10, v7, s14
	s_and_b32 s6, s14, 7
	s_cmp_eq_u32 s6, 0
	s_cselect_b32 s15, -1, 0
	s_cmp_lg_u32 s6, 0
	s_delay_alu instid0(VALU_DEP_2) | instskip(NEXT) | instid1(VALU_DEP_2)
	v_add3_u32 v2, v2, v4, v3
	v_lshl_add_u32 v0, v10, 1, 0
	s_cselect_b32 s6, -1, 0
	s_delay_alu instid0(VALU_DEP_2) | instskip(SKIP_1) | instid1(VALU_DEP_1)
	v_lshlrev_b64 v[3:4], 1, v[1:2]
	s_waitcnt lgkmcnt(0)
	v_add_co_u32 v5, vcc_lo, s4, v3
	v_mov_b32_e32 v8, 0
	s_delay_alu instid0(VALU_DEP_3) | instskip(NEXT) | instid1(VALU_DEP_3)
	v_add_co_ci_u32_e32 v6, vcc_lo, s5, v4, vcc_lo
	v_and_b32_e32 v7, 15, v5
	s_delay_alu instid0(VALU_DEP_1) | instskip(SKIP_1) | instid1(SALU_CYCLE_1)
	v_cmp_ne_u64_e32 vcc_lo, 0, v[7:8]
	s_or_b32 s6, s6, vcc_lo
	s_and_saveexec_b32 s7, s6
	s_delay_alu instid0(SALU_CYCLE_1)
	s_xor_b32 s6, exec_lo, s7
	s_cbranch_execz .LBB12_12
; %bb.1:
	v_sub_nc_u32_e32 v7, 0, v5
	v_mov_b32_e32 v13, s9
	s_mov_b32 s7, exec_lo
	s_delay_alu instid0(VALU_DEP_2) | instskip(NEXT) | instid1(VALU_DEP_1)
	v_bfe_u32 v7, v7, 1, 3
	v_min_i32_e32 v7, s14, v7
	s_delay_alu instid0(VALU_DEP_1)
	v_cmpx_gt_i32_e64 v7, v9
	s_cbranch_execz .LBB12_3
; %bb.2:
	v_max_f32_e64 v13, s9, s9
	v_lshlrev_b32_e32 v8, 1, v9
	s_delay_alu instid0(VALU_DEP_1) | instskip(SKIP_4) | instid1(VALU_DEP_1)
	v_add_co_u32 v5, vcc_lo, v5, v8
	v_add_co_ci_u32_e32 v6, vcc_lo, 0, v6, vcc_lo
	global_load_u16 v5, v[5:6], off
	s_waitcnt vmcnt(0)
	v_cvt_f32_f16_e64 v6, |v5|
	v_dual_max_f32 v13, v13, v6 :: v_dual_add_nc_u32 v8, v0, v8
	ds_store_b16 v8, v5
.LBB12_3:
	s_or_b32 exec_lo, exec_lo, s7
	v_sub_nc_u32_e32 v14, s14, v7
	v_ashrrev_i32_e32 v8, 31, v7
	v_lshlrev_b32_e32 v15, 1, v7
	s_mov_b32 s7, exec_lo
	s_delay_alu instid0(VALU_DEP_3) | instskip(NEXT) | instid1(VALU_DEP_1)
	v_ashrrev_i32_e32 v5, 31, v14
	v_lshrrev_b32_e32 v5, 29, v5
	s_delay_alu instid0(VALU_DEP_1) | instskip(NEXT) | instid1(VALU_DEP_1)
	v_add_nc_u32_e32 v5, v14, v5
	v_ashrrev_i32_e32 v16, 3, v5
	v_lshlrev_b64 v[5:6], 1, v[7:8]
	s_delay_alu instid0(VALU_DEP_2)
	v_cmpx_gt_i32_e64 v16, v9
	s_cbranch_execz .LBB12_7
; %bb.4:
	v_lshlrev_b32_e32 v7, 4, v9
	s_mov_b32 s8, 0
	s_delay_alu instid0(VALU_DEP_1) | instskip(SKIP_2) | instid1(VALU_DEP_3)
	v_add_co_u32 v8, vcc_lo, v3, v7
	v_add_co_ci_u32_e32 v17, vcc_lo, 0, v4, vcc_lo
	v_lshl_add_u32 v7, v10, 1, v7
	v_add_co_u32 v8, vcc_lo, v8, v5
	s_delay_alu instid0(VALU_DEP_3) | instskip(NEXT) | instid1(VALU_DEP_2)
	v_add_co_ci_u32_e32 v17, vcc_lo, v17, v6, vcc_lo
	v_add_co_u32 v8, vcc_lo, v8, s4
	s_delay_alu instid0(VALU_DEP_2) | instskip(SKIP_1) | instid1(VALU_DEP_3)
	v_add_co_ci_u32_e32 v18, vcc_lo, s5, v17, vcc_lo
	v_add3_u32 v17, v7, v15, 0
	v_add_co_u32 v7, vcc_lo, v8, 8
	s_delay_alu instid0(VALU_DEP_3)
	v_add_co_ci_u32_e32 v8, vcc_lo, 0, v18, vcc_lo
	v_mov_b32_e32 v18, v9
	s_set_inst_prefetch_distance 0x1
	.p2align	6
.LBB12_5:                               ; =>This Inner Loop Header: Depth=1
	global_load_b128 v[19:22], v[7:8], off offset:-8
	v_add_nc_u32_e32 v18, 16, v18
	v_add_co_u32 v7, vcc_lo, 0x100, v7
	v_add_co_ci_u32_e32 v8, vcc_lo, 0, v8, vcc_lo
	s_delay_alu instid0(VALU_DEP_3)
	v_cmp_ge_i32_e32 vcc_lo, v18, v16
	s_or_b32 s8, vcc_lo, s8
	s_waitcnt vmcnt(0)
	v_lshrrev_b32_e32 v23, 16, v19
	v_cvt_f32_f16_e64 v24, |v19|
	v_lshrrev_b32_e32 v25, 16, v20
	v_cvt_f32_f16_e64 v26, |v20|
	;; [unrolled: 2-line block ×3, first 2 shown]
	ds_store_b128 v17, v[19:22]
	v_cvt_f32_f16_e64 v25, |v25|
	v_add_nc_u32_e32 v17, 0x100, v17
	v_cvt_f32_f16_e64 v27, |v27|
	v_max3_f32 v13, v13, v24, v23
	v_cvt_f32_f16_e64 v23, |v21|
	v_lshrrev_b32_e32 v24, 16, v22
	s_delay_alu instid0(VALU_DEP_3) | instskip(SKIP_1) | instid1(VALU_DEP_3)
	v_max3_f32 v13, v13, v26, v25
	v_cvt_f32_f16_e64 v25, |v22|
	v_cvt_f32_f16_e64 v24, |v24|
	s_delay_alu instid0(VALU_DEP_3) | instskip(NEXT) | instid1(VALU_DEP_1)
	v_max3_f32 v13, v13, v23, v27
	v_max3_f32 v13, v13, v25, v24
	s_and_not1_b32 exec_lo, exec_lo, s8
	s_cbranch_execnz .LBB12_5
; %bb.6:
	s_set_inst_prefetch_distance 0x2
	s_or_b32 exec_lo, exec_lo, s8
.LBB12_7:
	s_delay_alu instid0(SALU_CYCLE_1) | instskip(SKIP_2) | instid1(VALU_DEP_1)
	s_or_b32 exec_lo, exec_lo, s7
	v_lshl_add_u32 v7, v16, 3, v9
	s_mov_b32 s7, exec_lo
	v_cmpx_lt_i32_e64 v7, v14
	s_cbranch_execz .LBB12_11
; %bb.8:
	v_ashrrev_i32_e32 v8, 31, v7
	v_lshlrev_b32_e32 v19, 4, v16
	v_add_co_u32 v3, vcc_lo, v3, v5
	v_lshlrev_b32_e32 v18, 1, v10
	s_delay_alu instid0(VALU_DEP_4) | instskip(SKIP_2) | instid1(VALU_DEP_4)
	v_lshlrev_b64 v[16:17], 1, v[7:8]
	v_add_co_ci_u32_e32 v4, vcc_lo, v4, v6, vcc_lo
	v_lshlrev_b32_e32 v20, 1, v9
	v_add3_u32 v5, v18, v19, v15
	s_mov_b32 s8, 0
	s_delay_alu instid0(VALU_DEP_4) | instskip(SKIP_1) | instid1(VALU_DEP_3)
	v_add_co_u32 v3, vcc_lo, v3, v16
	v_add_co_ci_u32_e32 v4, vcc_lo, v4, v17, vcc_lo
	v_add3_u32 v5, v5, v20, 0
	s_delay_alu instid0(VALU_DEP_3) | instskip(NEXT) | instid1(VALU_DEP_3)
	v_add_co_u32 v3, vcc_lo, s4, v3
	v_add_co_ci_u32_e32 v4, vcc_lo, s5, v4, vcc_lo
	.p2align	6
.LBB12_9:                               ; =>This Inner Loop Header: Depth=1
	global_load_u16 v6, v[3:4], off
	v_dual_max_f32 v8, v13, v13 :: v_dual_add_nc_u32 v7, 16, v7
	v_add_co_u32 v3, vcc_lo, v3, 32
	v_add_co_ci_u32_e32 v4, vcc_lo, 0, v4, vcc_lo
	s_delay_alu instid0(VALU_DEP_3)
	v_cmp_ge_i32_e32 vcc_lo, v7, v14
	s_or_b32 s8, vcc_lo, s8
	s_waitcnt vmcnt(0)
	v_cvt_f32_f16_e64 v13, |v6|
	ds_store_b16 v5, v6
	v_add_nc_u32_e32 v5, 32, v5
	v_max_f32_e32 v13, v8, v13
	s_and_not1_b32 exec_lo, exec_lo, s8
	s_cbranch_execnz .LBB12_9
; %bb.10:
	s_or_b32 exec_lo, exec_lo, s8
.LBB12_11:
	s_delay_alu instid0(SALU_CYCLE_1)
	s_or_b32 exec_lo, exec_lo, s7
                                        ; implicit-def: $vgpr3_vgpr4
.LBB12_12:
	s_and_not1_saveexec_b32 s6, s6
	s_cbranch_execz .LBB12_18
; %bb.13:
	v_mov_b32_e32 v13, s9
	s_ashr_i32 s8, s14, 3
	s_mov_b32 s7, exec_lo
	v_cmpx_gt_i32_e64 s8, v9
	s_cbranch_execz .LBB12_17
; %bb.14:
	v_lshlrev_b32_e32 v5, 4, v9
	v_dual_mov_b32 v13, s9 :: v_dual_lshlrev_b32 v6, 1, v10
	s_delay_alu instid0(VALU_DEP_2) | instskip(SKIP_1) | instid1(VALU_DEP_3)
	v_add_co_u32 v3, vcc_lo, v3, v5
	v_add_co_ci_u32_e32 v4, vcc_lo, 0, v4, vcc_lo
	v_add3_u32 v5, v6, v5, 0
	s_delay_alu instid0(VALU_DEP_3) | instskip(NEXT) | instid1(VALU_DEP_3)
	v_add_co_u32 v3, vcc_lo, v3, s4
	v_add_co_ci_u32_e32 v4, vcc_lo, s5, v4, vcc_lo
	v_mov_b32_e32 v6, v9
	s_delay_alu instid0(VALU_DEP_3) | instskip(NEXT) | instid1(VALU_DEP_3)
	v_add_co_u32 v3, vcc_lo, v3, 8
	v_add_co_ci_u32_e32 v4, vcc_lo, 0, v4, vcc_lo
	s_mov_b32 s4, 0
	s_set_inst_prefetch_distance 0x1
	.p2align	6
.LBB12_15:                              ; =>This Inner Loop Header: Depth=1
	global_load_b128 v[14:17], v[3:4], off offset:-8
	v_add_nc_u32_e32 v6, 16, v6
	v_add_co_u32 v3, vcc_lo, 0x100, v3
	v_add_co_ci_u32_e32 v4, vcc_lo, 0, v4, vcc_lo
	s_delay_alu instid0(VALU_DEP_3)
	v_cmp_le_i32_e32 vcc_lo, s8, v6
	s_or_b32 s4, vcc_lo, s4
	s_waitcnt vmcnt(0)
	v_lshrrev_b32_e32 v7, 16, v14
	v_cvt_f32_f16_e64 v8, |v14|
	v_lshrrev_b32_e32 v18, 16, v15
	v_cvt_f32_f16_e64 v19, |v15|
	;; [unrolled: 2-line block ×3, first 2 shown]
	ds_store_b128 v5, v[14:17]
	v_cvt_f32_f16_e64 v18, |v18|
	v_add_nc_u32_e32 v5, 0x100, v5
	v_cvt_f32_f16_e64 v20, |v20|
	v_max3_f32 v7, v13, v8, v7
	v_cvt_f32_f16_e64 v8, |v16|
	v_lshrrev_b32_e32 v13, 16, v17
	s_delay_alu instid0(VALU_DEP_3) | instskip(SKIP_1) | instid1(VALU_DEP_3)
	v_max3_f32 v7, v7, v19, v18
	v_cvt_f32_f16_e64 v18, |v17|
	v_cvt_f32_f16_e64 v13, |v13|
	s_delay_alu instid0(VALU_DEP_3) | instskip(NEXT) | instid1(VALU_DEP_1)
	v_max3_f32 v7, v7, v8, v20
	v_max3_f32 v13, v7, v18, v13
	s_and_not1_b32 exec_lo, exec_lo, s4
	s_cbranch_execnz .LBB12_15
; %bb.16:
	s_set_inst_prefetch_distance 0x2
	s_or_b32 exec_lo, exec_lo, s4
.LBB12_17:
	s_delay_alu instid0(SALU_CYCLE_1)
	s_or_b32 exec_lo, exec_lo, s7
.LBB12_18:
	s_delay_alu instid0(SALU_CYCLE_1) | instskip(SKIP_4) | instid1(VALU_DEP_2)
	s_or_b32 exec_lo, exec_lo, s6
	v_mbcnt_lo_u32_b32 v3, -1, 0
	s_load_b64 s[8:9], s[0:1], 0x8
	s_mov_b32 s16, exec_lo
	v_max_f32_e32 v7, v13, v13
	v_xor_b32_e32 v5, 8, v3
	v_and_b32_e32 v4, 16, v3
	v_xor_b32_e32 v6, 4, v3
	s_delay_alu instid0(VALU_DEP_2) | instskip(NEXT) | instid1(VALU_DEP_1)
	v_add_nc_u32_e32 v4, 16, v4
	v_cmp_lt_i32_e32 vcc_lo, v5, v4
	v_cndmask_b32_e32 v5, v3, v5, vcc_lo
	s_delay_alu instid0(VALU_DEP_4) | instskip(NEXT) | instid1(VALU_DEP_2)
	v_cmp_lt_i32_e32 vcc_lo, v6, v4
	v_dual_cndmask_b32 v6, v3, v6 :: v_dual_lshlrev_b32 v5, 2, v5
	ds_bpermute_b32 v5, v5, v13
	s_waitcnt lgkmcnt(0)
	v_dual_max_f32 v5, v5, v5 :: v_dual_lshlrev_b32 v6, 2, v6
	s_delay_alu instid0(VALU_DEP_1)
	v_max_f32_e32 v5, v7, v5
	v_xor_b32_e32 v7, 2, v3
	ds_bpermute_b32 v6, v6, v5
	v_cmp_lt_i32_e32 vcc_lo, v7, v4
	s_waitcnt lgkmcnt(0)
	v_dual_cndmask_b32 v7, v3, v7 :: v_dual_max_f32 v6, v6, v6
	s_delay_alu instid0(VALU_DEP_1) | instskip(NEXT) | instid1(VALU_DEP_2)
	v_max_f32_e32 v5, v5, v6
	v_lshlrev_b32_e32 v7, 2, v7
	ds_bpermute_b32 v6, v7, v5
	v_xor_b32_e32 v7, 1, v3
	s_delay_alu instid0(VALU_DEP_1) | instskip(SKIP_2) | instid1(VALU_DEP_1)
	v_cmp_lt_i32_e32 vcc_lo, v7, v4
	v_cndmask_b32_e32 v3, v3, v7, vcc_lo
	s_waitcnt lgkmcnt(0)
	v_dual_max_f32 v4, v6, v6 :: v_dual_lshlrev_b32 v3, 2, v3
	s_delay_alu instid0(VALU_DEP_1) | instskip(SKIP_3) | instid1(VALU_DEP_1)
	v_max_f32_e32 v4, v5, v4
	ds_bpermute_b32 v3, v3, v4
	s_waitcnt lgkmcnt(0)
	v_max_f32_e32 v3, v3, v3
	v_max_f32_e32 v3, v4, v3
	s_delay_alu instid0(VALU_DEP_1) | instskip(SKIP_1) | instid1(VALU_DEP_2)
	v_div_scale_f32 v4, null, s11, s11, v3
	v_div_scale_f32 v7, vcc_lo, v3, s11, v3
	v_rcp_f32_e32 v5, v4
	s_waitcnt_depctr 0xfff
	v_fma_f32 v6, -v4, v5, 1.0
	s_delay_alu instid0(VALU_DEP_1) | instskip(NEXT) | instid1(VALU_DEP_1)
	v_fmac_f32_e32 v5, v6, v5
	v_mul_f32_e32 v6, v7, v5
	s_delay_alu instid0(VALU_DEP_1) | instskip(NEXT) | instid1(VALU_DEP_1)
	v_fma_f32 v8, -v4, v6, v7
	v_fmac_f32_e32 v6, v8, v5
	s_delay_alu instid0(VALU_DEP_1) | instskip(NEXT) | instid1(VALU_DEP_1)
	v_fma_f32 v4, -v4, v6, v7
	v_div_fmas_f32 v4, v4, v5, v6
	s_delay_alu instid0(VALU_DEP_1) | instskip(NEXT) | instid1(VALU_DEP_1)
	v_div_fixup_f32 v3, v4, s11, v3
	v_max_f32_e64 v3, 0x2edbe6ff, |v3|
	s_delay_alu instid0(VALU_DEP_1) | instskip(SKIP_1) | instid1(VALU_DEP_1)
	v_cmp_gt_f32_e32 vcc_lo, 0x800000, v3
	v_cndmask_b32_e64 v4, 1.0, 0x4f800000, vcc_lo
	v_mul_f32_e32 v3, v3, v4
	v_cndmask_b32_e64 v4, 0, 0x42000000, vcc_lo
	s_delay_alu instid0(VALU_DEP_2) | instskip(SKIP_2) | instid1(VALU_DEP_1)
	v_log_f32_e32 v3, v3
	s_waitcnt_depctr 0xfff
	v_sub_f32_e32 v3, v3, v4
	v_ceil_f32_e32 v3, v3
	s_delay_alu instid0(VALU_DEP_1) | instskip(SKIP_1) | instid1(VALU_DEP_1)
	v_cmp_gt_f32_e32 vcc_lo, 0xc2fc0000, v3
	v_cndmask_b32_e64 v4, 0, 0x42800000, vcc_lo
	v_add_f32_e32 v3, v3, v4
	v_cndmask_b32_e64 v4, 1.0, 0x1f800000, vcc_lo
	s_delay_alu instid0(VALU_DEP_2)
	v_exp_f32_e32 v3, v3
	s_waitcnt_depctr 0xfff
	v_mul_f32_e32 v5, v3, v4
	v_cmpx_eq_u32_e32 0, v9
	s_cbranch_execz .LBB12_24
; %bb.19:
	s_load_b64 s[4:5], s[0:1], 0x10
	s_ashr_i32 s0, s2, 31
	v_mov_b32_e32 v3, 0
	v_or_b32_e32 v4, s0, v12
	s_mov_b32 s1, s2
	s_delay_alu instid0(VALU_DEP_1) | instskip(SKIP_1) | instid1(SALU_CYCLE_1)
	v_cmp_ne_u64_e32 vcc_lo, 0, v[3:4]
                                        ; implicit-def: $vgpr3_vgpr4
	s_and_saveexec_b32 s2, vcc_lo
	s_xor_b32 s2, exec_lo, s2
	s_cbranch_execz .LBB12_21
; %bb.20:
	s_add_u32 s12, s1, s0
	s_mov_b32 s6, s0
	s_mov_b32 s7, s0
	s_addc_u32 s13, s0, s0
	s_delay_alu instid0(SALU_CYCLE_1) | instskip(NEXT) | instid1(SALU_CYCLE_1)
	s_xor_b64 s[12:13], s[12:13], s[6:7]
	v_cvt_f32_u32_e32 v3, s12
	v_cvt_f32_u32_e32 v4, s13
	s_sub_u32 s0, 0, s12
	s_subb_u32 s7, 0, s13
	s_delay_alu instid0(VALU_DEP_1) | instskip(NEXT) | instid1(VALU_DEP_1)
	v_fmamk_f32 v3, v4, 0x4f800000, v3
	v_rcp_f32_e32 v3, v3
	s_waitcnt_depctr 0xfff
	v_mul_f32_e32 v3, 0x5f7ffffc, v3
	s_delay_alu instid0(VALU_DEP_1) | instskip(NEXT) | instid1(VALU_DEP_1)
	v_mul_f32_e32 v4, 0x2f800000, v3
	v_trunc_f32_e32 v4, v4
	s_delay_alu instid0(VALU_DEP_1) | instskip(SKIP_1) | instid1(VALU_DEP_2)
	v_fmamk_f32 v3, v4, 0xcf800000, v3
	v_cvt_u32_f32_e32 v4, v4
	v_cvt_u32_f32_e32 v3, v3
	s_delay_alu instid0(VALU_DEP_2) | instskip(NEXT) | instid1(VALU_DEP_2)
	v_mul_lo_u32 v6, s0, v4
	v_mul_hi_u32 v7, s0, v3
	v_mul_lo_u32 v8, s7, v3
	s_delay_alu instid0(VALU_DEP_2) | instskip(SKIP_1) | instid1(VALU_DEP_2)
	v_add_nc_u32_e32 v6, v7, v6
	v_mul_lo_u32 v7, s0, v3
	v_add_nc_u32_e32 v6, v6, v8
	s_delay_alu instid0(VALU_DEP_2) | instskip(NEXT) | instid1(VALU_DEP_2)
	v_mul_hi_u32 v8, v3, v7
	v_mul_lo_u32 v13, v3, v6
	v_mul_hi_u32 v14, v3, v6
	v_mul_hi_u32 v15, v4, v7
	v_mul_lo_u32 v7, v4, v7
	v_mul_hi_u32 v16, v4, v6
	v_mul_lo_u32 v6, v4, v6
	v_add_co_u32 v8, vcc_lo, v8, v13
	v_add_co_ci_u32_e32 v13, vcc_lo, 0, v14, vcc_lo
	s_delay_alu instid0(VALU_DEP_2) | instskip(NEXT) | instid1(VALU_DEP_2)
	v_add_co_u32 v7, vcc_lo, v8, v7
	v_add_co_ci_u32_e32 v7, vcc_lo, v13, v15, vcc_lo
	v_add_co_ci_u32_e32 v8, vcc_lo, 0, v16, vcc_lo
	s_delay_alu instid0(VALU_DEP_2) | instskip(NEXT) | instid1(VALU_DEP_2)
	v_add_co_u32 v6, vcc_lo, v7, v6
	v_add_co_ci_u32_e32 v7, vcc_lo, 0, v8, vcc_lo
	s_delay_alu instid0(VALU_DEP_2) | instskip(NEXT) | instid1(VALU_DEP_2)
	v_add_co_u32 v3, vcc_lo, v3, v6
	v_add_co_ci_u32_e32 v4, vcc_lo, v4, v7, vcc_lo
	s_delay_alu instid0(VALU_DEP_2) | instskip(SKIP_1) | instid1(VALU_DEP_3)
	v_mul_hi_u32 v6, s0, v3
	v_mul_lo_u32 v8, s7, v3
	v_mul_lo_u32 v7, s0, v4
	s_delay_alu instid0(VALU_DEP_1) | instskip(SKIP_1) | instid1(VALU_DEP_2)
	v_add_nc_u32_e32 v6, v6, v7
	v_mul_lo_u32 v7, s0, v3
	v_add_nc_u32_e32 v6, v6, v8
	s_delay_alu instid0(VALU_DEP_2) | instskip(NEXT) | instid1(VALU_DEP_2)
	v_mul_hi_u32 v8, v3, v7
	v_mul_lo_u32 v13, v3, v6
	v_mul_hi_u32 v14, v3, v6
	v_mul_hi_u32 v15, v4, v7
	v_mul_lo_u32 v7, v4, v7
	v_mul_hi_u32 v16, v4, v6
	v_mul_lo_u32 v6, v4, v6
	v_add_co_u32 v8, vcc_lo, v8, v13
	v_add_co_ci_u32_e32 v13, vcc_lo, 0, v14, vcc_lo
	s_delay_alu instid0(VALU_DEP_2) | instskip(NEXT) | instid1(VALU_DEP_2)
	v_add_co_u32 v7, vcc_lo, v8, v7
	v_add_co_ci_u32_e32 v7, vcc_lo, v13, v15, vcc_lo
	v_add_co_ci_u32_e32 v8, vcc_lo, 0, v16, vcc_lo
	s_delay_alu instid0(VALU_DEP_2) | instskip(NEXT) | instid1(VALU_DEP_2)
	v_add_co_u32 v6, vcc_lo, v7, v6
	v_add_co_ci_u32_e32 v7, vcc_lo, 0, v8, vcc_lo
	s_delay_alu instid0(VALU_DEP_2) | instskip(NEXT) | instid1(VALU_DEP_2)
	v_add_co_u32 v8, vcc_lo, v3, v6
	v_add_co_ci_u32_e32 v15, vcc_lo, v4, v7, vcc_lo
	s_delay_alu instid0(VALU_DEP_2) | instskip(SKIP_1) | instid1(VALU_DEP_3)
	v_mul_hi_u32 v16, v11, v8
	v_mad_u64_u32 v[6:7], null, v12, v8, 0
	v_mad_u64_u32 v[3:4], null, v11, v15, 0
	;; [unrolled: 1-line block ×3, first 2 shown]
	s_delay_alu instid0(VALU_DEP_2) | instskip(NEXT) | instid1(VALU_DEP_3)
	v_add_co_u32 v3, vcc_lo, v16, v3
	v_add_co_ci_u32_e32 v4, vcc_lo, 0, v4, vcc_lo
	s_delay_alu instid0(VALU_DEP_2) | instskip(NEXT) | instid1(VALU_DEP_2)
	v_add_co_u32 v3, vcc_lo, v3, v6
	v_add_co_ci_u32_e32 v3, vcc_lo, v4, v7, vcc_lo
	v_add_co_ci_u32_e32 v4, vcc_lo, 0, v14, vcc_lo
	s_delay_alu instid0(VALU_DEP_2) | instskip(NEXT) | instid1(VALU_DEP_2)
	v_add_co_u32 v6, vcc_lo, v3, v13
	v_add_co_ci_u32_e32 v7, vcc_lo, 0, v4, vcc_lo
	s_delay_alu instid0(VALU_DEP_2) | instskip(SKIP_1) | instid1(VALU_DEP_3)
	v_mul_lo_u32 v8, s13, v6
	v_mad_u64_u32 v[3:4], null, s12, v6, 0
	v_mul_lo_u32 v7, s12, v7
	s_delay_alu instid0(VALU_DEP_2) | instskip(NEXT) | instid1(VALU_DEP_2)
	v_sub_co_u32 v3, vcc_lo, v11, v3
	v_add3_u32 v4, v4, v7, v8
	v_add_co_u32 v8, s0, v6, 2
	s_delay_alu instid0(VALU_DEP_2) | instskip(NEXT) | instid1(VALU_DEP_1)
	v_sub_nc_u32_e32 v7, v12, v4
	v_subrev_co_ci_u32_e64 v7, s0, s13, v7, vcc_lo
	v_sub_co_u32 v13, s0, v3, s12
	v_sub_co_ci_u32_e32 v4, vcc_lo, v12, v4, vcc_lo
	s_delay_alu instid0(VALU_DEP_3) | instskip(NEXT) | instid1(VALU_DEP_3)
	v_subrev_co_ci_u32_e64 v7, s0, 0, v7, s0
	v_cmp_le_u32_e32 vcc_lo, s12, v13
	v_cndmask_b32_e64 v12, 0, -1, vcc_lo
	s_delay_alu instid0(VALU_DEP_3)
	v_cmp_le_u32_e32 vcc_lo, s13, v7
	v_cndmask_b32_e64 v13, 0, -1, vcc_lo
	v_cmp_le_u32_e32 vcc_lo, s12, v3
	v_cndmask_b32_e64 v3, 0, -1, vcc_lo
	;; [unrolled: 2-line block ×3, first 2 shown]
	v_cmp_eq_u32_e32 vcc_lo, s13, v7
	v_cndmask_b32_e32 v7, v13, v12, vcc_lo
	v_add_co_u32 v12, vcc_lo, v6, 1
	v_cmp_eq_u32_e32 vcc_lo, s13, v4
	v_cndmask_b32_e32 v3, v14, v3, vcc_lo
	s_delay_alu instid0(VALU_DEP_4) | instskip(NEXT) | instid1(VALU_DEP_4)
	v_cmp_ne_u32_e32 vcc_lo, 0, v7
	v_cndmask_b32_e32 v4, v12, v8, vcc_lo
	s_delay_alu instid0(VALU_DEP_3) | instskip(NEXT) | instid1(VALU_DEP_2)
	v_cmp_ne_u32_e32 vcc_lo, 0, v3
	v_cndmask_b32_e32 v3, v6, v4, vcc_lo
	s_delay_alu instid0(VALU_DEP_1) | instskip(NEXT) | instid1(VALU_DEP_1)
	v_xor_b32_e32 v3, s6, v3
	v_sub_co_u32 v3, vcc_lo, v3, s6
.LBB12_21:
	s_and_not1_saveexec_b32 s0, s2
	s_cbranch_execz .LBB12_23
; %bb.22:
	v_cvt_f32_u32_e32 v3, s1
	s_sub_i32 s2, 0, s1
	s_delay_alu instid0(VALU_DEP_1) | instskip(SKIP_2) | instid1(VALU_DEP_1)
	v_rcp_iflag_f32_e32 v3, v3
	s_waitcnt_depctr 0xfff
	v_mul_f32_e32 v3, 0x4f7ffffe, v3
	v_cvt_u32_f32_e32 v3, v3
	s_delay_alu instid0(VALU_DEP_1) | instskip(NEXT) | instid1(VALU_DEP_1)
	v_mul_lo_u32 v4, s2, v3
	v_mul_hi_u32 v4, v3, v4
	s_delay_alu instid0(VALU_DEP_1) | instskip(NEXT) | instid1(VALU_DEP_1)
	v_add_nc_u32_e32 v3, v3, v4
	v_mul_hi_u32 v3, v11, v3
	s_delay_alu instid0(VALU_DEP_1) | instskip(SKIP_1) | instid1(VALU_DEP_2)
	v_mul_lo_u32 v4, v3, s1
	v_add_nc_u32_e32 v6, 1, v3
	v_sub_nc_u32_e32 v4, v11, v4
	s_delay_alu instid0(VALU_DEP_1) | instskip(SKIP_1) | instid1(VALU_DEP_2)
	v_subrev_nc_u32_e32 v7, s1, v4
	v_cmp_le_u32_e32 vcc_lo, s1, v4
	v_dual_cndmask_b32 v4, v4, v7 :: v_dual_cndmask_b32 v3, v3, v6
	s_delay_alu instid0(VALU_DEP_1) | instskip(NEXT) | instid1(VALU_DEP_2)
	v_cmp_le_u32_e32 vcc_lo, s1, v4
	v_add_nc_u32_e32 v6, 1, v3
	s_delay_alu instid0(VALU_DEP_1)
	v_cndmask_b32_e32 v3, v3, v6, vcc_lo
.LBB12_23:
	s_or_b32 exec_lo, exec_lo, s0
	s_delay_alu instid0(VALU_DEP_1) | instskip(NEXT) | instid1(VALU_DEP_1)
	v_mul_lo_u32 v4, v3, s1
	v_sub_nc_u32_e32 v4, v11, v4
	s_delay_alu instid0(VALU_DEP_1) | instskip(NEXT) | instid1(VALU_DEP_1)
	v_mad_u64_u32 v[6:7], null, v4, s3, v[3:4]
	v_ashrrev_i32_e32 v7, 31, v6
	s_delay_alu instid0(VALU_DEP_1) | instskip(SKIP_1) | instid1(VALU_DEP_1)
	v_lshlrev_b64 v[3:4], 2, v[6:7]
	s_waitcnt lgkmcnt(0)
	v_add_co_u32 v3, vcc_lo, s4, v3
	s_delay_alu instid0(VALU_DEP_2)
	v_add_co_ci_u32_e32 v4, vcc_lo, s5, v4, vcc_lo
	global_store_b32 v[3:4], v5, off
.LBB12_24:
	s_or_b32 exec_lo, exec_lo, s16
	v_dual_mov_b32 v4, 0 :: v_dual_and_b32 v3, 15, v0
	s_xor_b32 s0, s15, -1
	s_waitcnt_vscnt null, 0x0
	s_barrier
	buffer_gl0_inv
	v_cmp_ne_u64_e32 vcc_lo, 0, v[3:4]
	s_or_b32 s0, s0, vcc_lo
	s_delay_alu instid0(SALU_CYCLE_1) | instskip(NEXT) | instid1(SALU_CYCLE_1)
	s_and_saveexec_b32 s1, s0
	s_xor_b32 s12, exec_lo, s1
	s_cbranch_execz .LBB12_41
; %bb.25:
	v_sub_nc_u32_e32 v3, 0, v0
	v_add_co_u32 v7, vcc_lo, s8, v1
	v_add_co_ci_u32_e32 v8, vcc_lo, s9, v2, vcc_lo
	s_delay_alu instid0(VALU_DEP_3) | instskip(SKIP_1) | instid1(VALU_DEP_1)
	v_bfe_u32 v3, v3, 1, 3
	s_mov_b32 s0, exec_lo
	v_min_i32_e32 v6, s14, v3
	s_delay_alu instid0(VALU_DEP_1)
	v_cmpx_gt_i32_e64 v6, v9
	s_cbranch_execz .LBB12_27
; %bb.26:
	v_lshl_add_u32 v0, v9, 1, v0
	ds_load_u16 v0, v0
	s_waitcnt lgkmcnt(0)
	v_cvt_f32_f16_e32 v0, v0
	s_delay_alu instid0(VALU_DEP_1) | instskip(SKIP_1) | instid1(VALU_DEP_2)
	v_div_scale_f32 v3, null, v5, v5, v0
	v_div_scale_f32 v12, vcc_lo, v0, v5, v0
	v_rcp_f32_e32 v4, v3
	s_waitcnt_depctr 0xfff
	v_fma_f32 v11, -v3, v4, 1.0
	s_delay_alu instid0(VALU_DEP_1) | instskip(NEXT) | instid1(VALU_DEP_1)
	v_fmac_f32_e32 v4, v11, v4
	v_mul_f32_e32 v11, v12, v4
	s_delay_alu instid0(VALU_DEP_1) | instskip(NEXT) | instid1(VALU_DEP_1)
	v_fma_f32 v13, -v3, v11, v12
	v_fmac_f32_e32 v11, v13, v4
	s_delay_alu instid0(VALU_DEP_1) | instskip(NEXT) | instid1(VALU_DEP_1)
	v_fma_f32 v3, -v3, v11, v12
	v_div_fmas_f32 v3, v3, v4, v11
	v_max_f32_e64 v4, s10, s10
	s_delay_alu instid0(VALU_DEP_2) | instskip(SKIP_1) | instid1(VALU_DEP_1)
	v_div_fixup_f32 v0, v3, v5, v0
	v_max_f32_e64 v3, s11, s11
	v_maxmin_f32 v0, v0, v4, v3
	v_add_co_u32 v3, vcc_lo, v7, v9
	v_add_co_ci_u32_e32 v4, vcc_lo, 0, v8, vcc_lo
	s_delay_alu instid0(VALU_DEP_3)
	v_cvt_i32_f32_e32 v0, v0
	global_store_b8 v[3:4], v0, off
.LBB12_27:
	s_or_b32 exec_lo, exec_lo, s0
	v_sub_nc_u32_e32 v3, s14, v6
	v_ashrrev_i32_e32 v12, 31, v6
	v_lshlrev_b32_e32 v4, 1, v6
	s_mov_b32 s13, exec_lo
	s_delay_alu instid0(VALU_DEP_3) | instskip(NEXT) | instid1(VALU_DEP_1)
	v_ashrrev_i32_e32 v0, 31, v3
	v_lshrrev_b32_e32 v0, 29, v0
	s_delay_alu instid0(VALU_DEP_1) | instskip(NEXT) | instid1(VALU_DEP_1)
	v_add_nc_u32_e32 v0, v3, v0
	v_ashrrev_i32_e32 v11, 3, v0
	s_delay_alu instid0(VALU_DEP_1)
	v_cmpx_gt_i32_e64 v11, v9
	s_cbranch_execz .LBB12_30
; %bb.28:
	v_dual_mov_b32 v15, v9 :: v_dual_lshlrev_b32 v0, 4, v9
	v_lshlrev_b32_e32 v13, 3, v9
	v_add_co_u32 v1, vcc_lo, v6, v1
	v_add_co_ci_u32_e32 v2, vcc_lo, v12, v2, vcc_lo
	s_delay_alu instid0(VALU_DEP_4) | instskip(SKIP_1) | instid1(VALU_DEP_4)
	v_lshl_add_u32 v0, v10, 1, v0
	v_lshlrev_b32_e32 v14, 1, v6
	v_add_co_u32 v1, vcc_lo, v1, v13
	s_delay_alu instid0(VALU_DEP_4) | instskip(NEXT) | instid1(VALU_DEP_3)
	v_add_co_ci_u32_e32 v13, vcc_lo, 0, v2, vcc_lo
	v_add3_u32 v2, v0, v14, 0
	s_delay_alu instid0(VALU_DEP_3) | instskip(NEXT) | instid1(VALU_DEP_3)
	v_add_co_u32 v0, vcc_lo, s8, v1
	v_add_co_ci_u32_e32 v1, vcc_lo, s9, v13, vcc_lo
	v_max_f32_e64 v13, s10, s10
	v_max_f32_e64 v14, s11, s11
	s_mov_b32 s15, 0
.LBB12_29:                              ; =>This Inner Loop Header: Depth=1
	ds_load_b128 v[16:19], v2
	s_waitcnt lgkmcnt(0)
	v_lshrrev_b32_e32 v20, 16, v16
	v_cvt_f32_f16_e32 v16, v16
	v_lshrrev_b32_e32 v21, 16, v17
	v_lshrrev_b32_e32 v22, 16, v18
	;; [unrolled: 1-line block ×3, first 2 shown]
	v_cvt_f32_f16_e32 v17, v17
	v_cvt_f32_f16_e32 v18, v18
	;; [unrolled: 1-line block ×3, first 2 shown]
	v_div_scale_f32 v24, null, v5, v5, v16
	v_cvt_f32_f16_e32 v20, v20
	v_div_scale_f32 v26, null, v5, v5, v17
	v_cvt_f32_f16_e32 v21, v21
	v_div_scale_f32 v28, null, v5, v5, v18
	v_cvt_f32_f16_e32 v22, v22
	v_div_scale_f32 v30, null, v5, v5, v19
	v_cvt_f32_f16_e32 v23, v23
	v_rcp_f32_e32 v32, v24
	v_div_scale_f32 v33, null, v5, v5, v20
	v_rcp_f32_e32 v35, v26
	v_div_scale_f32 v36, null, v5, v5, v21
	;; [unrolled: 2-line block ×4, first 2 shown]
	v_rcp_f32_e32 v44, v33
	v_rcp_f32_e32 v45, v36
	;; [unrolled: 1-line block ×3, first 2 shown]
	s_delay_alu instid0(VALU_DEP_1) | instskip(SKIP_4) | instid1(VALU_DEP_4)
	v_rcp_f32_e32 v47, v42
	v_fma_f32 v48, -v24, v32, 1.0
	v_add_nc_u32_e32 v15, 16, v15
	v_div_scale_f32 v25, vcc_lo, v16, v5, v16
	v_fma_f32 v49, -v26, v35, 1.0
	v_fmac_f32_e32 v32, v48, v32
	v_fma_f32 v50, -v28, v38, 1.0
	v_fma_f32 v51, -v30, v41, 1.0
	;; [unrolled: 1-line block ×3, first 2 shown]
	v_dual_fmac_f32 v35, v49, v35 :: v_dual_add_nc_u32 v2, 0x100, v2
	v_div_scale_f32 v27, s1, v17, v5, v17
	v_div_scale_f32 v29, s2, v18, v5, v18
	;; [unrolled: 1-line block ×4, first 2 shown]
	v_fma_f32 v49, -v36, v45, 1.0
	v_dual_fmac_f32 v38, v50, v38 :: v_dual_fmac_f32 v41, v51, v41
	v_fma_f32 v50, -v39, v46, 1.0
	v_fma_f32 v51, -v42, v47, 1.0
	v_mul_f32_e32 v52, v25, v32
	v_dual_fmac_f32 v44, v48, v44 :: v_dual_fmac_f32 v45, v49, v45
	v_div_scale_f32 v37, s5, v21, v5, v21
	v_div_scale_f32 v40, s6, v22, v5, v22
	v_dual_mul_f32 v48, v27, v35 :: v_dual_mul_f32 v49, v29, v38
	s_delay_alu instid0(VALU_DEP_3)
	v_dual_fmac_f32 v46, v50, v46 :: v_dual_mul_f32 v55, v37, v45
	v_dual_mul_f32 v50, v31, v41 :: v_dual_mul_f32 v53, v34, v44
	v_fmac_f32_e32 v47, v51, v47
	v_fma_f32 v51, -v24, v52, v25
	v_fma_f32 v54, -v26, v48, v27
	;; [unrolled: 1-line block ×3, first 2 shown]
	v_mul_f32_e32 v57, v40, v46
	v_div_scale_f32 v43, s7, v23, v5, v23
	v_fmac_f32_e32 v52, v51, v32
	v_fma_f32 v51, -v33, v53, v34
	v_dual_fmac_f32 v48, v54, v35 :: v_dual_fmac_f32 v49, v56, v38
	v_fma_f32 v54, -v36, v55, v37
	s_delay_alu instid0(VALU_DEP_4) | instskip(NEXT) | instid1(VALU_DEP_4)
	v_fma_f32 v24, -v24, v52, v25
	v_fmac_f32_e32 v53, v51, v44
	s_delay_alu instid0(VALU_DEP_4)
	v_fma_f32 v25, -v26, v48, v27
	v_fma_f32 v26, -v28, v49, v29
	;; [unrolled: 1-line block ×3, first 2 shown]
	v_div_fmas_f32 v24, v24, v32, v52
	v_fma_f32 v28, -v33, v53, v34
	s_mov_b32 vcc_lo, s4
	v_fma_f32 v56, -v39, v57, v40
	v_dual_mul_f32 v59, v43, v47 :: v_dual_fmac_f32 v50, v58, v41
	v_div_fixup_f32 v16, v24, v5, v16
	v_div_fmas_f32 v24, v28, v44, v53
	s_mov_b32 vcc_lo, s1
	s_delay_alu instid0(VALU_DEP_3)
	v_fma_f32 v58, -v42, v59, v43
	v_div_fmas_f32 v25, v25, v35, v48
	v_maxmin_f32 v16, v16, v13, v14
	v_div_fixup_f32 v20, v24, v5, v20
	s_mov_b32 vcc_lo, s5
	v_fma_f32 v27, -v30, v50, v31
	v_div_fixup_f32 v17, v25, v5, v17
	v_cvt_i32_f32_e32 v16, v16
	v_maxmin_f32 v20, v20, v13, v14
	v_fmac_f32_e32 v55, v54, v45
	v_cmp_ge_i32_e64 s0, v15, v11
	v_maxmin_f32 v17, v17, v13, v14
	v_and_b32_e32 v16, 0xff, v16
	v_cvt_i32_f32_e32 v20, v20
	v_fmac_f32_e32 v57, v56, v46
	v_fma_f32 v29, -v36, v55, v37
	v_cvt_i32_f32_e32 v17, v17
	s_or_b32 s15, s0, s15
	v_and_b32_e32 v20, 0xff, v20
	v_fma_f32 v30, -v39, v57, v40
	v_div_fmas_f32 v28, v29, v45, v55
	s_mov_b32 vcc_lo, s2
	s_delay_alu instid0(VALU_DEP_3)
	v_dual_fmac_f32 v59, v58, v47 :: v_dual_lshlrev_b32 v20, 8, v20
	v_div_fmas_f32 v24, v26, v38, v49
	s_mov_b32 vcc_lo, s6
	v_div_fixup_f32 v21, v28, v5, v21
	v_div_fmas_f32 v25, v30, v46, v57
	s_mov_b32 vcc_lo, s3
	v_fma_f32 v31, -v42, v59, v43
	v_div_fmas_f32 v26, v27, v41, v50
	s_mov_b32 vcc_lo, s7
	v_div_fixup_f32 v18, v24, v5, v18
	v_div_fixup_f32 v22, v25, v5, v22
	v_div_fmas_f32 v24, v31, v47, v59
	v_div_fixup_f32 v19, v26, v5, v19
	v_maxmin_f32 v21, v21, v13, v14
	v_and_b32_e32 v17, 0xff, v17
	v_maxmin_f32 v22, v22, v13, v14
	v_div_fixup_f32 v23, v24, v5, v23
	v_maxmin_f32 v19, v19, v13, v14
	v_cvt_i32_f32_e32 v21, v21
	v_maxmin_f32 v18, v18, v13, v14
	v_cvt_i32_f32_e32 v22, v22
	;; [unrolled: 2-line block ×3, first 2 shown]
	v_lshlrev_b32_e32 v21, 24, v21
	v_lshlrev_b32_e32 v17, 16, v17
	v_cvt_i32_f32_e32 v18, v18
	v_cvt_i32_f32_e32 v23, v23
	v_and_b32_e32 v19, 0xff, v19
	v_and_b32_e32 v22, 0xff, v22
	v_or3_b32 v17, v21, v17, v20
	v_and_b32_e32 v18, 0xff, v18
	v_lshlrev_b32_e32 v23, 24, v23
	v_lshlrev_b32_e32 v19, 16, v19
	;; [unrolled: 1-line block ×3, first 2 shown]
	v_or_b32_e32 v16, v17, v16
	s_delay_alu instid0(VALU_DEP_3) | instskip(NEXT) | instid1(VALU_DEP_1)
	v_or_b32_e32 v17, v23, v19
	v_or3_b32 v17, v17, v20, v18
	global_store_b64 v[0:1], v[16:17], off
	v_add_co_u32 v0, vcc_lo, 0x80, v0
	v_add_co_ci_u32_e32 v1, vcc_lo, 0, v1, vcc_lo
	s_and_not1_b32 exec_lo, exec_lo, s15
	s_cbranch_execnz .LBB12_29
.LBB12_30:
	s_or_b32 exec_lo, exec_lo, s13
	v_lshlrev_b32_e32 v2, 3, v11
	s_mov_b32 s2, exec_lo
	s_delay_alu instid0(VALU_DEP_1) | instskip(NEXT) | instid1(VALU_DEP_1)
	v_add_nc_u32_e32 v0, v2, v9
	v_cmpx_lt_i32_e64 v0, v3
	s_cbranch_execz .LBB12_40
; %bb.31:
	v_add_nc_u32_e32 v1, 16, v0
	v_add_co_u32 v7, vcc_lo, v7, v6
	v_add_co_ci_u32_e32 v8, vcc_lo, v8, v12, vcc_lo
	s_delay_alu instid0(VALU_DEP_3) | instskip(SKIP_2) | instid1(VALU_DEP_1)
	v_max_i32_e32 v13, v1, v3
	s_mov_b32 s0, 0
                                        ; implicit-def: $vgpr12
	s_mov_b32 s1, exec_lo
	v_xad_u32 v13, v9, -1, v13
	s_delay_alu instid0(VALU_DEP_1) | instskip(NEXT) | instid1(VALU_DEP_1)
	v_sub_nc_u32_e32 v2, v13, v2
	v_cmpx_lt_u32_e32 15, v2
	s_xor_b32 s3, exec_lo, s1
	s_cbranch_execnz .LBB12_34
; %bb.32:
	s_and_not1_saveexec_b32 s1, s3
	s_cbranch_execnz .LBB12_37
.LBB12_33:
	s_or_b32 exec_lo, exec_lo, s1
	s_delay_alu instid0(SALU_CYCLE_1)
	s_and_b32 exec_lo, exec_lo, s0
	s_cbranch_execnz .LBB12_38
	s_branch .LBB12_40
.LBB12_34:
	v_lshrrev_b32_e32 v2, 4, v2
	v_lshlrev_b32_e32 v4, 1, v6
	v_lshlrev_b32_e32 v11, 4, v11
	s_mov_b32 s0, s10
	s_mov_b32 s1, s10
	v_add_nc_u32_e32 v6, 1, v2
	v_lshlrev_b32_e32 v2, 1, v9
	s_mov_b32 s4, s11
	s_mov_b32 s5, s11
	v_max_f32_e64 v13, s1, s1
	v_and_b32_e32 v9, 0x1ffffffe, v6
	v_lshlrev_b32_e32 v12, 1, v10
	v_mov_b32_e32 v10, v5
	v_max_f32_e64 v14, s0, s0
	v_max_f32_e64 v15, s4, s4
	v_mov_b32_e32 v17, v9
	v_add3_u32 v11, v12, v11, v4
	v_max_f32_e64 v16, s5, s5
	s_mov_b32 s4, 0
	s_delay_alu instid0(VALU_DEP_2)
	v_add3_u32 v11, v11, v2, 0
	v_mov_b32_e32 v2, v1
	v_mov_b32_e32 v1, v0
.LBB12_35:                              ; =>This Inner Loop Header: Depth=1
	ds_load_u16 v19, v11 offset:32
	ds_load_u16 v20, v11
	v_ashrrev_i32_e32 v21, 31, v2
	v_mov_b32_e32 v22, v2
	v_ashrrev_i32_e32 v23, 31, v1
	v_add_co_u32 v18, s0, v7, v1
	v_add_nc_u32_e32 v1, 32, v1
	v_add_nc_u32_e32 v11, 64, v11
	s_waitcnt lgkmcnt(1)
	v_cvt_f32_f16_e32 v24, v19
	s_waitcnt lgkmcnt(0)
	v_cvt_f32_f16_e32 v20, v20
	s_delay_alu instid0(VALU_DEP_2) | instskip(NEXT) | instid1(VALU_DEP_2)
	v_div_scale_f32 v19, null, v10, v10, v24
	v_div_scale_f32 v25, null, v5, v5, v20
	v_div_scale_f32 v28, vcc_lo, v24, v10, v24
	s_delay_alu instid0(VALU_DEP_3) | instskip(NEXT) | instid1(VALU_DEP_2)
	v_rcp_f32_e32 v26, v19
	v_rcp_f32_e32 v27, v25
	v_div_scale_f32 v29, s1, v20, v5, v20
	s_waitcnt_depctr 0xfff
	v_fma_f32 v30, -v19, v26, 1.0
	v_fma_f32 v31, -v25, v27, 1.0
	v_add_nc_u32_e32 v17, -2, v17
	v_add_nc_u32_e32 v2, 32, v2
	s_delay_alu instid0(VALU_DEP_3) | instskip(NEXT) | instid1(VALU_DEP_1)
	v_dual_fmac_f32 v26, v30, v26 :: v_dual_fmac_f32 v27, v31, v27
	v_dual_mul_f32 v30, v28, v26 :: v_dual_mul_f32 v31, v29, v27
	s_delay_alu instid0(VALU_DEP_1) | instskip(NEXT) | instid1(VALU_DEP_2)
	v_fma_f32 v32, -v19, v30, v28
	v_fma_f32 v33, -v25, v31, v29
	s_delay_alu instid0(VALU_DEP_1) | instskip(NEXT) | instid1(VALU_DEP_1)
	v_dual_fmac_f32 v30, v32, v26 :: v_dual_fmac_f32 v31, v33, v27
	v_fma_f32 v19, -v19, v30, v28
	s_delay_alu instid0(VALU_DEP_2) | instskip(NEXT) | instid1(VALU_DEP_2)
	v_fma_f32 v25, -v25, v31, v29
	v_div_fmas_f32 v26, v19, v26, v30
	s_mov_b32 vcc_lo, s1
	s_delay_alu instid0(VALU_DEP_2) | instskip(SKIP_1) | instid1(VALU_DEP_3)
	v_div_fmas_f32 v25, v25, v27, v31
	v_add_co_ci_u32_e64 v19, vcc_lo, v8, v23, s0
	v_div_fixup_f32 v23, v26, v10, v24
	s_delay_alu instid0(VALU_DEP_3) | instskip(SKIP_1) | instid1(VALU_DEP_3)
	v_div_fixup_f32 v24, v25, v5, v20
	v_add_co_u32 v20, vcc_lo, v7, v22
	v_maxmin_f32 v22, v23, v13, v16
	v_add_co_ci_u32_e32 v21, vcc_lo, v8, v21, vcc_lo
	s_delay_alu instid0(VALU_DEP_4) | instskip(SKIP_1) | instid1(VALU_DEP_4)
	v_maxmin_f32 v23, v24, v14, v15
	v_cmp_eq_u32_e32 vcc_lo, 0, v17
	v_cvt_i32_f32_e32 v22, v22
	s_delay_alu instid0(VALU_DEP_3)
	v_cvt_i32_f32_e32 v23, v23
	s_or_b32 s4, vcc_lo, s4
	s_clause 0x1
	global_store_b8 v[18:19], v23, off
	global_store_b8 v[20:21], v22, off
	s_and_not1_b32 exec_lo, exec_lo, s4
	s_cbranch_execnz .LBB12_35
; %bb.36:
	s_or_b32 exec_lo, exec_lo, s4
	v_cmp_ne_u32_e32 vcc_lo, v6, v9
	v_lshl_add_u32 v0, v9, 4, v0
                                        ; implicit-def: $vgpr10
	s_and_b32 s0, vcc_lo, exec_lo
	s_and_not1_saveexec_b32 s1, s3
	s_cbranch_execz .LBB12_33
.LBB12_37:
	v_lshlrev_b32_e32 v12, 1, v10
	s_or_b32 s0, s0, exec_lo
	s_or_b32 exec_lo, exec_lo, s1
	s_delay_alu instid0(SALU_CYCLE_1)
	s_and_b32 exec_lo, exec_lo, s0
	s_cbranch_execz .LBB12_40
.LBB12_38:
	v_lshl_add_u32 v6, v0, 1, v12
	v_ashrrev_i32_e32 v1, 31, v0
	v_max_f32_e64 v2, s10, s10
	s_mov_b32 s1, 0
	s_delay_alu instid0(VALU_DEP_3)
	v_add3_u32 v4, v6, v4, 0
	v_max_f32_e64 v6, s11, s11
	s_set_inst_prefetch_distance 0x1
	.p2align	6
.LBB12_39:                              ; =>This Inner Loop Header: Depth=1
	ds_load_u16 v9, v4
	v_add_nc_u32_e32 v4, 32, v4
	s_waitcnt lgkmcnt(0)
	v_cvt_f32_f16_e32 v10, v9
	s_delay_alu instid0(VALU_DEP_1) | instskip(SKIP_1) | instid1(VALU_DEP_2)
	v_div_scale_f32 v9, null, v5, v5, v10
	v_div_scale_f32 v13, vcc_lo, v10, v5, v10
	v_rcp_f32_e32 v11, v9
	s_waitcnt_depctr 0xfff
	v_fma_f32 v12, -v9, v11, 1.0
	s_delay_alu instid0(VALU_DEP_1) | instskip(NEXT) | instid1(VALU_DEP_1)
	v_fmac_f32_e32 v11, v12, v11
	v_mul_f32_e32 v12, v13, v11
	s_delay_alu instid0(VALU_DEP_1) | instskip(NEXT) | instid1(VALU_DEP_1)
	v_fma_f32 v14, -v9, v12, v13
	v_fmac_f32_e32 v12, v14, v11
	s_delay_alu instid0(VALU_DEP_1) | instskip(NEXT) | instid1(VALU_DEP_1)
	v_fma_f32 v9, -v9, v12, v13
	v_div_fmas_f32 v11, v9, v11, v12
	v_add_co_u32 v9, vcc_lo, v7, v0
	v_add_co_u32 v0, s0, v0, 16
	s_delay_alu instid0(VALU_DEP_3) | instskip(SKIP_2) | instid1(VALU_DEP_3)
	v_div_fixup_f32 v11, v11, v5, v10
	v_add_co_ci_u32_e32 v10, vcc_lo, v8, v1, vcc_lo
	v_add_co_ci_u32_e64 v1, vcc_lo, 0, v1, s0
	v_maxmin_f32 v11, v11, v2, v6
	v_cmp_ge_i32_e32 vcc_lo, v0, v3
	s_delay_alu instid0(VALU_DEP_2)
	v_cvt_i32_f32_e32 v11, v11
	s_or_b32 s1, vcc_lo, s1
	global_store_b8 v[9:10], v11, off
	s_and_not1_b32 exec_lo, exec_lo, s1
	s_cbranch_execnz .LBB12_39
.LBB12_40:
	s_set_inst_prefetch_distance 0x2
	s_or_b32 exec_lo, exec_lo, s2
                                        ; implicit-def: $vgpr9
                                        ; implicit-def: $vgpr5
                                        ; implicit-def: $vgpr10
                                        ; implicit-def: $vgpr1_vgpr2
.LBB12_41:
	s_and_not1_saveexec_b32 s0, s12
	s_cbranch_execz .LBB12_45
; %bb.42:
	s_ashr_i32 s12, s14, 3
	s_mov_b32 s0, exec_lo
	v_cmpx_gt_i32_e64 s12, v9
	s_cbranch_execz .LBB12_45
; %bb.43:
	v_lshlrev_b32_e32 v0, 3, v9
	v_lshlrev_b32_e32 v3, 1, v10
	;; [unrolled: 1-line block ×3, first 2 shown]
	s_delay_alu instid0(VALU_DEP_3) | instskip(SKIP_1) | instid1(VALU_DEP_3)
	v_add_co_u32 v0, vcc_lo, v1, v0
	v_add_co_ci_u32_e32 v1, vcc_lo, 0, v2, vcc_lo
	v_add3_u32 v2, v3, v4, 0
	s_delay_alu instid0(VALU_DEP_3) | instskip(NEXT) | instid1(VALU_DEP_3)
	v_add_co_u32 v0, vcc_lo, s8, v0
	v_add_co_ci_u32_e32 v1, vcc_lo, s9, v1, vcc_lo
	v_max_f32_e64 v3, s10, s10
	v_max_f32_e64 v4, s11, s11
	s_mov_b32 s8, 0
.LBB12_44:                              ; =>This Inner Loop Header: Depth=1
	ds_load_b128 v[10:13], v2
	s_waitcnt lgkmcnt(0)
	v_lshrrev_b32_e32 v6, 16, v10
	v_cvt_f32_f16_e32 v10, v10
	v_lshrrev_b32_e32 v7, 16, v11
	v_lshrrev_b32_e32 v8, 16, v12
	;; [unrolled: 1-line block ×3, first 2 shown]
	v_cvt_f32_f16_e32 v11, v11
	v_cvt_f32_f16_e32 v12, v12
	;; [unrolled: 1-line block ×3, first 2 shown]
	v_div_scale_f32 v15, null, v5, v5, v10
	v_cvt_f32_f16_e32 v6, v6
	v_div_scale_f32 v17, null, v5, v5, v11
	v_cvt_f32_f16_e32 v7, v7
	;; [unrolled: 2-line block ×4, first 2 shown]
	v_rcp_f32_e32 v23, v15
	v_div_scale_f32 v24, null, v5, v5, v6
	v_rcp_f32_e32 v26, v17
	v_div_scale_f32 v27, null, v5, v5, v7
	;; [unrolled: 2-line block ×4, first 2 shown]
	v_rcp_f32_e32 v35, v24
	v_rcp_f32_e32 v36, v27
	;; [unrolled: 1-line block ×3, first 2 shown]
	s_delay_alu instid0(VALU_DEP_1) | instskip(SKIP_4) | instid1(VALU_DEP_4)
	v_rcp_f32_e32 v38, v33
	v_fma_f32 v39, -v15, v23, 1.0
	v_add_nc_u32_e32 v2, 0x100, v2
	v_div_scale_f32 v16, vcc_lo, v10, v5, v10
	v_fma_f32 v40, -v17, v26, 1.0
	v_fmac_f32_e32 v23, v39, v23
	v_fma_f32 v41, -v19, v29, 1.0
	v_fma_f32 v42, -v21, v32, 1.0
	;; [unrolled: 1-line block ×3, first 2 shown]
	v_dual_fmac_f32 v26, v40, v26 :: v_dual_add_nc_u32 v9, 16, v9
	v_div_scale_f32 v18, s1, v11, v5, v11
	v_div_scale_f32 v20, s2, v12, v5, v12
	;; [unrolled: 1-line block ×4, first 2 shown]
	v_fma_f32 v40, -v27, v36, 1.0
	v_dual_fmac_f32 v29, v41, v29 :: v_dual_fmac_f32 v32, v42, v32
	v_fma_f32 v41, -v30, v37, 1.0
	v_fma_f32 v42, -v33, v38, 1.0
	v_mul_f32_e32 v43, v16, v23
	v_dual_fmac_f32 v35, v39, v35 :: v_dual_fmac_f32 v36, v40, v36
	v_div_scale_f32 v28, s5, v7, v5, v7
	v_div_scale_f32 v31, s6, v8, v5, v8
	v_dual_mul_f32 v39, v18, v26 :: v_dual_mul_f32 v40, v20, v29
	s_delay_alu instid0(VALU_DEP_3)
	v_dual_fmac_f32 v37, v41, v37 :: v_dual_mul_f32 v46, v28, v36
	v_dual_mul_f32 v41, v22, v32 :: v_dual_mul_f32 v44, v25, v35
	v_fmac_f32_e32 v38, v42, v38
	v_fma_f32 v42, -v15, v43, v16
	v_fma_f32 v45, -v17, v39, v18
	;; [unrolled: 1-line block ×3, first 2 shown]
	v_mul_f32_e32 v48, v31, v37
	v_div_scale_f32 v34, s7, v14, v5, v14
	v_fmac_f32_e32 v43, v42, v23
	v_fma_f32 v42, -v24, v44, v25
	v_dual_fmac_f32 v39, v45, v26 :: v_dual_fmac_f32 v40, v47, v29
	v_fma_f32 v45, -v27, v46, v28
	s_delay_alu instid0(VALU_DEP_4) | instskip(NEXT) | instid1(VALU_DEP_4)
	v_fma_f32 v15, -v15, v43, v16
	v_fmac_f32_e32 v44, v42, v35
	s_delay_alu instid0(VALU_DEP_4)
	v_fma_f32 v16, -v17, v39, v18
	v_fma_f32 v17, -v19, v40, v20
	;; [unrolled: 1-line block ×3, first 2 shown]
	v_div_fmas_f32 v15, v15, v23, v43
	v_fma_f32 v19, -v24, v44, v25
	s_mov_b32 vcc_lo, s4
	v_fma_f32 v47, -v30, v48, v31
	v_dual_mul_f32 v50, v34, v38 :: v_dual_fmac_f32 v41, v49, v32
	v_div_fixup_f32 v10, v15, v5, v10
	v_div_fmas_f32 v15, v19, v35, v44
	s_mov_b32 vcc_lo, s1
	s_delay_alu instid0(VALU_DEP_3)
	v_fma_f32 v49, -v33, v50, v34
	v_div_fmas_f32 v16, v16, v26, v39
	s_mov_b32 vcc_lo, s5
	v_fma_f32 v18, -v21, v41, v22
	v_div_fixup_f32 v6, v15, v5, v6
	v_maxmin_f32 v10, v10, v3, v4
	v_div_fixup_f32 v11, v16, v5, v11
	v_cmp_le_i32_e64 s0, s12, v9
	s_delay_alu instid0(VALU_DEP_4) | instskip(NEXT) | instid1(VALU_DEP_4)
	v_maxmin_f32 v6, v6, v3, v4
	v_cvt_i32_f32_e32 v10, v10
	s_delay_alu instid0(VALU_DEP_4) | instskip(NEXT) | instid1(VALU_DEP_4)
	v_maxmin_f32 v11, v11, v3, v4
	s_or_b32 s8, s0, s8
	s_delay_alu instid0(VALU_DEP_3) | instskip(NEXT) | instid1(VALU_DEP_3)
	v_cvt_i32_f32_e32 v6, v6
	v_and_b32_e32 v10, 0xff, v10
	s_delay_alu instid0(VALU_DEP_3) | instskip(SKIP_1) | instid1(VALU_DEP_4)
	v_cvt_i32_f32_e32 v11, v11
	v_fmac_f32_e32 v46, v45, v36
	v_and_b32_e32 v6, 0xff, v6
	s_delay_alu instid0(VALU_DEP_3) | instskip(NEXT) | instid1(VALU_DEP_3)
	v_and_b32_e32 v11, 0xff, v11
	v_fma_f32 v20, -v27, v46, v28
	v_fmac_f32_e32 v50, v49, v38
	s_delay_alu instid0(VALU_DEP_4) | instskip(NEXT) | instid1(VALU_DEP_4)
	v_lshlrev_b32_e32 v6, 8, v6
	v_lshlrev_b32_e32 v11, 16, v11
	s_delay_alu instid0(VALU_DEP_4)
	v_div_fmas_f32 v19, v20, v36, v46
	s_mov_b32 vcc_lo, s2
	v_fma_f32 v22, -v33, v50, v34
	v_div_fmas_f32 v15, v17, v29, v40
	s_mov_b32 vcc_lo, s6
	v_div_fixup_f32 v7, v19, v5, v7
	s_delay_alu instid0(VALU_DEP_2) | instskip(NEXT) | instid1(VALU_DEP_2)
	v_div_fixup_f32 v12, v15, v5, v12
	v_maxmin_f32 v7, v7, v3, v4
	s_delay_alu instid0(VALU_DEP_2) | instskip(NEXT) | instid1(VALU_DEP_2)
	v_maxmin_f32 v12, v12, v3, v4
	v_cvt_i32_f32_e32 v7, v7
	v_fmac_f32_e32 v48, v47, v37
	s_delay_alu instid0(VALU_DEP_3) | instskip(NEXT) | instid1(VALU_DEP_3)
	v_cvt_i32_f32_e32 v12, v12
	v_lshlrev_b32_e32 v7, 24, v7
	s_delay_alu instid0(VALU_DEP_3) | instskip(NEXT) | instid1(VALU_DEP_3)
	v_fma_f32 v21, -v30, v48, v31
	v_and_b32_e32 v12, 0xff, v12
	s_delay_alu instid0(VALU_DEP_3) | instskip(NEXT) | instid1(VALU_DEP_3)
	v_or3_b32 v6, v7, v11, v6
	v_div_fmas_f32 v16, v21, v37, v48
	s_mov_b32 vcc_lo, s3
	v_div_fmas_f32 v17, v18, v32, v41
	s_mov_b32 vcc_lo, s7
	s_delay_alu instid0(VALU_DEP_2) | instskip(SKIP_3) | instid1(VALU_DEP_4)
	v_div_fixup_f32 v8, v16, v5, v8
	v_div_fmas_f32 v15, v22, v38, v50
	v_or_b32_e32 v6, v6, v10
	v_div_fixup_f32 v13, v17, v5, v13
	v_maxmin_f32 v8, v8, v3, v4
	s_delay_alu instid0(VALU_DEP_4) | instskip(NEXT) | instid1(VALU_DEP_3)
	v_div_fixup_f32 v14, v15, v5, v14
	v_maxmin_f32 v13, v13, v3, v4
	s_delay_alu instid0(VALU_DEP_3) | instskip(NEXT) | instid1(VALU_DEP_3)
	v_cvt_i32_f32_e32 v8, v8
	v_maxmin_f32 v14, v14, v3, v4
	s_delay_alu instid0(VALU_DEP_3) | instskip(NEXT) | instid1(VALU_DEP_3)
	v_cvt_i32_f32_e32 v13, v13
	v_and_b32_e32 v8, 0xff, v8
	s_delay_alu instid0(VALU_DEP_3) | instskip(NEXT) | instid1(VALU_DEP_3)
	v_cvt_i32_f32_e32 v14, v14
	v_and_b32_e32 v13, 0xff, v13
	s_delay_alu instid0(VALU_DEP_3) | instskip(NEXT) | instid1(VALU_DEP_3)
	v_lshlrev_b32_e32 v7, 8, v8
	v_lshlrev_b32_e32 v14, 24, v14
	s_delay_alu instid0(VALU_DEP_3) | instskip(NEXT) | instid1(VALU_DEP_1)
	v_lshlrev_b32_e32 v8, 16, v13
	v_or_b32_e32 v8, v14, v8
	s_delay_alu instid0(VALU_DEP_1)
	v_or3_b32 v7, v8, v7, v12
	global_store_b64 v[0:1], v[6:7], off
	v_add_co_u32 v0, vcc_lo, 0x80, v0
	v_add_co_ci_u32_e32 v1, vcc_lo, 0, v1, vcc_lo
	s_and_not1_b32 exec_lo, exec_lo, s8
	s_cbranch_execnz .LBB12_44
.LBB12_45:
	s_nop 0
	s_sendmsg sendmsg(MSG_DEALLOC_VGPRS)
	s_endpgm
	.section	.rodata,"a",@progbits
	.p2align	6, 0x0
	.amdhsa_kernel _Z33per_token_group_quant_8bit_kernelIN3c104HalfEaLb1ELb1EfEvPKT_PvPT3_iiifffii
		.amdhsa_group_segment_fixed_size 0
		.amdhsa_private_segment_fixed_size 0
		.amdhsa_kernarg_size 56
		.amdhsa_user_sgpr_count 15
		.amdhsa_user_sgpr_dispatch_ptr 0
		.amdhsa_user_sgpr_queue_ptr 0
		.amdhsa_user_sgpr_kernarg_segment_ptr 1
		.amdhsa_user_sgpr_dispatch_id 0
		.amdhsa_user_sgpr_private_segment_size 0
		.amdhsa_wavefront_size32 1
		.amdhsa_uses_dynamic_stack 0
		.amdhsa_enable_private_segment 0
		.amdhsa_system_sgpr_workgroup_id_x 1
		.amdhsa_system_sgpr_workgroup_id_y 0
		.amdhsa_system_sgpr_workgroup_id_z 0
		.amdhsa_system_sgpr_workgroup_info 0
		.amdhsa_system_vgpr_workitem_id 0
		.amdhsa_next_free_vgpr 60
		.amdhsa_next_free_sgpr 17
		.amdhsa_reserve_vcc 1
		.amdhsa_float_round_mode_32 0
		.amdhsa_float_round_mode_16_64 0
		.amdhsa_float_denorm_mode_32 3
		.amdhsa_float_denorm_mode_16_64 3
		.amdhsa_dx10_clamp 1
		.amdhsa_ieee_mode 1
		.amdhsa_fp16_overflow 0
		.amdhsa_workgroup_processor_mode 1
		.amdhsa_memory_ordered 1
		.amdhsa_forward_progress 0
		.amdhsa_shared_vgpr_count 0
		.amdhsa_exception_fp_ieee_invalid_op 0
		.amdhsa_exception_fp_denorm_src 0
		.amdhsa_exception_fp_ieee_div_zero 0
		.amdhsa_exception_fp_ieee_overflow 0
		.amdhsa_exception_fp_ieee_underflow 0
		.amdhsa_exception_fp_ieee_inexact 0
		.amdhsa_exception_int_div_zero 0
	.end_amdhsa_kernel
	.section	.text._Z33per_token_group_quant_8bit_kernelIN3c104HalfEaLb1ELb1EfEvPKT_PvPT3_iiifffii,"axG",@progbits,_Z33per_token_group_quant_8bit_kernelIN3c104HalfEaLb1ELb1EfEvPKT_PvPT3_iiifffii,comdat
.Lfunc_end12:
	.size	_Z33per_token_group_quant_8bit_kernelIN3c104HalfEaLb1ELb1EfEvPKT_PvPT3_iiifffii, .Lfunc_end12-_Z33per_token_group_quant_8bit_kernelIN3c104HalfEaLb1ELb1EfEvPKT_PvPT3_iiifffii
                                        ; -- End function
	.section	.AMDGPU.csdata,"",@progbits
; Kernel info:
; codeLenInByte = 6036
; NumSgprs: 19
; NumVgprs: 60
; ScratchSize: 0
; MemoryBound: 0
; FloatMode: 240
; IeeeMode: 1
; LDSByteSize: 0 bytes/workgroup (compile time only)
; SGPRBlocks: 2
; VGPRBlocks: 7
; NumSGPRsForWavesPerEU: 19
; NumVGPRsForWavesPerEU: 60
; Occupancy: 16
; WaveLimiterHint : 0
; COMPUTE_PGM_RSRC2:SCRATCH_EN: 0
; COMPUTE_PGM_RSRC2:USER_SGPR: 15
; COMPUTE_PGM_RSRC2:TRAP_HANDLER: 0
; COMPUTE_PGM_RSRC2:TGID_X_EN: 1
; COMPUTE_PGM_RSRC2:TGID_Y_EN: 0
; COMPUTE_PGM_RSRC2:TGID_Z_EN: 0
; COMPUTE_PGM_RSRC2:TIDIG_COMP_CNT: 0
	.section	.text._Z33per_token_group_quant_8bit_kernelIN3c104HalfEaLb1ELb0EfEvPKT_PvPT3_iiifffii,"axG",@progbits,_Z33per_token_group_quant_8bit_kernelIN3c104HalfEaLb1ELb0EfEvPKT_PvPT3_iiifffii,comdat
	.protected	_Z33per_token_group_quant_8bit_kernelIN3c104HalfEaLb1ELb0EfEvPKT_PvPT3_iiifffii ; -- Begin function _Z33per_token_group_quant_8bit_kernelIN3c104HalfEaLb1ELb0EfEvPKT_PvPT3_iiifffii
	.globl	_Z33per_token_group_quant_8bit_kernelIN3c104HalfEaLb1ELb0EfEvPKT_PvPT3_iiifffii
	.p2align	8
	.type	_Z33per_token_group_quant_8bit_kernelIN3c104HalfEaLb1ELb0EfEvPKT_PvPT3_iiifffii,@function
_Z33per_token_group_quant_8bit_kernelIN3c104HalfEaLb1ELb0EfEvPKT_PvPT3_iiifffii: ; @_Z33per_token_group_quant_8bit_kernelIN3c104HalfEaLb1ELb0EfEvPKT_PvPT3_iiifffii
; %bb.0:
	s_clause 0x1
	s_load_b128 s[8:11], s[0:1], 0x20
	s_load_b32 s14, s[0:1], 0x18
	v_lshrrev_b32_e32 v7, 4, v0
	s_load_b64 s[2:3], s[0:1], 0x30
	v_and_b32_e32 v9, 15, v0
                                        ; implicit-def: $vgpr13
	s_waitcnt lgkmcnt(0)
	s_mul_i32 s15, s15, s8
	s_ashr_i32 s6, s14, 31
	v_add_co_u32 v11, s4, s15, v7
	s_delay_alu instid0(VALU_DEP_1) | instskip(SKIP_1) | instid1(VALU_DEP_2)
	v_add_co_ci_u32_e64 v12, null, 0, 0, s4
	s_load_b64 s[4:5], s[0:1], 0x0
	v_mul_lo_u32 v4, v11, s6
	v_mad_u64_u32 v[1:2], null, v11, s14, 0
	s_delay_alu instid0(VALU_DEP_3) | instskip(SKIP_2) | instid1(SALU_CYCLE_1)
	v_mul_lo_u32 v3, v12, s14
	v_mul_lo_u32 v10, v7, s14
	s_and_b32 s6, s14, 7
	s_cmp_eq_u32 s6, 0
	s_cselect_b32 s15, -1, 0
	s_cmp_lg_u32 s6, 0
	s_delay_alu instid0(VALU_DEP_2) | instskip(NEXT) | instid1(VALU_DEP_2)
	v_add3_u32 v2, v2, v4, v3
	v_lshl_add_u32 v0, v10, 1, 0
	s_cselect_b32 s6, -1, 0
	s_delay_alu instid0(VALU_DEP_2) | instskip(SKIP_1) | instid1(VALU_DEP_1)
	v_lshlrev_b64 v[3:4], 1, v[1:2]
	s_waitcnt lgkmcnt(0)
	v_add_co_u32 v5, vcc_lo, s4, v3
	v_mov_b32_e32 v8, 0
	s_delay_alu instid0(VALU_DEP_3) | instskip(NEXT) | instid1(VALU_DEP_3)
	v_add_co_ci_u32_e32 v6, vcc_lo, s5, v4, vcc_lo
	v_and_b32_e32 v7, 15, v5
	s_delay_alu instid0(VALU_DEP_1) | instskip(SKIP_1) | instid1(SALU_CYCLE_1)
	v_cmp_ne_u64_e32 vcc_lo, 0, v[7:8]
	s_or_b32 s6, s6, vcc_lo
	s_and_saveexec_b32 s7, s6
	s_delay_alu instid0(SALU_CYCLE_1)
	s_xor_b32 s6, exec_lo, s7
	s_cbranch_execz .LBB13_12
; %bb.1:
	v_sub_nc_u32_e32 v7, 0, v5
	v_mov_b32_e32 v13, s9
	s_mov_b32 s7, exec_lo
	s_delay_alu instid0(VALU_DEP_2) | instskip(NEXT) | instid1(VALU_DEP_1)
	v_bfe_u32 v7, v7, 1, 3
	v_min_i32_e32 v7, s14, v7
	s_delay_alu instid0(VALU_DEP_1)
	v_cmpx_gt_i32_e64 v7, v9
	s_cbranch_execz .LBB13_3
; %bb.2:
	v_max_f32_e64 v13, s9, s9
	v_lshlrev_b32_e32 v8, 1, v9
	s_delay_alu instid0(VALU_DEP_1) | instskip(SKIP_4) | instid1(VALU_DEP_1)
	v_add_co_u32 v5, vcc_lo, v5, v8
	v_add_co_ci_u32_e32 v6, vcc_lo, 0, v6, vcc_lo
	global_load_u16 v5, v[5:6], off
	s_waitcnt vmcnt(0)
	v_cvt_f32_f16_e64 v6, |v5|
	v_dual_max_f32 v13, v13, v6 :: v_dual_add_nc_u32 v8, v0, v8
	ds_store_b16 v8, v5
.LBB13_3:
	s_or_b32 exec_lo, exec_lo, s7
	v_sub_nc_u32_e32 v14, s14, v7
	v_ashrrev_i32_e32 v8, 31, v7
	v_lshlrev_b32_e32 v15, 1, v7
	s_mov_b32 s7, exec_lo
	s_delay_alu instid0(VALU_DEP_3) | instskip(NEXT) | instid1(VALU_DEP_1)
	v_ashrrev_i32_e32 v5, 31, v14
	v_lshrrev_b32_e32 v5, 29, v5
	s_delay_alu instid0(VALU_DEP_1) | instskip(NEXT) | instid1(VALU_DEP_1)
	v_add_nc_u32_e32 v5, v14, v5
	v_ashrrev_i32_e32 v16, 3, v5
	v_lshlrev_b64 v[5:6], 1, v[7:8]
	s_delay_alu instid0(VALU_DEP_2)
	v_cmpx_gt_i32_e64 v16, v9
	s_cbranch_execz .LBB13_7
; %bb.4:
	v_lshlrev_b32_e32 v7, 4, v9
	s_mov_b32 s8, 0
	s_delay_alu instid0(VALU_DEP_1) | instskip(SKIP_2) | instid1(VALU_DEP_3)
	v_add_co_u32 v8, vcc_lo, v3, v7
	v_add_co_ci_u32_e32 v17, vcc_lo, 0, v4, vcc_lo
	v_lshl_add_u32 v7, v10, 1, v7
	v_add_co_u32 v8, vcc_lo, v8, v5
	s_delay_alu instid0(VALU_DEP_3) | instskip(NEXT) | instid1(VALU_DEP_2)
	v_add_co_ci_u32_e32 v17, vcc_lo, v17, v6, vcc_lo
	v_add_co_u32 v8, vcc_lo, v8, s4
	s_delay_alu instid0(VALU_DEP_2) | instskip(SKIP_1) | instid1(VALU_DEP_3)
	v_add_co_ci_u32_e32 v18, vcc_lo, s5, v17, vcc_lo
	v_add3_u32 v17, v7, v15, 0
	v_add_co_u32 v7, vcc_lo, v8, 8
	s_delay_alu instid0(VALU_DEP_3)
	v_add_co_ci_u32_e32 v8, vcc_lo, 0, v18, vcc_lo
	v_mov_b32_e32 v18, v9
	s_set_inst_prefetch_distance 0x1
	.p2align	6
.LBB13_5:                               ; =>This Inner Loop Header: Depth=1
	global_load_b128 v[19:22], v[7:8], off offset:-8
	v_add_nc_u32_e32 v18, 16, v18
	v_add_co_u32 v7, vcc_lo, 0x100, v7
	v_add_co_ci_u32_e32 v8, vcc_lo, 0, v8, vcc_lo
	s_delay_alu instid0(VALU_DEP_3)
	v_cmp_ge_i32_e32 vcc_lo, v18, v16
	s_or_b32 s8, vcc_lo, s8
	s_waitcnt vmcnt(0)
	v_lshrrev_b32_e32 v23, 16, v19
	v_cvt_f32_f16_e64 v24, |v19|
	v_lshrrev_b32_e32 v25, 16, v20
	v_cvt_f32_f16_e64 v26, |v20|
	;; [unrolled: 2-line block ×3, first 2 shown]
	ds_store_b128 v17, v[19:22]
	v_cvt_f32_f16_e64 v25, |v25|
	v_add_nc_u32_e32 v17, 0x100, v17
	v_cvt_f32_f16_e64 v27, |v27|
	v_max3_f32 v13, v13, v24, v23
	v_cvt_f32_f16_e64 v23, |v21|
	v_lshrrev_b32_e32 v24, 16, v22
	s_delay_alu instid0(VALU_DEP_3) | instskip(SKIP_1) | instid1(VALU_DEP_3)
	v_max3_f32 v13, v13, v26, v25
	v_cvt_f32_f16_e64 v25, |v22|
	v_cvt_f32_f16_e64 v24, |v24|
	s_delay_alu instid0(VALU_DEP_3) | instskip(NEXT) | instid1(VALU_DEP_1)
	v_max3_f32 v13, v13, v23, v27
	v_max3_f32 v13, v13, v25, v24
	s_and_not1_b32 exec_lo, exec_lo, s8
	s_cbranch_execnz .LBB13_5
; %bb.6:
	s_set_inst_prefetch_distance 0x2
	s_or_b32 exec_lo, exec_lo, s8
.LBB13_7:
	s_delay_alu instid0(SALU_CYCLE_1) | instskip(SKIP_2) | instid1(VALU_DEP_1)
	s_or_b32 exec_lo, exec_lo, s7
	v_lshl_add_u32 v7, v16, 3, v9
	s_mov_b32 s7, exec_lo
	v_cmpx_lt_i32_e64 v7, v14
	s_cbranch_execz .LBB13_11
; %bb.8:
	v_ashrrev_i32_e32 v8, 31, v7
	v_lshlrev_b32_e32 v19, 4, v16
	v_add_co_u32 v3, vcc_lo, v3, v5
	v_lshlrev_b32_e32 v18, 1, v10
	s_delay_alu instid0(VALU_DEP_4) | instskip(SKIP_2) | instid1(VALU_DEP_4)
	v_lshlrev_b64 v[16:17], 1, v[7:8]
	v_add_co_ci_u32_e32 v4, vcc_lo, v4, v6, vcc_lo
	v_lshlrev_b32_e32 v20, 1, v9
	v_add3_u32 v5, v18, v19, v15
	s_mov_b32 s8, 0
	s_delay_alu instid0(VALU_DEP_4) | instskip(SKIP_1) | instid1(VALU_DEP_3)
	v_add_co_u32 v3, vcc_lo, v3, v16
	v_add_co_ci_u32_e32 v4, vcc_lo, v4, v17, vcc_lo
	v_add3_u32 v5, v5, v20, 0
	s_delay_alu instid0(VALU_DEP_3) | instskip(NEXT) | instid1(VALU_DEP_3)
	v_add_co_u32 v3, vcc_lo, s4, v3
	v_add_co_ci_u32_e32 v4, vcc_lo, s5, v4, vcc_lo
	.p2align	6
.LBB13_9:                               ; =>This Inner Loop Header: Depth=1
	global_load_u16 v6, v[3:4], off
	v_dual_max_f32 v8, v13, v13 :: v_dual_add_nc_u32 v7, 16, v7
	v_add_co_u32 v3, vcc_lo, v3, 32
	v_add_co_ci_u32_e32 v4, vcc_lo, 0, v4, vcc_lo
	s_delay_alu instid0(VALU_DEP_3)
	v_cmp_ge_i32_e32 vcc_lo, v7, v14
	s_or_b32 s8, vcc_lo, s8
	s_waitcnt vmcnt(0)
	v_cvt_f32_f16_e64 v13, |v6|
	ds_store_b16 v5, v6
	v_add_nc_u32_e32 v5, 32, v5
	v_max_f32_e32 v13, v8, v13
	s_and_not1_b32 exec_lo, exec_lo, s8
	s_cbranch_execnz .LBB13_9
; %bb.10:
	s_or_b32 exec_lo, exec_lo, s8
.LBB13_11:
	s_delay_alu instid0(SALU_CYCLE_1)
	s_or_b32 exec_lo, exec_lo, s7
                                        ; implicit-def: $vgpr3_vgpr4
.LBB13_12:
	s_and_not1_saveexec_b32 s6, s6
	s_cbranch_execz .LBB13_18
; %bb.13:
	v_mov_b32_e32 v13, s9
	s_ashr_i32 s8, s14, 3
	s_mov_b32 s7, exec_lo
	v_cmpx_gt_i32_e64 s8, v9
	s_cbranch_execz .LBB13_17
; %bb.14:
	v_lshlrev_b32_e32 v5, 4, v9
	v_dual_mov_b32 v13, s9 :: v_dual_lshlrev_b32 v6, 1, v10
	s_delay_alu instid0(VALU_DEP_2) | instskip(SKIP_1) | instid1(VALU_DEP_3)
	v_add_co_u32 v3, vcc_lo, v3, v5
	v_add_co_ci_u32_e32 v4, vcc_lo, 0, v4, vcc_lo
	v_add3_u32 v5, v6, v5, 0
	s_delay_alu instid0(VALU_DEP_3) | instskip(NEXT) | instid1(VALU_DEP_3)
	v_add_co_u32 v3, vcc_lo, v3, s4
	v_add_co_ci_u32_e32 v4, vcc_lo, s5, v4, vcc_lo
	v_mov_b32_e32 v6, v9
	s_delay_alu instid0(VALU_DEP_3) | instskip(NEXT) | instid1(VALU_DEP_3)
	v_add_co_u32 v3, vcc_lo, v3, 8
	v_add_co_ci_u32_e32 v4, vcc_lo, 0, v4, vcc_lo
	s_mov_b32 s4, 0
	s_set_inst_prefetch_distance 0x1
	.p2align	6
.LBB13_15:                              ; =>This Inner Loop Header: Depth=1
	global_load_b128 v[14:17], v[3:4], off offset:-8
	v_add_nc_u32_e32 v6, 16, v6
	v_add_co_u32 v3, vcc_lo, 0x100, v3
	v_add_co_ci_u32_e32 v4, vcc_lo, 0, v4, vcc_lo
	s_delay_alu instid0(VALU_DEP_3)
	v_cmp_le_i32_e32 vcc_lo, s8, v6
	s_or_b32 s4, vcc_lo, s4
	s_waitcnt vmcnt(0)
	v_lshrrev_b32_e32 v7, 16, v14
	v_cvt_f32_f16_e64 v8, |v14|
	v_lshrrev_b32_e32 v18, 16, v15
	v_cvt_f32_f16_e64 v19, |v15|
	;; [unrolled: 2-line block ×3, first 2 shown]
	ds_store_b128 v5, v[14:17]
	v_cvt_f32_f16_e64 v18, |v18|
	v_add_nc_u32_e32 v5, 0x100, v5
	v_cvt_f32_f16_e64 v20, |v20|
	v_max3_f32 v7, v13, v8, v7
	v_cvt_f32_f16_e64 v8, |v16|
	v_lshrrev_b32_e32 v13, 16, v17
	s_delay_alu instid0(VALU_DEP_3) | instskip(SKIP_1) | instid1(VALU_DEP_3)
	v_max3_f32 v7, v7, v19, v18
	v_cvt_f32_f16_e64 v18, |v17|
	v_cvt_f32_f16_e64 v13, |v13|
	s_delay_alu instid0(VALU_DEP_3) | instskip(NEXT) | instid1(VALU_DEP_1)
	v_max3_f32 v7, v7, v8, v20
	v_max3_f32 v13, v7, v18, v13
	s_and_not1_b32 exec_lo, exec_lo, s4
	s_cbranch_execnz .LBB13_15
; %bb.16:
	s_set_inst_prefetch_distance 0x2
	s_or_b32 exec_lo, exec_lo, s4
.LBB13_17:
	s_delay_alu instid0(SALU_CYCLE_1)
	s_or_b32 exec_lo, exec_lo, s7
.LBB13_18:
	s_delay_alu instid0(SALU_CYCLE_1) | instskip(SKIP_4) | instid1(VALU_DEP_2)
	s_or_b32 exec_lo, exec_lo, s6
	v_mbcnt_lo_u32_b32 v3, -1, 0
	s_load_b64 s[8:9], s[0:1], 0x8
	s_mov_b32 s16, exec_lo
	v_max_f32_e32 v7, v13, v13
	v_xor_b32_e32 v5, 8, v3
	v_and_b32_e32 v4, 16, v3
	v_xor_b32_e32 v6, 4, v3
	s_delay_alu instid0(VALU_DEP_2) | instskip(NEXT) | instid1(VALU_DEP_1)
	v_add_nc_u32_e32 v4, 16, v4
	v_cmp_lt_i32_e32 vcc_lo, v5, v4
	v_cndmask_b32_e32 v5, v3, v5, vcc_lo
	s_delay_alu instid0(VALU_DEP_4) | instskip(NEXT) | instid1(VALU_DEP_2)
	v_cmp_lt_i32_e32 vcc_lo, v6, v4
	v_dual_cndmask_b32 v6, v3, v6 :: v_dual_lshlrev_b32 v5, 2, v5
	ds_bpermute_b32 v5, v5, v13
	s_waitcnt lgkmcnt(0)
	v_dual_max_f32 v5, v5, v5 :: v_dual_lshlrev_b32 v6, 2, v6
	s_delay_alu instid0(VALU_DEP_1)
	v_max_f32_e32 v5, v7, v5
	v_xor_b32_e32 v7, 2, v3
	ds_bpermute_b32 v6, v6, v5
	v_cmp_lt_i32_e32 vcc_lo, v7, v4
	s_waitcnt lgkmcnt(0)
	v_dual_cndmask_b32 v7, v3, v7 :: v_dual_max_f32 v6, v6, v6
	s_delay_alu instid0(VALU_DEP_1) | instskip(NEXT) | instid1(VALU_DEP_2)
	v_max_f32_e32 v5, v5, v6
	v_lshlrev_b32_e32 v7, 2, v7
	ds_bpermute_b32 v6, v7, v5
	v_xor_b32_e32 v7, 1, v3
	s_delay_alu instid0(VALU_DEP_1) | instskip(SKIP_2) | instid1(VALU_DEP_1)
	v_cmp_lt_i32_e32 vcc_lo, v7, v4
	v_cndmask_b32_e32 v3, v3, v7, vcc_lo
	s_waitcnt lgkmcnt(0)
	v_dual_max_f32 v4, v6, v6 :: v_dual_lshlrev_b32 v3, 2, v3
	s_delay_alu instid0(VALU_DEP_1) | instskip(SKIP_3) | instid1(VALU_DEP_1)
	v_max_f32_e32 v4, v5, v4
	ds_bpermute_b32 v3, v3, v4
	s_waitcnt lgkmcnt(0)
	v_max_f32_e32 v3, v3, v3
	v_max_f32_e32 v3, v4, v3
	s_delay_alu instid0(VALU_DEP_1) | instskip(SKIP_1) | instid1(VALU_DEP_2)
	v_div_scale_f32 v4, null, s11, s11, v3
	v_div_scale_f32 v7, vcc_lo, v3, s11, v3
	v_rcp_f32_e32 v5, v4
	s_waitcnt_depctr 0xfff
	v_fma_f32 v6, -v4, v5, 1.0
	s_delay_alu instid0(VALU_DEP_1) | instskip(NEXT) | instid1(VALU_DEP_1)
	v_fmac_f32_e32 v5, v6, v5
	v_mul_f32_e32 v6, v7, v5
	s_delay_alu instid0(VALU_DEP_1) | instskip(NEXT) | instid1(VALU_DEP_1)
	v_fma_f32 v8, -v4, v6, v7
	v_fmac_f32_e32 v6, v8, v5
	s_delay_alu instid0(VALU_DEP_1) | instskip(NEXT) | instid1(VALU_DEP_1)
	v_fma_f32 v4, -v4, v6, v7
	v_div_fmas_f32 v4, v4, v5, v6
	s_delay_alu instid0(VALU_DEP_1)
	v_div_fixup_f32 v5, v4, s11, v3
	v_cmpx_eq_u32_e32 0, v9
	s_cbranch_execz .LBB13_24
; %bb.19:
	s_load_b64 s[4:5], s[0:1], 0x10
	s_ashr_i32 s0, s2, 31
	v_mov_b32_e32 v3, 0
	v_or_b32_e32 v4, s0, v12
	s_mov_b32 s1, s2
	s_delay_alu instid0(VALU_DEP_1) | instskip(SKIP_1) | instid1(SALU_CYCLE_1)
	v_cmp_ne_u64_e32 vcc_lo, 0, v[3:4]
                                        ; implicit-def: $vgpr3_vgpr4
	s_and_saveexec_b32 s2, vcc_lo
	s_xor_b32 s2, exec_lo, s2
	s_cbranch_execz .LBB13_21
; %bb.20:
	s_add_u32 s12, s1, s0
	s_mov_b32 s6, s0
	s_mov_b32 s7, s0
	s_addc_u32 s13, s0, s0
	s_delay_alu instid0(SALU_CYCLE_1) | instskip(NEXT) | instid1(SALU_CYCLE_1)
	s_xor_b64 s[12:13], s[12:13], s[6:7]
	v_cvt_f32_u32_e32 v3, s12
	v_cvt_f32_u32_e32 v4, s13
	s_sub_u32 s0, 0, s12
	s_subb_u32 s7, 0, s13
	s_delay_alu instid0(VALU_DEP_1) | instskip(NEXT) | instid1(VALU_DEP_1)
	v_fmamk_f32 v3, v4, 0x4f800000, v3
	v_rcp_f32_e32 v3, v3
	s_waitcnt_depctr 0xfff
	v_mul_f32_e32 v3, 0x5f7ffffc, v3
	s_delay_alu instid0(VALU_DEP_1) | instskip(NEXT) | instid1(VALU_DEP_1)
	v_mul_f32_e32 v4, 0x2f800000, v3
	v_trunc_f32_e32 v4, v4
	s_delay_alu instid0(VALU_DEP_1) | instskip(SKIP_1) | instid1(VALU_DEP_2)
	v_fmamk_f32 v3, v4, 0xcf800000, v3
	v_cvt_u32_f32_e32 v4, v4
	v_cvt_u32_f32_e32 v3, v3
	s_delay_alu instid0(VALU_DEP_2) | instskip(NEXT) | instid1(VALU_DEP_2)
	v_mul_lo_u32 v6, s0, v4
	v_mul_hi_u32 v7, s0, v3
	v_mul_lo_u32 v8, s7, v3
	s_delay_alu instid0(VALU_DEP_2) | instskip(SKIP_1) | instid1(VALU_DEP_2)
	v_add_nc_u32_e32 v6, v7, v6
	v_mul_lo_u32 v7, s0, v3
	v_add_nc_u32_e32 v6, v6, v8
	s_delay_alu instid0(VALU_DEP_2) | instskip(NEXT) | instid1(VALU_DEP_2)
	v_mul_hi_u32 v8, v3, v7
	v_mul_lo_u32 v13, v3, v6
	v_mul_hi_u32 v14, v3, v6
	v_mul_hi_u32 v15, v4, v7
	v_mul_lo_u32 v7, v4, v7
	v_mul_hi_u32 v16, v4, v6
	v_mul_lo_u32 v6, v4, v6
	v_add_co_u32 v8, vcc_lo, v8, v13
	v_add_co_ci_u32_e32 v13, vcc_lo, 0, v14, vcc_lo
	s_delay_alu instid0(VALU_DEP_2) | instskip(NEXT) | instid1(VALU_DEP_2)
	v_add_co_u32 v7, vcc_lo, v8, v7
	v_add_co_ci_u32_e32 v7, vcc_lo, v13, v15, vcc_lo
	v_add_co_ci_u32_e32 v8, vcc_lo, 0, v16, vcc_lo
	s_delay_alu instid0(VALU_DEP_2) | instskip(NEXT) | instid1(VALU_DEP_2)
	v_add_co_u32 v6, vcc_lo, v7, v6
	v_add_co_ci_u32_e32 v7, vcc_lo, 0, v8, vcc_lo
	s_delay_alu instid0(VALU_DEP_2) | instskip(NEXT) | instid1(VALU_DEP_2)
	v_add_co_u32 v3, vcc_lo, v3, v6
	v_add_co_ci_u32_e32 v4, vcc_lo, v4, v7, vcc_lo
	s_delay_alu instid0(VALU_DEP_2) | instskip(SKIP_1) | instid1(VALU_DEP_3)
	v_mul_hi_u32 v6, s0, v3
	v_mul_lo_u32 v8, s7, v3
	v_mul_lo_u32 v7, s0, v4
	s_delay_alu instid0(VALU_DEP_1) | instskip(SKIP_1) | instid1(VALU_DEP_2)
	v_add_nc_u32_e32 v6, v6, v7
	v_mul_lo_u32 v7, s0, v3
	v_add_nc_u32_e32 v6, v6, v8
	s_delay_alu instid0(VALU_DEP_2) | instskip(NEXT) | instid1(VALU_DEP_2)
	v_mul_hi_u32 v8, v3, v7
	v_mul_lo_u32 v13, v3, v6
	v_mul_hi_u32 v14, v3, v6
	v_mul_hi_u32 v15, v4, v7
	v_mul_lo_u32 v7, v4, v7
	v_mul_hi_u32 v16, v4, v6
	v_mul_lo_u32 v6, v4, v6
	v_add_co_u32 v8, vcc_lo, v8, v13
	v_add_co_ci_u32_e32 v13, vcc_lo, 0, v14, vcc_lo
	s_delay_alu instid0(VALU_DEP_2) | instskip(NEXT) | instid1(VALU_DEP_2)
	v_add_co_u32 v7, vcc_lo, v8, v7
	v_add_co_ci_u32_e32 v7, vcc_lo, v13, v15, vcc_lo
	v_add_co_ci_u32_e32 v8, vcc_lo, 0, v16, vcc_lo
	s_delay_alu instid0(VALU_DEP_2) | instskip(NEXT) | instid1(VALU_DEP_2)
	v_add_co_u32 v6, vcc_lo, v7, v6
	v_add_co_ci_u32_e32 v7, vcc_lo, 0, v8, vcc_lo
	s_delay_alu instid0(VALU_DEP_2) | instskip(NEXT) | instid1(VALU_DEP_2)
	v_add_co_u32 v8, vcc_lo, v3, v6
	v_add_co_ci_u32_e32 v15, vcc_lo, v4, v7, vcc_lo
	s_delay_alu instid0(VALU_DEP_2) | instskip(SKIP_1) | instid1(VALU_DEP_3)
	v_mul_hi_u32 v16, v11, v8
	v_mad_u64_u32 v[6:7], null, v12, v8, 0
	v_mad_u64_u32 v[3:4], null, v11, v15, 0
	;; [unrolled: 1-line block ×3, first 2 shown]
	s_delay_alu instid0(VALU_DEP_2) | instskip(NEXT) | instid1(VALU_DEP_3)
	v_add_co_u32 v3, vcc_lo, v16, v3
	v_add_co_ci_u32_e32 v4, vcc_lo, 0, v4, vcc_lo
	s_delay_alu instid0(VALU_DEP_2) | instskip(NEXT) | instid1(VALU_DEP_2)
	v_add_co_u32 v3, vcc_lo, v3, v6
	v_add_co_ci_u32_e32 v3, vcc_lo, v4, v7, vcc_lo
	v_add_co_ci_u32_e32 v4, vcc_lo, 0, v14, vcc_lo
	s_delay_alu instid0(VALU_DEP_2) | instskip(NEXT) | instid1(VALU_DEP_2)
	v_add_co_u32 v6, vcc_lo, v3, v13
	v_add_co_ci_u32_e32 v7, vcc_lo, 0, v4, vcc_lo
	s_delay_alu instid0(VALU_DEP_2) | instskip(SKIP_1) | instid1(VALU_DEP_3)
	v_mul_lo_u32 v8, s13, v6
	v_mad_u64_u32 v[3:4], null, s12, v6, 0
	v_mul_lo_u32 v7, s12, v7
	s_delay_alu instid0(VALU_DEP_2) | instskip(NEXT) | instid1(VALU_DEP_2)
	v_sub_co_u32 v3, vcc_lo, v11, v3
	v_add3_u32 v4, v4, v7, v8
	v_add_co_u32 v8, s0, v6, 2
	s_delay_alu instid0(VALU_DEP_2) | instskip(NEXT) | instid1(VALU_DEP_1)
	v_sub_nc_u32_e32 v7, v12, v4
	v_subrev_co_ci_u32_e64 v7, s0, s13, v7, vcc_lo
	v_sub_co_u32 v13, s0, v3, s12
	v_sub_co_ci_u32_e32 v4, vcc_lo, v12, v4, vcc_lo
	s_delay_alu instid0(VALU_DEP_3) | instskip(NEXT) | instid1(VALU_DEP_3)
	v_subrev_co_ci_u32_e64 v7, s0, 0, v7, s0
	v_cmp_le_u32_e32 vcc_lo, s12, v13
	v_cndmask_b32_e64 v12, 0, -1, vcc_lo
	s_delay_alu instid0(VALU_DEP_3)
	v_cmp_le_u32_e32 vcc_lo, s13, v7
	v_cndmask_b32_e64 v13, 0, -1, vcc_lo
	v_cmp_le_u32_e32 vcc_lo, s12, v3
	v_cndmask_b32_e64 v3, 0, -1, vcc_lo
	;; [unrolled: 2-line block ×3, first 2 shown]
	v_cmp_eq_u32_e32 vcc_lo, s13, v7
	v_cndmask_b32_e32 v7, v13, v12, vcc_lo
	v_add_co_u32 v12, vcc_lo, v6, 1
	v_cmp_eq_u32_e32 vcc_lo, s13, v4
	v_cndmask_b32_e32 v3, v14, v3, vcc_lo
	s_delay_alu instid0(VALU_DEP_4) | instskip(NEXT) | instid1(VALU_DEP_4)
	v_cmp_ne_u32_e32 vcc_lo, 0, v7
	v_cndmask_b32_e32 v4, v12, v8, vcc_lo
	s_delay_alu instid0(VALU_DEP_3) | instskip(NEXT) | instid1(VALU_DEP_2)
	v_cmp_ne_u32_e32 vcc_lo, 0, v3
	v_cndmask_b32_e32 v3, v6, v4, vcc_lo
	s_delay_alu instid0(VALU_DEP_1) | instskip(NEXT) | instid1(VALU_DEP_1)
	v_xor_b32_e32 v3, s6, v3
	v_sub_co_u32 v3, vcc_lo, v3, s6
.LBB13_21:
	s_and_not1_saveexec_b32 s0, s2
	s_cbranch_execz .LBB13_23
; %bb.22:
	v_cvt_f32_u32_e32 v3, s1
	s_sub_i32 s2, 0, s1
	s_delay_alu instid0(VALU_DEP_1) | instskip(SKIP_2) | instid1(VALU_DEP_1)
	v_rcp_iflag_f32_e32 v3, v3
	s_waitcnt_depctr 0xfff
	v_mul_f32_e32 v3, 0x4f7ffffe, v3
	v_cvt_u32_f32_e32 v3, v3
	s_delay_alu instid0(VALU_DEP_1) | instskip(NEXT) | instid1(VALU_DEP_1)
	v_mul_lo_u32 v4, s2, v3
	v_mul_hi_u32 v4, v3, v4
	s_delay_alu instid0(VALU_DEP_1) | instskip(NEXT) | instid1(VALU_DEP_1)
	v_add_nc_u32_e32 v3, v3, v4
	v_mul_hi_u32 v3, v11, v3
	s_delay_alu instid0(VALU_DEP_1) | instskip(SKIP_1) | instid1(VALU_DEP_2)
	v_mul_lo_u32 v4, v3, s1
	v_add_nc_u32_e32 v6, 1, v3
	v_sub_nc_u32_e32 v4, v11, v4
	s_delay_alu instid0(VALU_DEP_1) | instskip(SKIP_1) | instid1(VALU_DEP_2)
	v_subrev_nc_u32_e32 v7, s1, v4
	v_cmp_le_u32_e32 vcc_lo, s1, v4
	v_dual_cndmask_b32 v4, v4, v7 :: v_dual_cndmask_b32 v3, v3, v6
	s_delay_alu instid0(VALU_DEP_1) | instskip(NEXT) | instid1(VALU_DEP_2)
	v_cmp_le_u32_e32 vcc_lo, s1, v4
	v_add_nc_u32_e32 v6, 1, v3
	s_delay_alu instid0(VALU_DEP_1)
	v_cndmask_b32_e32 v3, v3, v6, vcc_lo
.LBB13_23:
	s_or_b32 exec_lo, exec_lo, s0
	s_delay_alu instid0(VALU_DEP_1) | instskip(NEXT) | instid1(VALU_DEP_1)
	v_mul_lo_u32 v4, v3, s1
	v_sub_nc_u32_e32 v4, v11, v4
	s_delay_alu instid0(VALU_DEP_1) | instskip(NEXT) | instid1(VALU_DEP_1)
	v_mad_u64_u32 v[6:7], null, v4, s3, v[3:4]
	v_ashrrev_i32_e32 v7, 31, v6
	s_delay_alu instid0(VALU_DEP_1) | instskip(SKIP_1) | instid1(VALU_DEP_1)
	v_lshlrev_b64 v[3:4], 2, v[6:7]
	s_waitcnt lgkmcnt(0)
	v_add_co_u32 v3, vcc_lo, s4, v3
	s_delay_alu instid0(VALU_DEP_2)
	v_add_co_ci_u32_e32 v4, vcc_lo, s5, v4, vcc_lo
	global_store_b32 v[3:4], v5, off
.LBB13_24:
	s_or_b32 exec_lo, exec_lo, s16
	v_dual_mov_b32 v4, 0 :: v_dual_and_b32 v3, 15, v0
	s_xor_b32 s0, s15, -1
	s_waitcnt_vscnt null, 0x0
	s_barrier
	buffer_gl0_inv
	v_cmp_ne_u64_e32 vcc_lo, 0, v[3:4]
	s_or_b32 s0, s0, vcc_lo
	s_delay_alu instid0(SALU_CYCLE_1) | instskip(NEXT) | instid1(SALU_CYCLE_1)
	s_and_saveexec_b32 s1, s0
	s_xor_b32 s12, exec_lo, s1
	s_cbranch_execz .LBB13_41
; %bb.25:
	v_sub_nc_u32_e32 v3, 0, v0
	v_add_co_u32 v7, vcc_lo, s8, v1
	v_add_co_ci_u32_e32 v8, vcc_lo, s9, v2, vcc_lo
	s_delay_alu instid0(VALU_DEP_3) | instskip(SKIP_1) | instid1(VALU_DEP_1)
	v_bfe_u32 v3, v3, 1, 3
	s_mov_b32 s0, exec_lo
	v_min_i32_e32 v6, s14, v3
	s_delay_alu instid0(VALU_DEP_1)
	v_cmpx_gt_i32_e64 v6, v9
	s_cbranch_execz .LBB13_27
; %bb.26:
	v_lshl_add_u32 v0, v9, 1, v0
	ds_load_u16 v0, v0
	s_waitcnt lgkmcnt(0)
	v_cvt_f32_f16_e32 v0, v0
	s_delay_alu instid0(VALU_DEP_1) | instskip(SKIP_1) | instid1(VALU_DEP_2)
	v_div_scale_f32 v3, null, v5, v5, v0
	v_div_scale_f32 v12, vcc_lo, v0, v5, v0
	v_rcp_f32_e32 v4, v3
	s_waitcnt_depctr 0xfff
	v_fma_f32 v11, -v3, v4, 1.0
	s_delay_alu instid0(VALU_DEP_1) | instskip(NEXT) | instid1(VALU_DEP_1)
	v_fmac_f32_e32 v4, v11, v4
	v_mul_f32_e32 v11, v12, v4
	s_delay_alu instid0(VALU_DEP_1) | instskip(NEXT) | instid1(VALU_DEP_1)
	v_fma_f32 v13, -v3, v11, v12
	v_fmac_f32_e32 v11, v13, v4
	s_delay_alu instid0(VALU_DEP_1) | instskip(NEXT) | instid1(VALU_DEP_1)
	v_fma_f32 v3, -v3, v11, v12
	v_div_fmas_f32 v3, v3, v4, v11
	v_max_f32_e64 v4, s10, s10
	s_delay_alu instid0(VALU_DEP_2) | instskip(SKIP_1) | instid1(VALU_DEP_1)
	v_div_fixup_f32 v0, v3, v5, v0
	v_max_f32_e64 v3, s11, s11
	v_maxmin_f32 v0, v0, v4, v3
	v_add_co_u32 v3, vcc_lo, v7, v9
	v_add_co_ci_u32_e32 v4, vcc_lo, 0, v8, vcc_lo
	s_delay_alu instid0(VALU_DEP_3)
	v_cvt_i32_f32_e32 v0, v0
	global_store_b8 v[3:4], v0, off
.LBB13_27:
	s_or_b32 exec_lo, exec_lo, s0
	v_sub_nc_u32_e32 v3, s14, v6
	v_ashrrev_i32_e32 v12, 31, v6
	v_lshlrev_b32_e32 v4, 1, v6
	s_mov_b32 s13, exec_lo
	s_delay_alu instid0(VALU_DEP_3) | instskip(NEXT) | instid1(VALU_DEP_1)
	v_ashrrev_i32_e32 v0, 31, v3
	v_lshrrev_b32_e32 v0, 29, v0
	s_delay_alu instid0(VALU_DEP_1) | instskip(NEXT) | instid1(VALU_DEP_1)
	v_add_nc_u32_e32 v0, v3, v0
	v_ashrrev_i32_e32 v11, 3, v0
	s_delay_alu instid0(VALU_DEP_1)
	v_cmpx_gt_i32_e64 v11, v9
	s_cbranch_execz .LBB13_30
; %bb.28:
	v_dual_mov_b32 v15, v9 :: v_dual_lshlrev_b32 v0, 4, v9
	v_lshlrev_b32_e32 v13, 3, v9
	v_add_co_u32 v1, vcc_lo, v6, v1
	v_add_co_ci_u32_e32 v2, vcc_lo, v12, v2, vcc_lo
	s_delay_alu instid0(VALU_DEP_4) | instskip(SKIP_1) | instid1(VALU_DEP_4)
	v_lshl_add_u32 v0, v10, 1, v0
	v_lshlrev_b32_e32 v14, 1, v6
	v_add_co_u32 v1, vcc_lo, v1, v13
	s_delay_alu instid0(VALU_DEP_4) | instskip(NEXT) | instid1(VALU_DEP_3)
	v_add_co_ci_u32_e32 v13, vcc_lo, 0, v2, vcc_lo
	v_add3_u32 v2, v0, v14, 0
	s_delay_alu instid0(VALU_DEP_3) | instskip(NEXT) | instid1(VALU_DEP_3)
	v_add_co_u32 v0, vcc_lo, s8, v1
	v_add_co_ci_u32_e32 v1, vcc_lo, s9, v13, vcc_lo
	v_max_f32_e64 v13, s10, s10
	v_max_f32_e64 v14, s11, s11
	s_mov_b32 s15, 0
.LBB13_29:                              ; =>This Inner Loop Header: Depth=1
	ds_load_b128 v[16:19], v2
	s_waitcnt lgkmcnt(0)
	v_lshrrev_b32_e32 v20, 16, v16
	v_cvt_f32_f16_e32 v16, v16
	v_lshrrev_b32_e32 v21, 16, v17
	v_lshrrev_b32_e32 v22, 16, v18
	;; [unrolled: 1-line block ×3, first 2 shown]
	v_cvt_f32_f16_e32 v17, v17
	v_cvt_f32_f16_e32 v18, v18
	;; [unrolled: 1-line block ×3, first 2 shown]
	v_div_scale_f32 v24, null, v5, v5, v16
	v_cvt_f32_f16_e32 v20, v20
	v_div_scale_f32 v26, null, v5, v5, v17
	v_cvt_f32_f16_e32 v21, v21
	;; [unrolled: 2-line block ×4, first 2 shown]
	v_rcp_f32_e32 v32, v24
	v_div_scale_f32 v33, null, v5, v5, v20
	v_rcp_f32_e32 v35, v26
	v_div_scale_f32 v36, null, v5, v5, v21
	;; [unrolled: 2-line block ×4, first 2 shown]
	v_rcp_f32_e32 v44, v33
	v_rcp_f32_e32 v45, v36
	v_rcp_f32_e32 v46, v39
	s_delay_alu instid0(VALU_DEP_1) | instskip(SKIP_4) | instid1(VALU_DEP_4)
	v_rcp_f32_e32 v47, v42
	v_fma_f32 v48, -v24, v32, 1.0
	v_add_nc_u32_e32 v15, 16, v15
	v_div_scale_f32 v25, vcc_lo, v16, v5, v16
	v_fma_f32 v49, -v26, v35, 1.0
	v_fmac_f32_e32 v32, v48, v32
	v_fma_f32 v50, -v28, v38, 1.0
	v_fma_f32 v51, -v30, v41, 1.0
	;; [unrolled: 1-line block ×3, first 2 shown]
	v_dual_fmac_f32 v35, v49, v35 :: v_dual_add_nc_u32 v2, 0x100, v2
	v_div_scale_f32 v27, s1, v17, v5, v17
	v_div_scale_f32 v29, s2, v18, v5, v18
	;; [unrolled: 1-line block ×4, first 2 shown]
	v_fma_f32 v49, -v36, v45, 1.0
	v_dual_fmac_f32 v38, v50, v38 :: v_dual_fmac_f32 v41, v51, v41
	v_fma_f32 v50, -v39, v46, 1.0
	v_fma_f32 v51, -v42, v47, 1.0
	v_mul_f32_e32 v52, v25, v32
	v_dual_fmac_f32 v44, v48, v44 :: v_dual_fmac_f32 v45, v49, v45
	v_div_scale_f32 v37, s5, v21, v5, v21
	v_div_scale_f32 v40, s6, v22, v5, v22
	v_dual_mul_f32 v48, v27, v35 :: v_dual_mul_f32 v49, v29, v38
	s_delay_alu instid0(VALU_DEP_3)
	v_dual_fmac_f32 v46, v50, v46 :: v_dual_mul_f32 v55, v37, v45
	v_dual_mul_f32 v50, v31, v41 :: v_dual_mul_f32 v53, v34, v44
	v_fmac_f32_e32 v47, v51, v47
	v_fma_f32 v51, -v24, v52, v25
	v_fma_f32 v54, -v26, v48, v27
	v_fma_f32 v56, -v28, v49, v29
	v_mul_f32_e32 v57, v40, v46
	v_div_scale_f32 v43, s7, v23, v5, v23
	v_fmac_f32_e32 v52, v51, v32
	v_fma_f32 v51, -v33, v53, v34
	v_dual_fmac_f32 v48, v54, v35 :: v_dual_fmac_f32 v49, v56, v38
	v_fma_f32 v54, -v36, v55, v37
	s_delay_alu instid0(VALU_DEP_4) | instskip(NEXT) | instid1(VALU_DEP_4)
	v_fma_f32 v24, -v24, v52, v25
	v_fmac_f32_e32 v53, v51, v44
	s_delay_alu instid0(VALU_DEP_4)
	v_fma_f32 v25, -v26, v48, v27
	v_fma_f32 v26, -v28, v49, v29
	;; [unrolled: 1-line block ×3, first 2 shown]
	v_div_fmas_f32 v24, v24, v32, v52
	v_fma_f32 v28, -v33, v53, v34
	s_mov_b32 vcc_lo, s4
	v_fma_f32 v56, -v39, v57, v40
	v_dual_mul_f32 v59, v43, v47 :: v_dual_fmac_f32 v50, v58, v41
	v_div_fixup_f32 v16, v24, v5, v16
	v_div_fmas_f32 v24, v28, v44, v53
	s_mov_b32 vcc_lo, s1
	s_delay_alu instid0(VALU_DEP_3)
	v_fma_f32 v58, -v42, v59, v43
	v_div_fmas_f32 v25, v25, v35, v48
	v_maxmin_f32 v16, v16, v13, v14
	v_div_fixup_f32 v20, v24, v5, v20
	s_mov_b32 vcc_lo, s5
	v_fma_f32 v27, -v30, v50, v31
	v_div_fixup_f32 v17, v25, v5, v17
	v_cvt_i32_f32_e32 v16, v16
	v_maxmin_f32 v20, v20, v13, v14
	v_fmac_f32_e32 v55, v54, v45
	v_cmp_ge_i32_e64 s0, v15, v11
	v_maxmin_f32 v17, v17, v13, v14
	v_and_b32_e32 v16, 0xff, v16
	v_cvt_i32_f32_e32 v20, v20
	v_fmac_f32_e32 v57, v56, v46
	v_fma_f32 v29, -v36, v55, v37
	v_cvt_i32_f32_e32 v17, v17
	s_or_b32 s15, s0, s15
	v_and_b32_e32 v20, 0xff, v20
	v_fma_f32 v30, -v39, v57, v40
	v_div_fmas_f32 v28, v29, v45, v55
	s_mov_b32 vcc_lo, s2
	s_delay_alu instid0(VALU_DEP_3)
	v_dual_fmac_f32 v59, v58, v47 :: v_dual_lshlrev_b32 v20, 8, v20
	v_div_fmas_f32 v24, v26, v38, v49
	s_mov_b32 vcc_lo, s6
	v_div_fixup_f32 v21, v28, v5, v21
	v_div_fmas_f32 v25, v30, v46, v57
	s_mov_b32 vcc_lo, s3
	v_fma_f32 v31, -v42, v59, v43
	v_div_fmas_f32 v26, v27, v41, v50
	s_mov_b32 vcc_lo, s7
	v_div_fixup_f32 v18, v24, v5, v18
	v_div_fixup_f32 v22, v25, v5, v22
	v_div_fmas_f32 v24, v31, v47, v59
	v_div_fixup_f32 v19, v26, v5, v19
	v_maxmin_f32 v21, v21, v13, v14
	v_and_b32_e32 v17, 0xff, v17
	v_maxmin_f32 v22, v22, v13, v14
	v_div_fixup_f32 v23, v24, v5, v23
	v_maxmin_f32 v19, v19, v13, v14
	v_cvt_i32_f32_e32 v21, v21
	v_maxmin_f32 v18, v18, v13, v14
	v_cvt_i32_f32_e32 v22, v22
	v_maxmin_f32 v23, v23, v13, v14
	v_cvt_i32_f32_e32 v19, v19
	v_lshlrev_b32_e32 v21, 24, v21
	v_lshlrev_b32_e32 v17, 16, v17
	v_cvt_i32_f32_e32 v18, v18
	v_cvt_i32_f32_e32 v23, v23
	v_and_b32_e32 v19, 0xff, v19
	v_and_b32_e32 v22, 0xff, v22
	v_or3_b32 v17, v21, v17, v20
	v_and_b32_e32 v18, 0xff, v18
	v_lshlrev_b32_e32 v23, 24, v23
	v_lshlrev_b32_e32 v19, 16, v19
	;; [unrolled: 1-line block ×3, first 2 shown]
	v_or_b32_e32 v16, v17, v16
	s_delay_alu instid0(VALU_DEP_3) | instskip(NEXT) | instid1(VALU_DEP_1)
	v_or_b32_e32 v17, v23, v19
	v_or3_b32 v17, v17, v20, v18
	global_store_b64 v[0:1], v[16:17], off
	v_add_co_u32 v0, vcc_lo, 0x80, v0
	v_add_co_ci_u32_e32 v1, vcc_lo, 0, v1, vcc_lo
	s_and_not1_b32 exec_lo, exec_lo, s15
	s_cbranch_execnz .LBB13_29
.LBB13_30:
	s_or_b32 exec_lo, exec_lo, s13
	v_lshlrev_b32_e32 v2, 3, v11
	s_mov_b32 s2, exec_lo
	s_delay_alu instid0(VALU_DEP_1) | instskip(NEXT) | instid1(VALU_DEP_1)
	v_add_nc_u32_e32 v0, v2, v9
	v_cmpx_lt_i32_e64 v0, v3
	s_cbranch_execz .LBB13_40
; %bb.31:
	v_add_nc_u32_e32 v1, 16, v0
	v_add_co_u32 v7, vcc_lo, v7, v6
	v_add_co_ci_u32_e32 v8, vcc_lo, v8, v12, vcc_lo
	s_delay_alu instid0(VALU_DEP_3) | instskip(SKIP_2) | instid1(VALU_DEP_1)
	v_max_i32_e32 v13, v1, v3
	s_mov_b32 s0, 0
                                        ; implicit-def: $vgpr12
	s_mov_b32 s1, exec_lo
	v_xad_u32 v13, v9, -1, v13
	s_delay_alu instid0(VALU_DEP_1) | instskip(NEXT) | instid1(VALU_DEP_1)
	v_sub_nc_u32_e32 v2, v13, v2
	v_cmpx_lt_u32_e32 15, v2
	s_xor_b32 s3, exec_lo, s1
	s_cbranch_execnz .LBB13_34
; %bb.32:
	s_and_not1_saveexec_b32 s1, s3
	s_cbranch_execnz .LBB13_37
.LBB13_33:
	s_or_b32 exec_lo, exec_lo, s1
	s_delay_alu instid0(SALU_CYCLE_1)
	s_and_b32 exec_lo, exec_lo, s0
	s_cbranch_execnz .LBB13_38
	s_branch .LBB13_40
.LBB13_34:
	v_lshrrev_b32_e32 v2, 4, v2
	v_lshlrev_b32_e32 v4, 1, v6
	v_lshlrev_b32_e32 v11, 4, v11
	s_mov_b32 s0, s10
	s_mov_b32 s1, s10
	v_add_nc_u32_e32 v6, 1, v2
	v_lshlrev_b32_e32 v2, 1, v9
	s_mov_b32 s4, s11
	s_mov_b32 s5, s11
	v_max_f32_e64 v13, s1, s1
	v_and_b32_e32 v9, 0x1ffffffe, v6
	v_lshlrev_b32_e32 v12, 1, v10
	v_mov_b32_e32 v10, v5
	v_max_f32_e64 v14, s0, s0
	v_max_f32_e64 v15, s4, s4
	v_mov_b32_e32 v17, v9
	v_add3_u32 v11, v12, v11, v4
	v_max_f32_e64 v16, s5, s5
	s_mov_b32 s4, 0
	s_delay_alu instid0(VALU_DEP_2)
	v_add3_u32 v11, v11, v2, 0
	v_mov_b32_e32 v2, v1
	v_mov_b32_e32 v1, v0
.LBB13_35:                              ; =>This Inner Loop Header: Depth=1
	ds_load_u16 v19, v11 offset:32
	ds_load_u16 v20, v11
	v_ashrrev_i32_e32 v21, 31, v2
	v_mov_b32_e32 v22, v2
	v_ashrrev_i32_e32 v23, 31, v1
	v_add_co_u32 v18, s0, v7, v1
	v_add_nc_u32_e32 v1, 32, v1
	v_add_nc_u32_e32 v11, 64, v11
	s_waitcnt lgkmcnt(1)
	v_cvt_f32_f16_e32 v24, v19
	s_waitcnt lgkmcnt(0)
	v_cvt_f32_f16_e32 v20, v20
	s_delay_alu instid0(VALU_DEP_2) | instskip(NEXT) | instid1(VALU_DEP_2)
	v_div_scale_f32 v19, null, v10, v10, v24
	v_div_scale_f32 v25, null, v5, v5, v20
	v_div_scale_f32 v28, vcc_lo, v24, v10, v24
	s_delay_alu instid0(VALU_DEP_3) | instskip(NEXT) | instid1(VALU_DEP_2)
	v_rcp_f32_e32 v26, v19
	v_rcp_f32_e32 v27, v25
	v_div_scale_f32 v29, s1, v20, v5, v20
	s_waitcnt_depctr 0xfff
	v_fma_f32 v30, -v19, v26, 1.0
	v_fma_f32 v31, -v25, v27, 1.0
	v_add_nc_u32_e32 v17, -2, v17
	v_add_nc_u32_e32 v2, 32, v2
	s_delay_alu instid0(VALU_DEP_3) | instskip(NEXT) | instid1(VALU_DEP_1)
	v_dual_fmac_f32 v26, v30, v26 :: v_dual_fmac_f32 v27, v31, v27
	v_dual_mul_f32 v30, v28, v26 :: v_dual_mul_f32 v31, v29, v27
	s_delay_alu instid0(VALU_DEP_1) | instskip(NEXT) | instid1(VALU_DEP_2)
	v_fma_f32 v32, -v19, v30, v28
	v_fma_f32 v33, -v25, v31, v29
	s_delay_alu instid0(VALU_DEP_1) | instskip(NEXT) | instid1(VALU_DEP_1)
	v_dual_fmac_f32 v30, v32, v26 :: v_dual_fmac_f32 v31, v33, v27
	v_fma_f32 v19, -v19, v30, v28
	s_delay_alu instid0(VALU_DEP_2) | instskip(NEXT) | instid1(VALU_DEP_2)
	v_fma_f32 v25, -v25, v31, v29
	v_div_fmas_f32 v26, v19, v26, v30
	s_mov_b32 vcc_lo, s1
	s_delay_alu instid0(VALU_DEP_2) | instskip(SKIP_1) | instid1(VALU_DEP_3)
	v_div_fmas_f32 v25, v25, v27, v31
	v_add_co_ci_u32_e64 v19, vcc_lo, v8, v23, s0
	v_div_fixup_f32 v23, v26, v10, v24
	s_delay_alu instid0(VALU_DEP_3) | instskip(SKIP_1) | instid1(VALU_DEP_3)
	v_div_fixup_f32 v24, v25, v5, v20
	v_add_co_u32 v20, vcc_lo, v7, v22
	v_maxmin_f32 v22, v23, v13, v16
	v_add_co_ci_u32_e32 v21, vcc_lo, v8, v21, vcc_lo
	s_delay_alu instid0(VALU_DEP_4) | instskip(SKIP_1) | instid1(VALU_DEP_4)
	v_maxmin_f32 v23, v24, v14, v15
	v_cmp_eq_u32_e32 vcc_lo, 0, v17
	v_cvt_i32_f32_e32 v22, v22
	s_delay_alu instid0(VALU_DEP_3)
	v_cvt_i32_f32_e32 v23, v23
	s_or_b32 s4, vcc_lo, s4
	s_clause 0x1
	global_store_b8 v[18:19], v23, off
	global_store_b8 v[20:21], v22, off
	s_and_not1_b32 exec_lo, exec_lo, s4
	s_cbranch_execnz .LBB13_35
; %bb.36:
	s_or_b32 exec_lo, exec_lo, s4
	v_cmp_ne_u32_e32 vcc_lo, v6, v9
	v_lshl_add_u32 v0, v9, 4, v0
                                        ; implicit-def: $vgpr10
	s_and_b32 s0, vcc_lo, exec_lo
	s_and_not1_saveexec_b32 s1, s3
	s_cbranch_execz .LBB13_33
.LBB13_37:
	v_lshlrev_b32_e32 v12, 1, v10
	s_or_b32 s0, s0, exec_lo
	s_or_b32 exec_lo, exec_lo, s1
	s_delay_alu instid0(SALU_CYCLE_1)
	s_and_b32 exec_lo, exec_lo, s0
	s_cbranch_execz .LBB13_40
.LBB13_38:
	v_lshl_add_u32 v6, v0, 1, v12
	v_ashrrev_i32_e32 v1, 31, v0
	v_max_f32_e64 v2, s10, s10
	s_mov_b32 s1, 0
	s_delay_alu instid0(VALU_DEP_3)
	v_add3_u32 v4, v6, v4, 0
	v_max_f32_e64 v6, s11, s11
	s_set_inst_prefetch_distance 0x1
	.p2align	6
.LBB13_39:                              ; =>This Inner Loop Header: Depth=1
	ds_load_u16 v9, v4
	v_add_nc_u32_e32 v4, 32, v4
	s_waitcnt lgkmcnt(0)
	v_cvt_f32_f16_e32 v10, v9
	s_delay_alu instid0(VALU_DEP_1) | instskip(SKIP_1) | instid1(VALU_DEP_2)
	v_div_scale_f32 v9, null, v5, v5, v10
	v_div_scale_f32 v13, vcc_lo, v10, v5, v10
	v_rcp_f32_e32 v11, v9
	s_waitcnt_depctr 0xfff
	v_fma_f32 v12, -v9, v11, 1.0
	s_delay_alu instid0(VALU_DEP_1) | instskip(NEXT) | instid1(VALU_DEP_1)
	v_fmac_f32_e32 v11, v12, v11
	v_mul_f32_e32 v12, v13, v11
	s_delay_alu instid0(VALU_DEP_1) | instskip(NEXT) | instid1(VALU_DEP_1)
	v_fma_f32 v14, -v9, v12, v13
	v_fmac_f32_e32 v12, v14, v11
	s_delay_alu instid0(VALU_DEP_1) | instskip(NEXT) | instid1(VALU_DEP_1)
	v_fma_f32 v9, -v9, v12, v13
	v_div_fmas_f32 v11, v9, v11, v12
	v_add_co_u32 v9, vcc_lo, v7, v0
	v_add_co_u32 v0, s0, v0, 16
	s_delay_alu instid0(VALU_DEP_3) | instskip(SKIP_2) | instid1(VALU_DEP_3)
	v_div_fixup_f32 v11, v11, v5, v10
	v_add_co_ci_u32_e32 v10, vcc_lo, v8, v1, vcc_lo
	v_add_co_ci_u32_e64 v1, vcc_lo, 0, v1, s0
	v_maxmin_f32 v11, v11, v2, v6
	v_cmp_ge_i32_e32 vcc_lo, v0, v3
	s_delay_alu instid0(VALU_DEP_2)
	v_cvt_i32_f32_e32 v11, v11
	s_or_b32 s1, vcc_lo, s1
	global_store_b8 v[9:10], v11, off
	s_and_not1_b32 exec_lo, exec_lo, s1
	s_cbranch_execnz .LBB13_39
.LBB13_40:
	s_set_inst_prefetch_distance 0x2
	s_or_b32 exec_lo, exec_lo, s2
                                        ; implicit-def: $vgpr9
                                        ; implicit-def: $vgpr5
                                        ; implicit-def: $vgpr10
                                        ; implicit-def: $vgpr1_vgpr2
.LBB13_41:
	s_and_not1_saveexec_b32 s0, s12
	s_cbranch_execz .LBB13_45
; %bb.42:
	s_ashr_i32 s12, s14, 3
	s_mov_b32 s0, exec_lo
	v_cmpx_gt_i32_e64 s12, v9
	s_cbranch_execz .LBB13_45
; %bb.43:
	v_lshlrev_b32_e32 v0, 3, v9
	v_lshlrev_b32_e32 v3, 1, v10
	;; [unrolled: 1-line block ×3, first 2 shown]
	s_delay_alu instid0(VALU_DEP_3) | instskip(SKIP_1) | instid1(VALU_DEP_3)
	v_add_co_u32 v0, vcc_lo, v1, v0
	v_add_co_ci_u32_e32 v1, vcc_lo, 0, v2, vcc_lo
	v_add3_u32 v2, v3, v4, 0
	s_delay_alu instid0(VALU_DEP_3) | instskip(NEXT) | instid1(VALU_DEP_3)
	v_add_co_u32 v0, vcc_lo, s8, v0
	v_add_co_ci_u32_e32 v1, vcc_lo, s9, v1, vcc_lo
	v_max_f32_e64 v3, s10, s10
	v_max_f32_e64 v4, s11, s11
	s_mov_b32 s8, 0
.LBB13_44:                              ; =>This Inner Loop Header: Depth=1
	ds_load_b128 v[10:13], v2
	s_waitcnt lgkmcnt(0)
	v_lshrrev_b32_e32 v6, 16, v10
	v_cvt_f32_f16_e32 v10, v10
	v_lshrrev_b32_e32 v7, 16, v11
	v_lshrrev_b32_e32 v8, 16, v12
	;; [unrolled: 1-line block ×3, first 2 shown]
	v_cvt_f32_f16_e32 v11, v11
	v_cvt_f32_f16_e32 v12, v12
	;; [unrolled: 1-line block ×3, first 2 shown]
	v_div_scale_f32 v15, null, v5, v5, v10
	v_cvt_f32_f16_e32 v6, v6
	v_div_scale_f32 v17, null, v5, v5, v11
	v_cvt_f32_f16_e32 v7, v7
	;; [unrolled: 2-line block ×4, first 2 shown]
	v_rcp_f32_e32 v23, v15
	v_div_scale_f32 v24, null, v5, v5, v6
	v_rcp_f32_e32 v26, v17
	v_div_scale_f32 v27, null, v5, v5, v7
	;; [unrolled: 2-line block ×4, first 2 shown]
	v_rcp_f32_e32 v35, v24
	v_rcp_f32_e32 v36, v27
	;; [unrolled: 1-line block ×3, first 2 shown]
	s_delay_alu instid0(VALU_DEP_1) | instskip(SKIP_4) | instid1(VALU_DEP_4)
	v_rcp_f32_e32 v38, v33
	v_fma_f32 v39, -v15, v23, 1.0
	v_add_nc_u32_e32 v2, 0x100, v2
	v_div_scale_f32 v16, vcc_lo, v10, v5, v10
	v_fma_f32 v40, -v17, v26, 1.0
	v_fmac_f32_e32 v23, v39, v23
	v_fma_f32 v41, -v19, v29, 1.0
	v_fma_f32 v42, -v21, v32, 1.0
	;; [unrolled: 1-line block ×3, first 2 shown]
	v_dual_fmac_f32 v26, v40, v26 :: v_dual_add_nc_u32 v9, 16, v9
	v_div_scale_f32 v18, s1, v11, v5, v11
	v_div_scale_f32 v20, s2, v12, v5, v12
	;; [unrolled: 1-line block ×4, first 2 shown]
	v_fma_f32 v40, -v27, v36, 1.0
	v_dual_fmac_f32 v29, v41, v29 :: v_dual_fmac_f32 v32, v42, v32
	v_fma_f32 v41, -v30, v37, 1.0
	v_fma_f32 v42, -v33, v38, 1.0
	v_mul_f32_e32 v43, v16, v23
	v_dual_fmac_f32 v35, v39, v35 :: v_dual_fmac_f32 v36, v40, v36
	v_div_scale_f32 v28, s5, v7, v5, v7
	v_div_scale_f32 v31, s6, v8, v5, v8
	v_dual_mul_f32 v39, v18, v26 :: v_dual_mul_f32 v40, v20, v29
	s_delay_alu instid0(VALU_DEP_3)
	v_dual_fmac_f32 v37, v41, v37 :: v_dual_mul_f32 v46, v28, v36
	v_dual_mul_f32 v41, v22, v32 :: v_dual_mul_f32 v44, v25, v35
	v_fmac_f32_e32 v38, v42, v38
	v_fma_f32 v42, -v15, v43, v16
	v_fma_f32 v45, -v17, v39, v18
	;; [unrolled: 1-line block ×3, first 2 shown]
	v_mul_f32_e32 v48, v31, v37
	v_div_scale_f32 v34, s7, v14, v5, v14
	v_fmac_f32_e32 v43, v42, v23
	v_fma_f32 v42, -v24, v44, v25
	v_dual_fmac_f32 v39, v45, v26 :: v_dual_fmac_f32 v40, v47, v29
	v_fma_f32 v45, -v27, v46, v28
	s_delay_alu instid0(VALU_DEP_4) | instskip(NEXT) | instid1(VALU_DEP_4)
	v_fma_f32 v15, -v15, v43, v16
	v_fmac_f32_e32 v44, v42, v35
	s_delay_alu instid0(VALU_DEP_4)
	v_fma_f32 v16, -v17, v39, v18
	v_fma_f32 v17, -v19, v40, v20
	;; [unrolled: 1-line block ×3, first 2 shown]
	v_div_fmas_f32 v15, v15, v23, v43
	v_fma_f32 v19, -v24, v44, v25
	s_mov_b32 vcc_lo, s4
	v_fma_f32 v47, -v30, v48, v31
	v_dual_mul_f32 v50, v34, v38 :: v_dual_fmac_f32 v41, v49, v32
	v_div_fixup_f32 v10, v15, v5, v10
	v_div_fmas_f32 v15, v19, v35, v44
	s_mov_b32 vcc_lo, s1
	s_delay_alu instid0(VALU_DEP_3)
	v_fma_f32 v49, -v33, v50, v34
	v_div_fmas_f32 v16, v16, v26, v39
	s_mov_b32 vcc_lo, s5
	v_fma_f32 v18, -v21, v41, v22
	v_div_fixup_f32 v6, v15, v5, v6
	v_maxmin_f32 v10, v10, v3, v4
	v_div_fixup_f32 v11, v16, v5, v11
	v_cmp_le_i32_e64 s0, s12, v9
	s_delay_alu instid0(VALU_DEP_4) | instskip(NEXT) | instid1(VALU_DEP_4)
	v_maxmin_f32 v6, v6, v3, v4
	v_cvt_i32_f32_e32 v10, v10
	s_delay_alu instid0(VALU_DEP_4) | instskip(NEXT) | instid1(VALU_DEP_4)
	v_maxmin_f32 v11, v11, v3, v4
	s_or_b32 s8, s0, s8
	s_delay_alu instid0(VALU_DEP_3) | instskip(NEXT) | instid1(VALU_DEP_3)
	v_cvt_i32_f32_e32 v6, v6
	v_and_b32_e32 v10, 0xff, v10
	s_delay_alu instid0(VALU_DEP_3) | instskip(SKIP_1) | instid1(VALU_DEP_4)
	v_cvt_i32_f32_e32 v11, v11
	v_fmac_f32_e32 v46, v45, v36
	v_and_b32_e32 v6, 0xff, v6
	s_delay_alu instid0(VALU_DEP_3) | instskip(NEXT) | instid1(VALU_DEP_3)
	v_and_b32_e32 v11, 0xff, v11
	v_fma_f32 v20, -v27, v46, v28
	v_fmac_f32_e32 v50, v49, v38
	s_delay_alu instid0(VALU_DEP_4) | instskip(NEXT) | instid1(VALU_DEP_4)
	v_lshlrev_b32_e32 v6, 8, v6
	v_lshlrev_b32_e32 v11, 16, v11
	s_delay_alu instid0(VALU_DEP_4)
	v_div_fmas_f32 v19, v20, v36, v46
	s_mov_b32 vcc_lo, s2
	v_fma_f32 v22, -v33, v50, v34
	v_div_fmas_f32 v15, v17, v29, v40
	s_mov_b32 vcc_lo, s6
	v_div_fixup_f32 v7, v19, v5, v7
	s_delay_alu instid0(VALU_DEP_2) | instskip(NEXT) | instid1(VALU_DEP_2)
	v_div_fixup_f32 v12, v15, v5, v12
	v_maxmin_f32 v7, v7, v3, v4
	s_delay_alu instid0(VALU_DEP_2) | instskip(NEXT) | instid1(VALU_DEP_2)
	v_maxmin_f32 v12, v12, v3, v4
	v_cvt_i32_f32_e32 v7, v7
	v_fmac_f32_e32 v48, v47, v37
	s_delay_alu instid0(VALU_DEP_3) | instskip(NEXT) | instid1(VALU_DEP_3)
	v_cvt_i32_f32_e32 v12, v12
	v_lshlrev_b32_e32 v7, 24, v7
	s_delay_alu instid0(VALU_DEP_3) | instskip(NEXT) | instid1(VALU_DEP_3)
	v_fma_f32 v21, -v30, v48, v31
	v_and_b32_e32 v12, 0xff, v12
	s_delay_alu instid0(VALU_DEP_3) | instskip(NEXT) | instid1(VALU_DEP_3)
	v_or3_b32 v6, v7, v11, v6
	v_div_fmas_f32 v16, v21, v37, v48
	s_mov_b32 vcc_lo, s3
	v_div_fmas_f32 v17, v18, v32, v41
	s_mov_b32 vcc_lo, s7
	s_delay_alu instid0(VALU_DEP_2) | instskip(SKIP_3) | instid1(VALU_DEP_4)
	v_div_fixup_f32 v8, v16, v5, v8
	v_div_fmas_f32 v15, v22, v38, v50
	v_or_b32_e32 v6, v6, v10
	v_div_fixup_f32 v13, v17, v5, v13
	v_maxmin_f32 v8, v8, v3, v4
	s_delay_alu instid0(VALU_DEP_4) | instskip(NEXT) | instid1(VALU_DEP_3)
	v_div_fixup_f32 v14, v15, v5, v14
	v_maxmin_f32 v13, v13, v3, v4
	s_delay_alu instid0(VALU_DEP_3) | instskip(NEXT) | instid1(VALU_DEP_3)
	v_cvt_i32_f32_e32 v8, v8
	v_maxmin_f32 v14, v14, v3, v4
	s_delay_alu instid0(VALU_DEP_3) | instskip(NEXT) | instid1(VALU_DEP_3)
	v_cvt_i32_f32_e32 v13, v13
	v_and_b32_e32 v8, 0xff, v8
	s_delay_alu instid0(VALU_DEP_3) | instskip(NEXT) | instid1(VALU_DEP_3)
	v_cvt_i32_f32_e32 v14, v14
	v_and_b32_e32 v13, 0xff, v13
	s_delay_alu instid0(VALU_DEP_3) | instskip(NEXT) | instid1(VALU_DEP_3)
	v_lshlrev_b32_e32 v7, 8, v8
	v_lshlrev_b32_e32 v14, 24, v14
	s_delay_alu instid0(VALU_DEP_3) | instskip(NEXT) | instid1(VALU_DEP_1)
	v_lshlrev_b32_e32 v8, 16, v13
	v_or_b32_e32 v8, v14, v8
	s_delay_alu instid0(VALU_DEP_1)
	v_or3_b32 v7, v8, v7, v12
	global_store_b64 v[0:1], v[6:7], off
	v_add_co_u32 v0, vcc_lo, 0x80, v0
	v_add_co_ci_u32_e32 v1, vcc_lo, 0, v1, vcc_lo
	s_and_not1_b32 exec_lo, exec_lo, s8
	s_cbranch_execnz .LBB13_44
.LBB13_45:
	s_nop 0
	s_sendmsg sendmsg(MSG_DEALLOC_VGPRS)
	s_endpgm
	.section	.rodata,"a",@progbits
	.p2align	6, 0x0
	.amdhsa_kernel _Z33per_token_group_quant_8bit_kernelIN3c104HalfEaLb1ELb0EfEvPKT_PvPT3_iiifffii
		.amdhsa_group_segment_fixed_size 0
		.amdhsa_private_segment_fixed_size 0
		.amdhsa_kernarg_size 56
		.amdhsa_user_sgpr_count 15
		.amdhsa_user_sgpr_dispatch_ptr 0
		.amdhsa_user_sgpr_queue_ptr 0
		.amdhsa_user_sgpr_kernarg_segment_ptr 1
		.amdhsa_user_sgpr_dispatch_id 0
		.amdhsa_user_sgpr_private_segment_size 0
		.amdhsa_wavefront_size32 1
		.amdhsa_uses_dynamic_stack 0
		.amdhsa_enable_private_segment 0
		.amdhsa_system_sgpr_workgroup_id_x 1
		.amdhsa_system_sgpr_workgroup_id_y 0
		.amdhsa_system_sgpr_workgroup_id_z 0
		.amdhsa_system_sgpr_workgroup_info 0
		.amdhsa_system_vgpr_workitem_id 0
		.amdhsa_next_free_vgpr 60
		.amdhsa_next_free_sgpr 17
		.amdhsa_reserve_vcc 1
		.amdhsa_float_round_mode_32 0
		.amdhsa_float_round_mode_16_64 0
		.amdhsa_float_denorm_mode_32 3
		.amdhsa_float_denorm_mode_16_64 3
		.amdhsa_dx10_clamp 1
		.amdhsa_ieee_mode 1
		.amdhsa_fp16_overflow 0
		.amdhsa_workgroup_processor_mode 1
		.amdhsa_memory_ordered 1
		.amdhsa_forward_progress 0
		.amdhsa_shared_vgpr_count 0
		.amdhsa_exception_fp_ieee_invalid_op 0
		.amdhsa_exception_fp_denorm_src 0
		.amdhsa_exception_fp_ieee_div_zero 0
		.amdhsa_exception_fp_ieee_overflow 0
		.amdhsa_exception_fp_ieee_underflow 0
		.amdhsa_exception_fp_ieee_inexact 0
		.amdhsa_exception_int_div_zero 0
	.end_amdhsa_kernel
	.section	.text._Z33per_token_group_quant_8bit_kernelIN3c104HalfEaLb1ELb0EfEvPKT_PvPT3_iiifffii,"axG",@progbits,_Z33per_token_group_quant_8bit_kernelIN3c104HalfEaLb1ELb0EfEvPKT_PvPT3_iiifffii,comdat
.Lfunc_end13:
	.size	_Z33per_token_group_quant_8bit_kernelIN3c104HalfEaLb1ELb0EfEvPKT_PvPT3_iiifffii, .Lfunc_end13-_Z33per_token_group_quant_8bit_kernelIN3c104HalfEaLb1ELb0EfEvPKT_PvPT3_iiifffii
                                        ; -- End function
	.section	.AMDGPU.csdata,"",@progbits
; Kernel info:
; codeLenInByte = 5908
; NumSgprs: 19
; NumVgprs: 60
; ScratchSize: 0
; MemoryBound: 0
; FloatMode: 240
; IeeeMode: 1
; LDSByteSize: 0 bytes/workgroup (compile time only)
; SGPRBlocks: 2
; VGPRBlocks: 7
; NumSGPRsForWavesPerEU: 19
; NumVGPRsForWavesPerEU: 60
; Occupancy: 16
; WaveLimiterHint : 0
; COMPUTE_PGM_RSRC2:SCRATCH_EN: 0
; COMPUTE_PGM_RSRC2:USER_SGPR: 15
; COMPUTE_PGM_RSRC2:TRAP_HANDLER: 0
; COMPUTE_PGM_RSRC2:TGID_X_EN: 1
; COMPUTE_PGM_RSRC2:TGID_Y_EN: 0
; COMPUTE_PGM_RSRC2:TGID_Z_EN: 0
; COMPUTE_PGM_RSRC2:TIDIG_COMP_CNT: 0
	.section	.text._Z33per_token_group_quant_8bit_kernelIN3c104HalfEaLb0ELb1EfEvPKT_PvPT3_iiifffii,"axG",@progbits,_Z33per_token_group_quant_8bit_kernelIN3c104HalfEaLb0ELb1EfEvPKT_PvPT3_iiifffii,comdat
	.protected	_Z33per_token_group_quant_8bit_kernelIN3c104HalfEaLb0ELb1EfEvPKT_PvPT3_iiifffii ; -- Begin function _Z33per_token_group_quant_8bit_kernelIN3c104HalfEaLb0ELb1EfEvPKT_PvPT3_iiifffii
	.globl	_Z33per_token_group_quant_8bit_kernelIN3c104HalfEaLb0ELb1EfEvPKT_PvPT3_iiifffii
	.p2align	8
	.type	_Z33per_token_group_quant_8bit_kernelIN3c104HalfEaLb0ELb1EfEvPKT_PvPT3_iiifffii,@function
_Z33per_token_group_quant_8bit_kernelIN3c104HalfEaLb0ELb1EfEvPKT_PvPT3_iiifffii: ; @_Z33per_token_group_quant_8bit_kernelIN3c104HalfEaLb0ELb1EfEvPKT_PvPT3_iiifffii
; %bb.0:
	s_clause 0x1
	s_load_b128 s[8:11], s[0:1], 0x20
	s_load_b32 s12, s[0:1], 0x18
	v_lshrrev_b32_e32 v9, 4, v0
	v_and_b32_e32 v11, 15, v0
                                        ; implicit-def: $vgpr13
	s_waitcnt lgkmcnt(0)
	s_mul_i32 s15, s15, s8
	s_ashr_i32 s4, s12, 31
	v_add_co_u32 v3, s2, s15, v9
	s_delay_alu instid0(VALU_DEP_1) | instskip(SKIP_1) | instid1(VALU_DEP_2)
	v_add_co_ci_u32_e64 v4, null, 0, 0, s2
	s_load_b64 s[2:3], s[0:1], 0x0
	v_mul_lo_u32 v6, v3, s4
	v_mad_u64_u32 v[1:2], null, v3, s12, 0
	s_delay_alu instid0(VALU_DEP_3) | instskip(SKIP_2) | instid1(SALU_CYCLE_1)
	v_mul_lo_u32 v5, v4, s12
	v_mul_lo_u32 v12, v9, s12
	s_and_b32 s5, s12, 7
	s_cmp_eq_u32 s5, 0
	s_cselect_b32 s4, -1, 0
	s_cmp_lg_u32 s5, 0
	s_delay_alu instid0(VALU_DEP_2) | instskip(NEXT) | instid1(VALU_DEP_2)
	v_add3_u32 v2, v2, v6, v5
	v_lshl_add_u32 v0, v12, 1, 0
	s_cselect_b32 s5, -1, 0
	s_delay_alu instid0(VALU_DEP_2) | instskip(SKIP_1) | instid1(VALU_DEP_1)
	v_lshlrev_b64 v[5:6], 1, v[1:2]
	s_waitcnt lgkmcnt(0)
	v_add_co_u32 v7, vcc_lo, s2, v5
	v_mov_b32_e32 v10, 0
	s_delay_alu instid0(VALU_DEP_3) | instskip(NEXT) | instid1(VALU_DEP_3)
	v_add_co_ci_u32_e32 v8, vcc_lo, s3, v6, vcc_lo
	v_and_b32_e32 v9, 15, v7
	s_delay_alu instid0(VALU_DEP_1) | instskip(SKIP_1) | instid1(SALU_CYCLE_1)
	v_cmp_ne_u64_e32 vcc_lo, 0, v[9:10]
	s_or_b32 s5, s5, vcc_lo
	s_and_saveexec_b32 s6, s5
	s_delay_alu instid0(SALU_CYCLE_1)
	s_xor_b32 s5, exec_lo, s6
	s_cbranch_execz .LBB14_12
; %bb.1:
	v_sub_nc_u32_e32 v9, 0, v7
	v_mov_b32_e32 v13, s9
	s_mov_b32 s6, exec_lo
	s_delay_alu instid0(VALU_DEP_2) | instskip(NEXT) | instid1(VALU_DEP_1)
	v_bfe_u32 v9, v9, 1, 3
	v_min_i32_e32 v9, s12, v9
	s_delay_alu instid0(VALU_DEP_1)
	v_cmpx_gt_i32_e64 v9, v11
	s_cbranch_execz .LBB14_3
; %bb.2:
	v_max_f32_e64 v13, s9, s9
	v_lshlrev_b32_e32 v10, 1, v11
	s_delay_alu instid0(VALU_DEP_1) | instskip(SKIP_4) | instid1(VALU_DEP_1)
	v_add_co_u32 v7, vcc_lo, v7, v10
	v_add_co_ci_u32_e32 v8, vcc_lo, 0, v8, vcc_lo
	global_load_u16 v7, v[7:8], off
	s_waitcnt vmcnt(0)
	v_cvt_f32_f16_e64 v8, |v7|
	v_dual_max_f32 v13, v13, v8 :: v_dual_add_nc_u32 v10, v0, v10
	ds_store_b16 v10, v7
.LBB14_3:
	s_or_b32 exec_lo, exec_lo, s6
	v_sub_nc_u32_e32 v14, s12, v9
	v_ashrrev_i32_e32 v10, 31, v9
	v_lshlrev_b32_e32 v15, 1, v9
	s_mov_b32 s6, exec_lo
	s_delay_alu instid0(VALU_DEP_3) | instskip(NEXT) | instid1(VALU_DEP_1)
	v_ashrrev_i32_e32 v7, 31, v14
	v_lshrrev_b32_e32 v7, 29, v7
	s_delay_alu instid0(VALU_DEP_1) | instskip(NEXT) | instid1(VALU_DEP_1)
	v_add_nc_u32_e32 v7, v14, v7
	v_ashrrev_i32_e32 v16, 3, v7
	v_lshlrev_b64 v[7:8], 1, v[9:10]
	s_delay_alu instid0(VALU_DEP_2)
	v_cmpx_gt_i32_e64 v16, v11
	s_cbranch_execz .LBB14_7
; %bb.4:
	v_lshlrev_b32_e32 v9, 4, v11
	s_mov_b32 s7, 0
	s_delay_alu instid0(VALU_DEP_1) | instskip(SKIP_2) | instid1(VALU_DEP_3)
	v_add_co_u32 v10, vcc_lo, v5, v9
	v_add_co_ci_u32_e32 v17, vcc_lo, 0, v6, vcc_lo
	v_lshl_add_u32 v9, v12, 1, v9
	v_add_co_u32 v10, vcc_lo, v10, v7
	s_delay_alu instid0(VALU_DEP_3) | instskip(NEXT) | instid1(VALU_DEP_2)
	v_add_co_ci_u32_e32 v17, vcc_lo, v17, v8, vcc_lo
	v_add_co_u32 v10, vcc_lo, v10, s2
	s_delay_alu instid0(VALU_DEP_2) | instskip(SKIP_1) | instid1(VALU_DEP_3)
	v_add_co_ci_u32_e32 v18, vcc_lo, s3, v17, vcc_lo
	v_add3_u32 v17, v9, v15, 0
	v_add_co_u32 v9, vcc_lo, v10, 8
	s_delay_alu instid0(VALU_DEP_3)
	v_add_co_ci_u32_e32 v10, vcc_lo, 0, v18, vcc_lo
	v_mov_b32_e32 v18, v11
	s_set_inst_prefetch_distance 0x1
	.p2align	6
.LBB14_5:                               ; =>This Inner Loop Header: Depth=1
	global_load_b128 v[19:22], v[9:10], off offset:-8
	v_add_nc_u32_e32 v18, 16, v18
	v_add_co_u32 v9, vcc_lo, 0x100, v9
	v_add_co_ci_u32_e32 v10, vcc_lo, 0, v10, vcc_lo
	s_delay_alu instid0(VALU_DEP_3)
	v_cmp_ge_i32_e32 vcc_lo, v18, v16
	s_or_b32 s7, vcc_lo, s7
	s_waitcnt vmcnt(0)
	v_lshrrev_b32_e32 v23, 16, v19
	v_cvt_f32_f16_e64 v24, |v19|
	v_lshrrev_b32_e32 v25, 16, v20
	v_cvt_f32_f16_e64 v26, |v20|
	;; [unrolled: 2-line block ×3, first 2 shown]
	ds_store_b128 v17, v[19:22]
	v_cvt_f32_f16_e64 v25, |v25|
	v_add_nc_u32_e32 v17, 0x100, v17
	v_cvt_f32_f16_e64 v27, |v27|
	v_max3_f32 v13, v13, v24, v23
	v_cvt_f32_f16_e64 v23, |v21|
	v_lshrrev_b32_e32 v24, 16, v22
	s_delay_alu instid0(VALU_DEP_3) | instskip(SKIP_1) | instid1(VALU_DEP_3)
	v_max3_f32 v13, v13, v26, v25
	v_cvt_f32_f16_e64 v25, |v22|
	v_cvt_f32_f16_e64 v24, |v24|
	s_delay_alu instid0(VALU_DEP_3) | instskip(NEXT) | instid1(VALU_DEP_1)
	v_max3_f32 v13, v13, v23, v27
	v_max3_f32 v13, v13, v25, v24
	s_and_not1_b32 exec_lo, exec_lo, s7
	s_cbranch_execnz .LBB14_5
; %bb.6:
	s_set_inst_prefetch_distance 0x2
	s_or_b32 exec_lo, exec_lo, s7
.LBB14_7:
	s_delay_alu instid0(SALU_CYCLE_1) | instskip(SKIP_2) | instid1(VALU_DEP_1)
	s_or_b32 exec_lo, exec_lo, s6
	v_lshl_add_u32 v9, v16, 3, v11
	s_mov_b32 s6, exec_lo
	v_cmpx_lt_i32_e64 v9, v14
	s_cbranch_execz .LBB14_11
; %bb.8:
	v_ashrrev_i32_e32 v10, 31, v9
	v_lshlrev_b32_e32 v19, 4, v16
	v_add_co_u32 v5, vcc_lo, v5, v7
	v_lshlrev_b32_e32 v18, 1, v12
	s_delay_alu instid0(VALU_DEP_4) | instskip(SKIP_2) | instid1(VALU_DEP_4)
	v_lshlrev_b64 v[16:17], 1, v[9:10]
	v_add_co_ci_u32_e32 v6, vcc_lo, v6, v8, vcc_lo
	v_lshlrev_b32_e32 v20, 1, v11
	v_add3_u32 v7, v18, v19, v15
	s_mov_b32 s7, 0
	s_delay_alu instid0(VALU_DEP_4) | instskip(SKIP_1) | instid1(VALU_DEP_3)
	v_add_co_u32 v5, vcc_lo, v5, v16
	v_add_co_ci_u32_e32 v6, vcc_lo, v6, v17, vcc_lo
	v_add3_u32 v7, v7, v20, 0
	s_delay_alu instid0(VALU_DEP_3) | instskip(NEXT) | instid1(VALU_DEP_3)
	v_add_co_u32 v5, vcc_lo, s2, v5
	v_add_co_ci_u32_e32 v6, vcc_lo, s3, v6, vcc_lo
	.p2align	6
.LBB14_9:                               ; =>This Inner Loop Header: Depth=1
	global_load_u16 v8, v[5:6], off
	v_add_nc_u32_e32 v9, 16, v9
	v_max_f32_e32 v10, v13, v13
	v_add_co_u32 v5, vcc_lo, v5, 32
	v_add_co_ci_u32_e32 v6, vcc_lo, 0, v6, vcc_lo
	s_delay_alu instid0(VALU_DEP_4)
	v_cmp_ge_i32_e32 vcc_lo, v9, v14
	s_or_b32 s7, vcc_lo, s7
	s_waitcnt vmcnt(0)
	v_cvt_f32_f16_e64 v13, |v8|
	ds_store_b16 v7, v8
	v_add_nc_u32_e32 v7, 32, v7
	v_max_f32_e32 v13, v10, v13
	s_and_not1_b32 exec_lo, exec_lo, s7
	s_cbranch_execnz .LBB14_9
; %bb.10:
	s_or_b32 exec_lo, exec_lo, s7
.LBB14_11:
	s_delay_alu instid0(SALU_CYCLE_1)
	s_or_b32 exec_lo, exec_lo, s6
                                        ; implicit-def: $vgpr5_vgpr6
.LBB14_12:
	s_and_not1_saveexec_b32 s5, s5
	s_cbranch_execz .LBB14_18
; %bb.13:
	v_mov_b32_e32 v13, s9
	s_ashr_i32 s7, s12, 3
	s_mov_b32 s6, exec_lo
	v_cmpx_gt_i32_e64 s7, v11
	s_cbranch_execz .LBB14_17
; %bb.14:
	v_lshlrev_b32_e32 v7, 4, v11
	v_dual_mov_b32 v13, s9 :: v_dual_lshlrev_b32 v8, 1, v12
	s_delay_alu instid0(VALU_DEP_2) | instskip(SKIP_1) | instid1(VALU_DEP_3)
	v_add_co_u32 v5, vcc_lo, v5, v7
	v_add_co_ci_u32_e32 v6, vcc_lo, 0, v6, vcc_lo
	v_add3_u32 v7, v8, v7, 0
	s_delay_alu instid0(VALU_DEP_3) | instskip(NEXT) | instid1(VALU_DEP_3)
	v_add_co_u32 v5, vcc_lo, v5, s2
	v_add_co_ci_u32_e32 v6, vcc_lo, s3, v6, vcc_lo
	v_mov_b32_e32 v8, v11
	s_delay_alu instid0(VALU_DEP_3) | instskip(NEXT) | instid1(VALU_DEP_3)
	v_add_co_u32 v5, vcc_lo, v5, 8
	v_add_co_ci_u32_e32 v6, vcc_lo, 0, v6, vcc_lo
	s_mov_b32 s2, 0
	s_set_inst_prefetch_distance 0x1
	.p2align	6
.LBB14_15:                              ; =>This Inner Loop Header: Depth=1
	global_load_b128 v[14:17], v[5:6], off offset:-8
	v_add_nc_u32_e32 v8, 16, v8
	v_add_co_u32 v5, vcc_lo, 0x100, v5
	v_add_co_ci_u32_e32 v6, vcc_lo, 0, v6, vcc_lo
	s_delay_alu instid0(VALU_DEP_3)
	v_cmp_le_i32_e32 vcc_lo, s7, v8
	s_or_b32 s2, vcc_lo, s2
	s_waitcnt vmcnt(0)
	v_lshrrev_b32_e32 v9, 16, v14
	v_cvt_f32_f16_e64 v10, |v14|
	v_lshrrev_b32_e32 v18, 16, v15
	v_cvt_f32_f16_e64 v19, |v15|
	;; [unrolled: 2-line block ×3, first 2 shown]
	ds_store_b128 v7, v[14:17]
	v_cvt_f32_f16_e64 v18, |v18|
	v_add_nc_u32_e32 v7, 0x100, v7
	v_cvt_f32_f16_e64 v20, |v20|
	v_max3_f32 v9, v13, v10, v9
	v_cvt_f32_f16_e64 v10, |v16|
	v_lshrrev_b32_e32 v13, 16, v17
	s_delay_alu instid0(VALU_DEP_3) | instskip(SKIP_1) | instid1(VALU_DEP_3)
	v_max3_f32 v9, v9, v19, v18
	v_cvt_f32_f16_e64 v18, |v17|
	v_cvt_f32_f16_e64 v13, |v13|
	s_delay_alu instid0(VALU_DEP_3) | instskip(NEXT) | instid1(VALU_DEP_1)
	v_max3_f32 v9, v9, v10, v20
	v_max3_f32 v13, v9, v18, v13
	s_and_not1_b32 exec_lo, exec_lo, s2
	s_cbranch_execnz .LBB14_15
; %bb.16:
	s_set_inst_prefetch_distance 0x2
	s_or_b32 exec_lo, exec_lo, s2
.LBB14_17:
	s_delay_alu instid0(SALU_CYCLE_1)
	s_or_b32 exec_lo, exec_lo, s6
.LBB14_18:
	s_delay_alu instid0(SALU_CYCLE_1) | instskip(SKIP_4) | instid1(VALU_DEP_2)
	s_or_b32 exec_lo, exec_lo, s5
	v_mbcnt_lo_u32_b32 v5, -1, 0
	s_load_b64 s[8:9], s[0:1], 0x8
	s_mov_b32 s2, exec_lo
	v_max_f32_e32 v9, v13, v13
	v_xor_b32_e32 v7, 8, v5
	v_and_b32_e32 v6, 16, v5
	v_xor_b32_e32 v8, 4, v5
	s_delay_alu instid0(VALU_DEP_2) | instskip(NEXT) | instid1(VALU_DEP_1)
	v_add_nc_u32_e32 v6, 16, v6
	v_cmp_lt_i32_e32 vcc_lo, v7, v6
	v_cndmask_b32_e32 v7, v5, v7, vcc_lo
	s_delay_alu instid0(VALU_DEP_4) | instskip(NEXT) | instid1(VALU_DEP_2)
	v_cmp_lt_i32_e32 vcc_lo, v8, v6
	v_dual_cndmask_b32 v8, v5, v8 :: v_dual_lshlrev_b32 v7, 2, v7
	ds_bpermute_b32 v7, v7, v13
	s_waitcnt lgkmcnt(0)
	v_dual_max_f32 v7, v7, v7 :: v_dual_lshlrev_b32 v8, 2, v8
	s_delay_alu instid0(VALU_DEP_1)
	v_max_f32_e32 v7, v9, v7
	v_xor_b32_e32 v9, 2, v5
	ds_bpermute_b32 v8, v8, v7
	v_cmp_lt_i32_e32 vcc_lo, v9, v6
	s_waitcnt lgkmcnt(0)
	v_dual_cndmask_b32 v9, v5, v9 :: v_dual_max_f32 v8, v8, v8
	s_delay_alu instid0(VALU_DEP_1) | instskip(NEXT) | instid1(VALU_DEP_2)
	v_max_f32_e32 v7, v7, v8
	v_lshlrev_b32_e32 v9, 2, v9
	ds_bpermute_b32 v8, v9, v7
	v_xor_b32_e32 v9, 1, v5
	s_delay_alu instid0(VALU_DEP_1) | instskip(SKIP_2) | instid1(VALU_DEP_1)
	v_cmp_lt_i32_e32 vcc_lo, v9, v6
	v_cndmask_b32_e32 v5, v5, v9, vcc_lo
	s_waitcnt lgkmcnt(0)
	v_dual_max_f32 v6, v8, v8 :: v_dual_lshlrev_b32 v5, 2, v5
	s_delay_alu instid0(VALU_DEP_1) | instskip(SKIP_3) | instid1(VALU_DEP_1)
	v_max_f32_e32 v6, v7, v6
	ds_bpermute_b32 v5, v5, v6
	s_waitcnt lgkmcnt(0)
	v_max_f32_e32 v5, v5, v5
	v_max_f32_e32 v5, v6, v5
	s_delay_alu instid0(VALU_DEP_1) | instskip(SKIP_1) | instid1(VALU_DEP_2)
	v_div_scale_f32 v6, null, s11, s11, v5
	v_div_scale_f32 v9, vcc_lo, v5, s11, v5
	v_rcp_f32_e32 v7, v6
	s_waitcnt_depctr 0xfff
	v_fma_f32 v8, -v6, v7, 1.0
	s_delay_alu instid0(VALU_DEP_1) | instskip(NEXT) | instid1(VALU_DEP_1)
	v_fmac_f32_e32 v7, v8, v7
	v_mul_f32_e32 v8, v9, v7
	s_delay_alu instid0(VALU_DEP_1) | instskip(NEXT) | instid1(VALU_DEP_1)
	v_fma_f32 v10, -v6, v8, v9
	v_fmac_f32_e32 v8, v10, v7
	s_delay_alu instid0(VALU_DEP_1) | instskip(NEXT) | instid1(VALU_DEP_1)
	v_fma_f32 v6, -v6, v8, v9
	v_div_fmas_f32 v6, v6, v7, v8
	s_delay_alu instid0(VALU_DEP_1) | instskip(NEXT) | instid1(VALU_DEP_1)
	v_div_fixup_f32 v5, v6, s11, v5
	v_max_f32_e64 v5, 0x2edbe6ff, |v5|
	s_delay_alu instid0(VALU_DEP_1) | instskip(SKIP_1) | instid1(VALU_DEP_1)
	v_cmp_gt_f32_e32 vcc_lo, 0x800000, v5
	v_cndmask_b32_e64 v6, 1.0, 0x4f800000, vcc_lo
	v_mul_f32_e32 v5, v5, v6
	v_cndmask_b32_e64 v6, 0, 0x42000000, vcc_lo
	s_delay_alu instid0(VALU_DEP_2) | instskip(SKIP_2) | instid1(VALU_DEP_1)
	v_log_f32_e32 v5, v5
	s_waitcnt_depctr 0xfff
	v_sub_f32_e32 v5, v5, v6
	v_ceil_f32_e32 v5, v5
	s_delay_alu instid0(VALU_DEP_1) | instskip(SKIP_1) | instid1(VALU_DEP_1)
	v_cmp_gt_f32_e32 vcc_lo, 0xc2fc0000, v5
	v_cndmask_b32_e64 v6, 0, 0x42800000, vcc_lo
	v_add_f32_e32 v5, v5, v6
	v_cndmask_b32_e64 v6, 1.0, 0x1f800000, vcc_lo
	s_delay_alu instid0(VALU_DEP_2)
	v_exp_f32_e32 v5, v5
	s_waitcnt_depctr 0xfff
	v_mul_f32_e32 v5, v5, v6
	v_cmpx_eq_u32_e32 0, v11
	s_cbranch_execz .LBB14_20
; %bb.19:
	s_load_b64 s[0:1], s[0:1], 0x10
	v_lshlrev_b64 v[3:4], 2, v[3:4]
	s_waitcnt lgkmcnt(0)
	s_delay_alu instid0(VALU_DEP_1) | instskip(NEXT) | instid1(VALU_DEP_2)
	v_add_co_u32 v3, vcc_lo, s0, v3
	v_add_co_ci_u32_e32 v4, vcc_lo, s1, v4, vcc_lo
	global_store_b32 v[3:4], v5, off
.LBB14_20:
	s_or_b32 exec_lo, exec_lo, s2
	v_dual_mov_b32 v4, 0 :: v_dual_and_b32 v3, 15, v0
	s_xor_b32 s0, s4, -1
	s_waitcnt_vscnt null, 0x0
	s_barrier
	buffer_gl0_inv
	v_cmp_ne_u64_e32 vcc_lo, 0, v[3:4]
	s_or_b32 s0, s0, vcc_lo
	s_delay_alu instid0(SALU_CYCLE_1) | instskip(NEXT) | instid1(SALU_CYCLE_1)
	s_and_saveexec_b32 s1, s0
	s_xor_b32 s13, exec_lo, s1
	s_cbranch_execz .LBB14_37
; %bb.21:
	v_sub_nc_u32_e32 v3, 0, v0
	v_add_co_u32 v7, vcc_lo, s8, v1
	v_add_co_ci_u32_e32 v8, vcc_lo, s9, v2, vcc_lo
	s_delay_alu instid0(VALU_DEP_3) | instskip(SKIP_1) | instid1(VALU_DEP_1)
	v_bfe_u32 v3, v3, 1, 3
	s_mov_b32 s0, exec_lo
	v_min_i32_e32 v6, s12, v3
	s_delay_alu instid0(VALU_DEP_1)
	v_cmpx_gt_i32_e64 v6, v11
	s_cbranch_execz .LBB14_23
; %bb.22:
	v_lshl_add_u32 v0, v11, 1, v0
	ds_load_u16 v0, v0
	s_waitcnt lgkmcnt(0)
	v_cvt_f32_f16_e32 v0, v0
	s_delay_alu instid0(VALU_DEP_1) | instskip(SKIP_1) | instid1(VALU_DEP_2)
	v_div_scale_f32 v3, null, v5, v5, v0
	v_div_scale_f32 v10, vcc_lo, v0, v5, v0
	v_rcp_f32_e32 v4, v3
	s_waitcnt_depctr 0xfff
	v_fma_f32 v9, -v3, v4, 1.0
	s_delay_alu instid0(VALU_DEP_1) | instskip(NEXT) | instid1(VALU_DEP_1)
	v_fmac_f32_e32 v4, v9, v4
	v_mul_f32_e32 v9, v10, v4
	s_delay_alu instid0(VALU_DEP_1) | instskip(NEXT) | instid1(VALU_DEP_1)
	v_fma_f32 v13, -v3, v9, v10
	v_fmac_f32_e32 v9, v13, v4
	s_delay_alu instid0(VALU_DEP_1) | instskip(NEXT) | instid1(VALU_DEP_1)
	v_fma_f32 v3, -v3, v9, v10
	v_div_fmas_f32 v3, v3, v4, v9
	v_max_f32_e64 v4, s10, s10
	s_delay_alu instid0(VALU_DEP_2) | instskip(SKIP_1) | instid1(VALU_DEP_1)
	v_div_fixup_f32 v0, v3, v5, v0
	v_max_f32_e64 v3, s11, s11
	v_maxmin_f32 v0, v0, v4, v3
	v_add_co_u32 v3, vcc_lo, v7, v11
	v_add_co_ci_u32_e32 v4, vcc_lo, 0, v8, vcc_lo
	s_delay_alu instid0(VALU_DEP_3)
	v_cvt_i32_f32_e32 v0, v0
	global_store_b8 v[3:4], v0, off
.LBB14_23:
	s_or_b32 exec_lo, exec_lo, s0
	v_sub_nc_u32_e32 v3, s12, v6
	v_ashrrev_i32_e32 v10, 31, v6
	v_lshlrev_b32_e32 v4, 1, v6
	s_mov_b32 s14, exec_lo
	s_delay_alu instid0(VALU_DEP_3) | instskip(NEXT) | instid1(VALU_DEP_1)
	v_ashrrev_i32_e32 v0, 31, v3
	v_lshrrev_b32_e32 v0, 29, v0
	s_delay_alu instid0(VALU_DEP_1) | instskip(NEXT) | instid1(VALU_DEP_1)
	v_add_nc_u32_e32 v0, v3, v0
	v_ashrrev_i32_e32 v9, 3, v0
	s_delay_alu instid0(VALU_DEP_1)
	v_cmpx_gt_i32_e64 v9, v11
	s_cbranch_execz .LBB14_26
; %bb.24:
	v_dual_mov_b32 v15, v11 :: v_dual_lshlrev_b32 v0, 4, v11
	v_lshlrev_b32_e32 v13, 3, v11
	v_add_co_u32 v1, vcc_lo, v6, v1
	v_add_co_ci_u32_e32 v2, vcc_lo, v10, v2, vcc_lo
	s_delay_alu instid0(VALU_DEP_4) | instskip(SKIP_1) | instid1(VALU_DEP_4)
	v_lshl_add_u32 v0, v12, 1, v0
	v_lshlrev_b32_e32 v14, 1, v6
	v_add_co_u32 v1, vcc_lo, v1, v13
	s_delay_alu instid0(VALU_DEP_4) | instskip(NEXT) | instid1(VALU_DEP_3)
	v_add_co_ci_u32_e32 v13, vcc_lo, 0, v2, vcc_lo
	v_add3_u32 v2, v0, v14, 0
	s_delay_alu instid0(VALU_DEP_3) | instskip(NEXT) | instid1(VALU_DEP_3)
	v_add_co_u32 v0, vcc_lo, s8, v1
	v_add_co_ci_u32_e32 v1, vcc_lo, s9, v13, vcc_lo
	v_max_f32_e64 v13, s10, s10
	v_max_f32_e64 v14, s11, s11
	s_mov_b32 s15, 0
.LBB14_25:                              ; =>This Inner Loop Header: Depth=1
	ds_load_b128 v[16:19], v2
	s_waitcnt lgkmcnt(0)
	v_lshrrev_b32_e32 v20, 16, v16
	v_cvt_f32_f16_e32 v16, v16
	v_lshrrev_b32_e32 v21, 16, v17
	v_lshrrev_b32_e32 v22, 16, v18
	;; [unrolled: 1-line block ×3, first 2 shown]
	v_cvt_f32_f16_e32 v17, v17
	v_cvt_f32_f16_e32 v18, v18
	;; [unrolled: 1-line block ×3, first 2 shown]
	v_div_scale_f32 v24, null, v5, v5, v16
	v_cvt_f32_f16_e32 v20, v20
	v_div_scale_f32 v26, null, v5, v5, v17
	v_cvt_f32_f16_e32 v21, v21
	;; [unrolled: 2-line block ×4, first 2 shown]
	v_rcp_f32_e32 v32, v24
	v_div_scale_f32 v33, null, v5, v5, v20
	v_rcp_f32_e32 v35, v26
	v_div_scale_f32 v36, null, v5, v5, v21
	;; [unrolled: 2-line block ×4, first 2 shown]
	v_rcp_f32_e32 v44, v33
	v_rcp_f32_e32 v45, v36
	;; [unrolled: 1-line block ×3, first 2 shown]
	s_delay_alu instid0(VALU_DEP_1) | instskip(SKIP_4) | instid1(VALU_DEP_4)
	v_rcp_f32_e32 v47, v42
	v_fma_f32 v48, -v24, v32, 1.0
	v_add_nc_u32_e32 v15, 16, v15
	v_div_scale_f32 v25, vcc_lo, v16, v5, v16
	v_fma_f32 v49, -v26, v35, 1.0
	v_fmac_f32_e32 v32, v48, v32
	v_fma_f32 v50, -v28, v38, 1.0
	v_fma_f32 v51, -v30, v41, 1.0
	;; [unrolled: 1-line block ×3, first 2 shown]
	v_dual_fmac_f32 v35, v49, v35 :: v_dual_add_nc_u32 v2, 0x100, v2
	v_div_scale_f32 v27, s1, v17, v5, v17
	v_div_scale_f32 v29, s2, v18, v5, v18
	;; [unrolled: 1-line block ×4, first 2 shown]
	v_fma_f32 v49, -v36, v45, 1.0
	v_dual_fmac_f32 v38, v50, v38 :: v_dual_fmac_f32 v41, v51, v41
	v_fma_f32 v50, -v39, v46, 1.0
	v_fma_f32 v51, -v42, v47, 1.0
	v_mul_f32_e32 v52, v25, v32
	v_dual_fmac_f32 v44, v48, v44 :: v_dual_fmac_f32 v45, v49, v45
	v_div_scale_f32 v37, s5, v21, v5, v21
	v_div_scale_f32 v40, s6, v22, v5, v22
	v_dual_mul_f32 v48, v27, v35 :: v_dual_mul_f32 v49, v29, v38
	s_delay_alu instid0(VALU_DEP_3)
	v_dual_fmac_f32 v46, v50, v46 :: v_dual_mul_f32 v55, v37, v45
	v_dual_mul_f32 v50, v31, v41 :: v_dual_mul_f32 v53, v34, v44
	v_fmac_f32_e32 v47, v51, v47
	v_fma_f32 v51, -v24, v52, v25
	v_fma_f32 v54, -v26, v48, v27
	;; [unrolled: 1-line block ×3, first 2 shown]
	v_mul_f32_e32 v57, v40, v46
	v_div_scale_f32 v43, s7, v23, v5, v23
	v_fmac_f32_e32 v52, v51, v32
	v_fma_f32 v51, -v33, v53, v34
	v_dual_fmac_f32 v48, v54, v35 :: v_dual_fmac_f32 v49, v56, v38
	v_fma_f32 v54, -v36, v55, v37
	s_delay_alu instid0(VALU_DEP_4) | instskip(NEXT) | instid1(VALU_DEP_4)
	v_fma_f32 v24, -v24, v52, v25
	v_fmac_f32_e32 v53, v51, v44
	s_delay_alu instid0(VALU_DEP_4)
	v_fma_f32 v25, -v26, v48, v27
	v_fma_f32 v26, -v28, v49, v29
	;; [unrolled: 1-line block ×3, first 2 shown]
	v_div_fmas_f32 v24, v24, v32, v52
	v_fma_f32 v28, -v33, v53, v34
	s_mov_b32 vcc_lo, s4
	v_fma_f32 v56, -v39, v57, v40
	v_dual_mul_f32 v59, v43, v47 :: v_dual_fmac_f32 v50, v58, v41
	v_div_fixup_f32 v16, v24, v5, v16
	v_div_fmas_f32 v24, v28, v44, v53
	s_mov_b32 vcc_lo, s1
	s_delay_alu instid0(VALU_DEP_3)
	v_fma_f32 v58, -v42, v59, v43
	v_div_fmas_f32 v25, v25, v35, v48
	v_maxmin_f32 v16, v16, v13, v14
	v_div_fixup_f32 v20, v24, v5, v20
	s_mov_b32 vcc_lo, s5
	v_fma_f32 v27, -v30, v50, v31
	v_div_fixup_f32 v17, v25, v5, v17
	v_cvt_i32_f32_e32 v16, v16
	v_maxmin_f32 v20, v20, v13, v14
	v_fmac_f32_e32 v55, v54, v45
	v_cmp_ge_i32_e64 s0, v15, v9
	v_maxmin_f32 v17, v17, v13, v14
	v_and_b32_e32 v16, 0xff, v16
	v_cvt_i32_f32_e32 v20, v20
	v_fmac_f32_e32 v57, v56, v46
	v_fma_f32 v29, -v36, v55, v37
	v_cvt_i32_f32_e32 v17, v17
	s_or_b32 s15, s0, s15
	v_and_b32_e32 v20, 0xff, v20
	v_fma_f32 v30, -v39, v57, v40
	v_div_fmas_f32 v28, v29, v45, v55
	s_mov_b32 vcc_lo, s2
	s_delay_alu instid0(VALU_DEP_3)
	v_dual_fmac_f32 v59, v58, v47 :: v_dual_lshlrev_b32 v20, 8, v20
	v_div_fmas_f32 v24, v26, v38, v49
	s_mov_b32 vcc_lo, s6
	v_div_fixup_f32 v21, v28, v5, v21
	v_div_fmas_f32 v25, v30, v46, v57
	s_mov_b32 vcc_lo, s3
	v_fma_f32 v31, -v42, v59, v43
	v_div_fmas_f32 v26, v27, v41, v50
	s_mov_b32 vcc_lo, s7
	v_div_fixup_f32 v18, v24, v5, v18
	v_div_fixup_f32 v22, v25, v5, v22
	v_div_fmas_f32 v24, v31, v47, v59
	v_div_fixup_f32 v19, v26, v5, v19
	v_maxmin_f32 v21, v21, v13, v14
	v_and_b32_e32 v17, 0xff, v17
	v_maxmin_f32 v22, v22, v13, v14
	v_div_fixup_f32 v23, v24, v5, v23
	v_maxmin_f32 v19, v19, v13, v14
	v_cvt_i32_f32_e32 v21, v21
	v_maxmin_f32 v18, v18, v13, v14
	v_cvt_i32_f32_e32 v22, v22
	;; [unrolled: 2-line block ×3, first 2 shown]
	v_lshlrev_b32_e32 v21, 24, v21
	v_lshlrev_b32_e32 v17, 16, v17
	v_cvt_i32_f32_e32 v18, v18
	v_cvt_i32_f32_e32 v23, v23
	v_and_b32_e32 v19, 0xff, v19
	v_and_b32_e32 v22, 0xff, v22
	v_or3_b32 v17, v21, v17, v20
	v_and_b32_e32 v18, 0xff, v18
	v_lshlrev_b32_e32 v23, 24, v23
	v_lshlrev_b32_e32 v19, 16, v19
	;; [unrolled: 1-line block ×3, first 2 shown]
	v_or_b32_e32 v16, v17, v16
	s_delay_alu instid0(VALU_DEP_3) | instskip(NEXT) | instid1(VALU_DEP_1)
	v_or_b32_e32 v17, v23, v19
	v_or3_b32 v17, v17, v20, v18
	global_store_b64 v[0:1], v[16:17], off
	v_add_co_u32 v0, vcc_lo, 0x80, v0
	v_add_co_ci_u32_e32 v1, vcc_lo, 0, v1, vcc_lo
	s_and_not1_b32 exec_lo, exec_lo, s15
	s_cbranch_execnz .LBB14_25
.LBB14_26:
	s_or_b32 exec_lo, exec_lo, s14
	v_lshlrev_b32_e32 v2, 3, v9
	s_mov_b32 s2, exec_lo
	s_delay_alu instid0(VALU_DEP_1) | instskip(NEXT) | instid1(VALU_DEP_1)
	v_add_nc_u32_e32 v0, v2, v11
	v_cmpx_lt_i32_e64 v0, v3
	s_cbranch_execz .LBB14_36
; %bb.27:
	v_add_nc_u32_e32 v1, 16, v0
	v_add_co_u32 v7, vcc_lo, v7, v6
	v_add_co_ci_u32_e32 v8, vcc_lo, v8, v10, vcc_lo
	s_delay_alu instid0(VALU_DEP_3) | instskip(SKIP_2) | instid1(VALU_DEP_1)
	v_max_i32_e32 v13, v1, v3
	s_mov_b32 s0, 0
                                        ; implicit-def: $vgpr10
	s_mov_b32 s1, exec_lo
	v_xad_u32 v13, v11, -1, v13
	s_delay_alu instid0(VALU_DEP_1) | instskip(NEXT) | instid1(VALU_DEP_1)
	v_sub_nc_u32_e32 v2, v13, v2
	v_cmpx_lt_u32_e32 15, v2
	s_xor_b32 s3, exec_lo, s1
	s_cbranch_execnz .LBB14_30
; %bb.28:
	s_and_not1_saveexec_b32 s1, s3
	s_cbranch_execnz .LBB14_33
.LBB14_29:
	s_or_b32 exec_lo, exec_lo, s1
	s_delay_alu instid0(SALU_CYCLE_1)
	s_and_b32 exec_lo, exec_lo, s0
	s_cbranch_execnz .LBB14_34
	s_branch .LBB14_36
.LBB14_30:
	v_lshrrev_b32_e32 v2, 4, v2
	v_lshlrev_b32_e32 v4, 1, v6
	v_lshlrev_b32_e32 v10, 1, v12
	s_mov_b32 s0, s10
	s_mov_b32 s1, s10
	v_add_nc_u32_e32 v6, 1, v2
	v_lshlrev_b32_e32 v2, 1, v11
	s_mov_b32 s4, s11
	s_mov_b32 s5, s11
	v_max_f32_e64 v13, s1, s1
	v_and_b32_e32 v11, 0x1ffffffe, v6
	v_dual_mov_b32 v9, v5 :: v_dual_lshlrev_b32 v12, 4, v9
	v_max_f32_e64 v14, s0, s0
	v_max_f32_e64 v15, s4, s4
	s_delay_alu instid0(VALU_DEP_4) | instskip(NEXT) | instid1(VALU_DEP_4)
	v_mov_b32_e32 v17, v11
	v_add3_u32 v12, v10, v12, v4
	v_max_f32_e64 v16, s5, s5
	s_mov_b32 s4, 0
	s_delay_alu instid0(VALU_DEP_2)
	v_add3_u32 v12, v12, v2, 0
	v_mov_b32_e32 v2, v1
	v_mov_b32_e32 v1, v0
.LBB14_31:                              ; =>This Inner Loop Header: Depth=1
	ds_load_u16 v19, v12 offset:32
	ds_load_u16 v20, v12
	v_ashrrev_i32_e32 v21, 31, v2
	v_mov_b32_e32 v22, v2
	v_ashrrev_i32_e32 v23, 31, v1
	v_add_co_u32 v18, s0, v7, v1
	v_add_nc_u32_e32 v1, 32, v1
	v_add_nc_u32_e32 v12, 64, v12
	s_waitcnt lgkmcnt(1)
	v_cvt_f32_f16_e32 v24, v19
	s_waitcnt lgkmcnt(0)
	v_cvt_f32_f16_e32 v20, v20
	s_delay_alu instid0(VALU_DEP_2) | instskip(NEXT) | instid1(VALU_DEP_2)
	v_div_scale_f32 v19, null, v9, v9, v24
	v_div_scale_f32 v25, null, v5, v5, v20
	v_div_scale_f32 v28, vcc_lo, v24, v9, v24
	s_delay_alu instid0(VALU_DEP_3) | instskip(NEXT) | instid1(VALU_DEP_2)
	v_rcp_f32_e32 v26, v19
	v_rcp_f32_e32 v27, v25
	v_div_scale_f32 v29, s1, v20, v5, v20
	s_waitcnt_depctr 0xfff
	v_fma_f32 v30, -v19, v26, 1.0
	v_fma_f32 v31, -v25, v27, 1.0
	v_add_nc_u32_e32 v17, -2, v17
	v_add_nc_u32_e32 v2, 32, v2
	s_delay_alu instid0(VALU_DEP_3) | instskip(NEXT) | instid1(VALU_DEP_1)
	v_dual_fmac_f32 v26, v30, v26 :: v_dual_fmac_f32 v27, v31, v27
	v_dual_mul_f32 v30, v28, v26 :: v_dual_mul_f32 v31, v29, v27
	s_delay_alu instid0(VALU_DEP_1) | instskip(NEXT) | instid1(VALU_DEP_2)
	v_fma_f32 v32, -v19, v30, v28
	v_fma_f32 v33, -v25, v31, v29
	s_delay_alu instid0(VALU_DEP_1) | instskip(NEXT) | instid1(VALU_DEP_1)
	v_dual_fmac_f32 v30, v32, v26 :: v_dual_fmac_f32 v31, v33, v27
	v_fma_f32 v19, -v19, v30, v28
	s_delay_alu instid0(VALU_DEP_2) | instskip(NEXT) | instid1(VALU_DEP_2)
	v_fma_f32 v25, -v25, v31, v29
	v_div_fmas_f32 v26, v19, v26, v30
	s_mov_b32 vcc_lo, s1
	s_delay_alu instid0(VALU_DEP_2) | instskip(SKIP_1) | instid1(VALU_DEP_3)
	v_div_fmas_f32 v25, v25, v27, v31
	v_add_co_ci_u32_e64 v19, vcc_lo, v8, v23, s0
	v_div_fixup_f32 v23, v26, v9, v24
	s_delay_alu instid0(VALU_DEP_3) | instskip(SKIP_1) | instid1(VALU_DEP_3)
	v_div_fixup_f32 v24, v25, v5, v20
	v_add_co_u32 v20, vcc_lo, v7, v22
	v_maxmin_f32 v22, v23, v13, v16
	v_add_co_ci_u32_e32 v21, vcc_lo, v8, v21, vcc_lo
	s_delay_alu instid0(VALU_DEP_4) | instskip(SKIP_1) | instid1(VALU_DEP_4)
	v_maxmin_f32 v23, v24, v14, v15
	v_cmp_eq_u32_e32 vcc_lo, 0, v17
	v_cvt_i32_f32_e32 v22, v22
	s_delay_alu instid0(VALU_DEP_3)
	v_cvt_i32_f32_e32 v23, v23
	s_or_b32 s4, vcc_lo, s4
	s_clause 0x1
	global_store_b8 v[18:19], v23, off
	global_store_b8 v[20:21], v22, off
	s_and_not1_b32 exec_lo, exec_lo, s4
	s_cbranch_execnz .LBB14_31
; %bb.32:
	s_or_b32 exec_lo, exec_lo, s4
	v_cmp_ne_u32_e32 vcc_lo, v6, v11
	v_lshl_add_u32 v0, v11, 4, v0
                                        ; implicit-def: $vgpr12
	s_and_b32 s0, vcc_lo, exec_lo
	s_and_not1_saveexec_b32 s1, s3
	s_cbranch_execz .LBB14_29
.LBB14_33:
	v_lshlrev_b32_e32 v10, 1, v12
	s_or_b32 s0, s0, exec_lo
	s_or_b32 exec_lo, exec_lo, s1
	s_delay_alu instid0(SALU_CYCLE_1)
	s_and_b32 exec_lo, exec_lo, s0
	s_cbranch_execz .LBB14_36
.LBB14_34:
	v_lshl_add_u32 v6, v0, 1, v10
	v_ashrrev_i32_e32 v1, 31, v0
	v_max_f32_e64 v2, s10, s10
	s_mov_b32 s1, 0
	s_delay_alu instid0(VALU_DEP_3)
	v_add3_u32 v4, v6, v4, 0
	v_max_f32_e64 v6, s11, s11
	s_set_inst_prefetch_distance 0x1
	.p2align	6
.LBB14_35:                              ; =>This Inner Loop Header: Depth=1
	ds_load_u16 v9, v4
	v_add_nc_u32_e32 v4, 32, v4
	s_waitcnt lgkmcnt(0)
	v_cvt_f32_f16_e32 v10, v9
	s_delay_alu instid0(VALU_DEP_1) | instskip(SKIP_1) | instid1(VALU_DEP_2)
	v_div_scale_f32 v9, null, v5, v5, v10
	v_div_scale_f32 v13, vcc_lo, v10, v5, v10
	v_rcp_f32_e32 v11, v9
	s_waitcnt_depctr 0xfff
	v_fma_f32 v12, -v9, v11, 1.0
	s_delay_alu instid0(VALU_DEP_1) | instskip(NEXT) | instid1(VALU_DEP_1)
	v_fmac_f32_e32 v11, v12, v11
	v_mul_f32_e32 v12, v13, v11
	s_delay_alu instid0(VALU_DEP_1) | instskip(NEXT) | instid1(VALU_DEP_1)
	v_fma_f32 v14, -v9, v12, v13
	v_fmac_f32_e32 v12, v14, v11
	s_delay_alu instid0(VALU_DEP_1) | instskip(NEXT) | instid1(VALU_DEP_1)
	v_fma_f32 v9, -v9, v12, v13
	v_div_fmas_f32 v11, v9, v11, v12
	v_add_co_u32 v9, vcc_lo, v7, v0
	v_add_co_u32 v0, s0, v0, 16
	s_delay_alu instid0(VALU_DEP_3) | instskip(SKIP_2) | instid1(VALU_DEP_3)
	v_div_fixup_f32 v11, v11, v5, v10
	v_add_co_ci_u32_e32 v10, vcc_lo, v8, v1, vcc_lo
	v_add_co_ci_u32_e64 v1, vcc_lo, 0, v1, s0
	v_maxmin_f32 v11, v11, v2, v6
	v_cmp_ge_i32_e32 vcc_lo, v0, v3
	s_delay_alu instid0(VALU_DEP_2)
	v_cvt_i32_f32_e32 v11, v11
	s_or_b32 s1, vcc_lo, s1
	global_store_b8 v[9:10], v11, off
	s_and_not1_b32 exec_lo, exec_lo, s1
	s_cbranch_execnz .LBB14_35
.LBB14_36:
	s_set_inst_prefetch_distance 0x2
	s_or_b32 exec_lo, exec_lo, s2
                                        ; implicit-def: $vgpr11
                                        ; implicit-def: $vgpr5
                                        ; implicit-def: $vgpr12
                                        ; implicit-def: $vgpr1_vgpr2
.LBB14_37:
	s_and_not1_saveexec_b32 s0, s13
	s_cbranch_execz .LBB14_41
; %bb.38:
	s_ashr_i32 s12, s12, 3
	s_mov_b32 s0, exec_lo
	v_cmpx_gt_i32_e64 s12, v11
	s_cbranch_execz .LBB14_41
; %bb.39:
	v_lshlrev_b32_e32 v0, 3, v11
	v_lshlrev_b32_e32 v3, 1, v12
	;; [unrolled: 1-line block ×3, first 2 shown]
	s_delay_alu instid0(VALU_DEP_3) | instskip(SKIP_1) | instid1(VALU_DEP_3)
	v_add_co_u32 v0, vcc_lo, v1, v0
	v_add_co_ci_u32_e32 v1, vcc_lo, 0, v2, vcc_lo
	v_add3_u32 v2, v3, v4, 0
	s_delay_alu instid0(VALU_DEP_3) | instskip(NEXT) | instid1(VALU_DEP_3)
	v_add_co_u32 v0, vcc_lo, s8, v0
	v_add_co_ci_u32_e32 v1, vcc_lo, s9, v1, vcc_lo
	v_max_f32_e64 v3, s10, s10
	v_max_f32_e64 v4, s11, s11
	s_mov_b32 s8, 0
.LBB14_40:                              ; =>This Inner Loop Header: Depth=1
	ds_load_b128 v[6:9], v2
	s_waitcnt lgkmcnt(0)
	v_lshrrev_b32_e32 v10, 16, v6
	v_cvt_f32_f16_e32 v6, v6
	v_lshrrev_b32_e32 v12, 16, v7
	v_lshrrev_b32_e32 v13, 16, v8
	;; [unrolled: 1-line block ×3, first 2 shown]
	v_cvt_f32_f16_e32 v7, v7
	v_cvt_f32_f16_e32 v8, v8
	;; [unrolled: 1-line block ×3, first 2 shown]
	v_div_scale_f32 v15, null, v5, v5, v6
	v_cvt_f32_f16_e32 v10, v10
	v_div_scale_f32 v17, null, v5, v5, v7
	v_cvt_f32_f16_e32 v12, v12
	v_div_scale_f32 v19, null, v5, v5, v8
	v_cvt_f32_f16_e32 v13, v13
	v_div_scale_f32 v21, null, v5, v5, v9
	v_cvt_f32_f16_e32 v14, v14
	v_rcp_f32_e32 v23, v15
	v_div_scale_f32 v24, null, v5, v5, v10
	v_rcp_f32_e32 v26, v17
	v_div_scale_f32 v27, null, v5, v5, v12
	;; [unrolled: 2-line block ×4, first 2 shown]
	v_rcp_f32_e32 v35, v24
	v_rcp_f32_e32 v36, v27
	v_rcp_f32_e32 v37, v30
	s_delay_alu instid0(VALU_DEP_1) | instskip(SKIP_4) | instid1(VALU_DEP_4)
	v_rcp_f32_e32 v38, v33
	v_fma_f32 v39, -v15, v23, 1.0
	v_add_nc_u32_e32 v2, 0x100, v2
	v_div_scale_f32 v16, vcc_lo, v6, v5, v6
	v_fma_f32 v40, -v17, v26, 1.0
	v_fmac_f32_e32 v23, v39, v23
	v_fma_f32 v41, -v19, v29, 1.0
	v_fma_f32 v42, -v21, v32, 1.0
	;; [unrolled: 1-line block ×3, first 2 shown]
	v_dual_fmac_f32 v26, v40, v26 :: v_dual_add_nc_u32 v11, 16, v11
	v_div_scale_f32 v18, s1, v7, v5, v7
	v_div_scale_f32 v20, s2, v8, v5, v8
	;; [unrolled: 1-line block ×4, first 2 shown]
	v_fma_f32 v40, -v27, v36, 1.0
	v_dual_fmac_f32 v29, v41, v29 :: v_dual_fmac_f32 v32, v42, v32
	v_fma_f32 v41, -v30, v37, 1.0
	v_fma_f32 v42, -v33, v38, 1.0
	v_mul_f32_e32 v43, v16, v23
	v_dual_fmac_f32 v35, v39, v35 :: v_dual_fmac_f32 v36, v40, v36
	v_div_scale_f32 v28, s5, v12, v5, v12
	v_div_scale_f32 v31, s6, v13, v5, v13
	v_dual_mul_f32 v39, v18, v26 :: v_dual_mul_f32 v40, v20, v29
	s_delay_alu instid0(VALU_DEP_3)
	v_dual_fmac_f32 v37, v41, v37 :: v_dual_mul_f32 v46, v28, v36
	v_dual_mul_f32 v41, v22, v32 :: v_dual_mul_f32 v44, v25, v35
	v_fmac_f32_e32 v38, v42, v38
	v_fma_f32 v42, -v15, v43, v16
	v_fma_f32 v45, -v17, v39, v18
	;; [unrolled: 1-line block ×3, first 2 shown]
	v_mul_f32_e32 v48, v31, v37
	v_div_scale_f32 v34, s7, v14, v5, v14
	v_fmac_f32_e32 v43, v42, v23
	v_fma_f32 v42, -v24, v44, v25
	v_dual_fmac_f32 v39, v45, v26 :: v_dual_fmac_f32 v40, v47, v29
	v_fma_f32 v45, -v27, v46, v28
	s_delay_alu instid0(VALU_DEP_4) | instskip(NEXT) | instid1(VALU_DEP_4)
	v_fma_f32 v15, -v15, v43, v16
	v_fmac_f32_e32 v44, v42, v35
	s_delay_alu instid0(VALU_DEP_4)
	v_fma_f32 v16, -v17, v39, v18
	v_fma_f32 v17, -v19, v40, v20
	;; [unrolled: 1-line block ×3, first 2 shown]
	v_div_fmas_f32 v15, v15, v23, v43
	v_fma_f32 v19, -v24, v44, v25
	s_mov_b32 vcc_lo, s4
	v_fma_f32 v47, -v30, v48, v31
	v_dual_mul_f32 v50, v34, v38 :: v_dual_fmac_f32 v41, v49, v32
	v_div_fixup_f32 v6, v15, v5, v6
	v_div_fmas_f32 v15, v19, v35, v44
	s_mov_b32 vcc_lo, s1
	s_delay_alu instid0(VALU_DEP_3)
	v_fma_f32 v49, -v33, v50, v34
	v_div_fmas_f32 v16, v16, v26, v39
	s_mov_b32 vcc_lo, s5
	v_fma_f32 v18, -v21, v41, v22
	v_div_fixup_f32 v10, v15, v5, v10
	v_maxmin_f32 v6, v6, v3, v4
	v_div_fixup_f32 v7, v16, v5, v7
	v_cmp_le_i32_e64 s0, s12, v11
	s_delay_alu instid0(VALU_DEP_4) | instskip(NEXT) | instid1(VALU_DEP_4)
	v_maxmin_f32 v10, v10, v3, v4
	v_cvt_i32_f32_e32 v6, v6
	s_delay_alu instid0(VALU_DEP_4) | instskip(NEXT) | instid1(VALU_DEP_4)
	v_maxmin_f32 v7, v7, v3, v4
	s_or_b32 s8, s0, s8
	s_delay_alu instid0(VALU_DEP_3) | instskip(NEXT) | instid1(VALU_DEP_3)
	v_cvt_i32_f32_e32 v10, v10
	v_and_b32_e32 v6, 0xff, v6
	s_delay_alu instid0(VALU_DEP_3) | instskip(SKIP_1) | instid1(VALU_DEP_4)
	v_cvt_i32_f32_e32 v7, v7
	v_fmac_f32_e32 v46, v45, v36
	v_and_b32_e32 v10, 0xff, v10
	s_delay_alu instid0(VALU_DEP_3) | instskip(NEXT) | instid1(VALU_DEP_3)
	v_dual_fmac_f32 v48, v47, v37 :: v_dual_and_b32 v7, 0xff, v7
	v_fma_f32 v20, -v27, v46, v28
	s_delay_alu instid0(VALU_DEP_3) | instskip(NEXT) | instid1(VALU_DEP_3)
	v_lshlrev_b32_e32 v10, 8, v10
	v_lshlrev_b32_e32 v7, 16, v7
	s_delay_alu instid0(VALU_DEP_4) | instskip(NEXT) | instid1(VALU_DEP_4)
	v_fma_f32 v21, -v30, v48, v31
	v_div_fmas_f32 v19, v20, v36, v46
	s_mov_b32 vcc_lo, s2
	v_div_fmas_f32 v15, v17, v29, v40
	s_mov_b32 vcc_lo, s6
	s_delay_alu instid0(VALU_DEP_2)
	v_div_fixup_f32 v12, v19, v5, v12
	v_div_fmas_f32 v16, v21, v37, v48
	s_mov_b32 vcc_lo, s3
	v_div_fixup_f32 v8, v15, v5, v8
	v_div_fmas_f32 v17, v18, v32, v41
	s_mov_b32 vcc_lo, s7
	v_div_fixup_f32 v13, v16, v5, v13
	v_maxmin_f32 v12, v12, v3, v4
	v_maxmin_f32 v8, v8, v3, v4
	v_div_fixup_f32 v9, v17, v5, v9
	s_delay_alu instid0(VALU_DEP_4) | instskip(NEXT) | instid1(VALU_DEP_4)
	v_maxmin_f32 v13, v13, v3, v4
	v_cvt_i32_f32_e32 v12, v12
	s_delay_alu instid0(VALU_DEP_4) | instskip(NEXT) | instid1(VALU_DEP_4)
	v_cvt_i32_f32_e32 v8, v8
	v_maxmin_f32 v9, v9, v3, v4
	s_delay_alu instid0(VALU_DEP_4) | instskip(NEXT) | instid1(VALU_DEP_4)
	v_cvt_i32_f32_e32 v13, v13
	v_lshlrev_b32_e32 v12, 24, v12
	s_delay_alu instid0(VALU_DEP_4) | instskip(NEXT) | instid1(VALU_DEP_4)
	v_and_b32_e32 v8, 0xff, v8
	v_cvt_i32_f32_e32 v9, v9
	s_delay_alu instid0(VALU_DEP_4) | instskip(NEXT) | instid1(VALU_DEP_4)
	v_dual_fmac_f32 v50, v49, v38 :: v_dual_and_b32 v13, 0xff, v13
	v_or3_b32 v7, v12, v7, v10
	s_delay_alu instid0(VALU_DEP_3) | instskip(NEXT) | instid1(VALU_DEP_3)
	v_and_b32_e32 v9, 0xff, v9
	v_fma_f32 v22, -v33, v50, v34
	s_delay_alu instid0(VALU_DEP_4) | instskip(NEXT) | instid1(VALU_DEP_4)
	v_lshlrev_b32_e32 v10, 8, v13
	v_or_b32_e32 v6, v7, v6
	s_delay_alu instid0(VALU_DEP_4) | instskip(NEXT) | instid1(VALU_DEP_4)
	v_lshlrev_b32_e32 v9, 16, v9
	v_div_fmas_f32 v15, v22, v38, v50
	s_delay_alu instid0(VALU_DEP_1) | instskip(NEXT) | instid1(VALU_DEP_1)
	v_div_fixup_f32 v14, v15, v5, v14
	v_maxmin_f32 v14, v14, v3, v4
	s_delay_alu instid0(VALU_DEP_1) | instskip(NEXT) | instid1(VALU_DEP_1)
	v_cvt_i32_f32_e32 v14, v14
	v_lshlrev_b32_e32 v14, 24, v14
	s_delay_alu instid0(VALU_DEP_1) | instskip(NEXT) | instid1(VALU_DEP_1)
	v_or_b32_e32 v7, v14, v9
	v_or3_b32 v7, v7, v10, v8
	global_store_b64 v[0:1], v[6:7], off
	v_add_co_u32 v0, vcc_lo, 0x80, v0
	v_add_co_ci_u32_e32 v1, vcc_lo, 0, v1, vcc_lo
	s_and_not1_b32 exec_lo, exec_lo, s8
	s_cbranch_execnz .LBB14_40
.LBB14_41:
	s_nop 0
	s_sendmsg sendmsg(MSG_DEALLOC_VGPRS)
	s_endpgm
	.section	.rodata,"a",@progbits
	.p2align	6, 0x0
	.amdhsa_kernel _Z33per_token_group_quant_8bit_kernelIN3c104HalfEaLb0ELb1EfEvPKT_PvPT3_iiifffii
		.amdhsa_group_segment_fixed_size 0
		.amdhsa_private_segment_fixed_size 0
		.amdhsa_kernarg_size 56
		.amdhsa_user_sgpr_count 15
		.amdhsa_user_sgpr_dispatch_ptr 0
		.amdhsa_user_sgpr_queue_ptr 0
		.amdhsa_user_sgpr_kernarg_segment_ptr 1
		.amdhsa_user_sgpr_dispatch_id 0
		.amdhsa_user_sgpr_private_segment_size 0
		.amdhsa_wavefront_size32 1
		.amdhsa_uses_dynamic_stack 0
		.amdhsa_enable_private_segment 0
		.amdhsa_system_sgpr_workgroup_id_x 1
		.amdhsa_system_sgpr_workgroup_id_y 0
		.amdhsa_system_sgpr_workgroup_id_z 0
		.amdhsa_system_sgpr_workgroup_info 0
		.amdhsa_system_vgpr_workitem_id 0
		.amdhsa_next_free_vgpr 60
		.amdhsa_next_free_sgpr 16
		.amdhsa_reserve_vcc 1
		.amdhsa_float_round_mode_32 0
		.amdhsa_float_round_mode_16_64 0
		.amdhsa_float_denorm_mode_32 3
		.amdhsa_float_denorm_mode_16_64 3
		.amdhsa_dx10_clamp 1
		.amdhsa_ieee_mode 1
		.amdhsa_fp16_overflow 0
		.amdhsa_workgroup_processor_mode 1
		.amdhsa_memory_ordered 1
		.amdhsa_forward_progress 0
		.amdhsa_shared_vgpr_count 0
		.amdhsa_exception_fp_ieee_invalid_op 0
		.amdhsa_exception_fp_denorm_src 0
		.amdhsa_exception_fp_ieee_div_zero 0
		.amdhsa_exception_fp_ieee_overflow 0
		.amdhsa_exception_fp_ieee_underflow 0
		.amdhsa_exception_fp_ieee_inexact 0
		.amdhsa_exception_int_div_zero 0
	.end_amdhsa_kernel
	.section	.text._Z33per_token_group_quant_8bit_kernelIN3c104HalfEaLb0ELb1EfEvPKT_PvPT3_iiifffii,"axG",@progbits,_Z33per_token_group_quant_8bit_kernelIN3c104HalfEaLb0ELb1EfEvPKT_PvPT3_iiifffii,comdat
.Lfunc_end14:
	.size	_Z33per_token_group_quant_8bit_kernelIN3c104HalfEaLb0ELb1EfEvPKT_PvPT3_iiifffii, .Lfunc_end14-_Z33per_token_group_quant_8bit_kernelIN3c104HalfEaLb0ELb1EfEvPKT_PvPT3_iiifffii
                                        ; -- End function
	.section	.AMDGPU.csdata,"",@progbits
; Kernel info:
; codeLenInByte = 5068
; NumSgprs: 18
; NumVgprs: 60
; ScratchSize: 0
; MemoryBound: 0
; FloatMode: 240
; IeeeMode: 1
; LDSByteSize: 0 bytes/workgroup (compile time only)
; SGPRBlocks: 2
; VGPRBlocks: 7
; NumSGPRsForWavesPerEU: 18
; NumVGPRsForWavesPerEU: 60
; Occupancy: 16
; WaveLimiterHint : 0
; COMPUTE_PGM_RSRC2:SCRATCH_EN: 0
; COMPUTE_PGM_RSRC2:USER_SGPR: 15
; COMPUTE_PGM_RSRC2:TRAP_HANDLER: 0
; COMPUTE_PGM_RSRC2:TGID_X_EN: 1
; COMPUTE_PGM_RSRC2:TGID_Y_EN: 0
; COMPUTE_PGM_RSRC2:TGID_Z_EN: 0
; COMPUTE_PGM_RSRC2:TIDIG_COMP_CNT: 0
	.section	.text._Z33per_token_group_quant_8bit_kernelIN3c104HalfEaLb0ELb0EfEvPKT_PvPT3_iiifffii,"axG",@progbits,_Z33per_token_group_quant_8bit_kernelIN3c104HalfEaLb0ELb0EfEvPKT_PvPT3_iiifffii,comdat
	.protected	_Z33per_token_group_quant_8bit_kernelIN3c104HalfEaLb0ELb0EfEvPKT_PvPT3_iiifffii ; -- Begin function _Z33per_token_group_quant_8bit_kernelIN3c104HalfEaLb0ELb0EfEvPKT_PvPT3_iiifffii
	.globl	_Z33per_token_group_quant_8bit_kernelIN3c104HalfEaLb0ELb0EfEvPKT_PvPT3_iiifffii
	.p2align	8
	.type	_Z33per_token_group_quant_8bit_kernelIN3c104HalfEaLb0ELb0EfEvPKT_PvPT3_iiifffii,@function
_Z33per_token_group_quant_8bit_kernelIN3c104HalfEaLb0ELb0EfEvPKT_PvPT3_iiifffii: ; @_Z33per_token_group_quant_8bit_kernelIN3c104HalfEaLb0ELb0EfEvPKT_PvPT3_iiifffii
; %bb.0:
	s_clause 0x1
	s_load_b128 s[8:11], s[0:1], 0x20
	s_load_b32 s12, s[0:1], 0x18
	v_lshrrev_b32_e32 v9, 4, v0
	v_and_b32_e32 v11, 15, v0
                                        ; implicit-def: $vgpr13
	s_waitcnt lgkmcnt(0)
	s_mul_i32 s15, s15, s8
	s_ashr_i32 s4, s12, 31
	v_add_co_u32 v3, s2, s15, v9
	s_delay_alu instid0(VALU_DEP_1) | instskip(SKIP_1) | instid1(VALU_DEP_2)
	v_add_co_ci_u32_e64 v4, null, 0, 0, s2
	s_load_b64 s[2:3], s[0:1], 0x0
	v_mul_lo_u32 v6, v3, s4
	v_mad_u64_u32 v[1:2], null, v3, s12, 0
	s_delay_alu instid0(VALU_DEP_3) | instskip(SKIP_2) | instid1(SALU_CYCLE_1)
	v_mul_lo_u32 v5, v4, s12
	v_mul_lo_u32 v12, v9, s12
	s_and_b32 s5, s12, 7
	s_cmp_eq_u32 s5, 0
	s_cselect_b32 s4, -1, 0
	s_cmp_lg_u32 s5, 0
	s_delay_alu instid0(VALU_DEP_2) | instskip(NEXT) | instid1(VALU_DEP_2)
	v_add3_u32 v2, v2, v6, v5
	v_lshl_add_u32 v0, v12, 1, 0
	s_cselect_b32 s5, -1, 0
	s_delay_alu instid0(VALU_DEP_2) | instskip(SKIP_1) | instid1(VALU_DEP_1)
	v_lshlrev_b64 v[5:6], 1, v[1:2]
	s_waitcnt lgkmcnt(0)
	v_add_co_u32 v7, vcc_lo, s2, v5
	v_mov_b32_e32 v10, 0
	s_delay_alu instid0(VALU_DEP_3) | instskip(NEXT) | instid1(VALU_DEP_3)
	v_add_co_ci_u32_e32 v8, vcc_lo, s3, v6, vcc_lo
	v_and_b32_e32 v9, 15, v7
	s_delay_alu instid0(VALU_DEP_1) | instskip(SKIP_1) | instid1(SALU_CYCLE_1)
	v_cmp_ne_u64_e32 vcc_lo, 0, v[9:10]
	s_or_b32 s5, s5, vcc_lo
	s_and_saveexec_b32 s6, s5
	s_delay_alu instid0(SALU_CYCLE_1)
	s_xor_b32 s5, exec_lo, s6
	s_cbranch_execz .LBB15_12
; %bb.1:
	v_sub_nc_u32_e32 v9, 0, v7
	v_mov_b32_e32 v13, s9
	s_mov_b32 s6, exec_lo
	s_delay_alu instid0(VALU_DEP_2) | instskip(NEXT) | instid1(VALU_DEP_1)
	v_bfe_u32 v9, v9, 1, 3
	v_min_i32_e32 v9, s12, v9
	s_delay_alu instid0(VALU_DEP_1)
	v_cmpx_gt_i32_e64 v9, v11
	s_cbranch_execz .LBB15_3
; %bb.2:
	v_max_f32_e64 v13, s9, s9
	v_lshlrev_b32_e32 v10, 1, v11
	s_delay_alu instid0(VALU_DEP_1) | instskip(SKIP_4) | instid1(VALU_DEP_1)
	v_add_co_u32 v7, vcc_lo, v7, v10
	v_add_co_ci_u32_e32 v8, vcc_lo, 0, v8, vcc_lo
	global_load_u16 v7, v[7:8], off
	s_waitcnt vmcnt(0)
	v_cvt_f32_f16_e64 v8, |v7|
	v_dual_max_f32 v13, v13, v8 :: v_dual_add_nc_u32 v10, v0, v10
	ds_store_b16 v10, v7
.LBB15_3:
	s_or_b32 exec_lo, exec_lo, s6
	v_sub_nc_u32_e32 v14, s12, v9
	v_ashrrev_i32_e32 v10, 31, v9
	v_lshlrev_b32_e32 v15, 1, v9
	s_mov_b32 s6, exec_lo
	s_delay_alu instid0(VALU_DEP_3) | instskip(NEXT) | instid1(VALU_DEP_1)
	v_ashrrev_i32_e32 v7, 31, v14
	v_lshrrev_b32_e32 v7, 29, v7
	s_delay_alu instid0(VALU_DEP_1) | instskip(NEXT) | instid1(VALU_DEP_1)
	v_add_nc_u32_e32 v7, v14, v7
	v_ashrrev_i32_e32 v16, 3, v7
	v_lshlrev_b64 v[7:8], 1, v[9:10]
	s_delay_alu instid0(VALU_DEP_2)
	v_cmpx_gt_i32_e64 v16, v11
	s_cbranch_execz .LBB15_7
; %bb.4:
	v_lshlrev_b32_e32 v9, 4, v11
	s_mov_b32 s7, 0
	s_delay_alu instid0(VALU_DEP_1) | instskip(SKIP_2) | instid1(VALU_DEP_3)
	v_add_co_u32 v10, vcc_lo, v5, v9
	v_add_co_ci_u32_e32 v17, vcc_lo, 0, v6, vcc_lo
	v_lshl_add_u32 v9, v12, 1, v9
	v_add_co_u32 v10, vcc_lo, v10, v7
	s_delay_alu instid0(VALU_DEP_3) | instskip(NEXT) | instid1(VALU_DEP_2)
	v_add_co_ci_u32_e32 v17, vcc_lo, v17, v8, vcc_lo
	v_add_co_u32 v10, vcc_lo, v10, s2
	s_delay_alu instid0(VALU_DEP_2) | instskip(SKIP_1) | instid1(VALU_DEP_3)
	v_add_co_ci_u32_e32 v18, vcc_lo, s3, v17, vcc_lo
	v_add3_u32 v17, v9, v15, 0
	v_add_co_u32 v9, vcc_lo, v10, 8
	s_delay_alu instid0(VALU_DEP_3)
	v_add_co_ci_u32_e32 v10, vcc_lo, 0, v18, vcc_lo
	v_mov_b32_e32 v18, v11
	s_set_inst_prefetch_distance 0x1
	.p2align	6
.LBB15_5:                               ; =>This Inner Loop Header: Depth=1
	global_load_b128 v[19:22], v[9:10], off offset:-8
	v_add_nc_u32_e32 v18, 16, v18
	v_add_co_u32 v9, vcc_lo, 0x100, v9
	v_add_co_ci_u32_e32 v10, vcc_lo, 0, v10, vcc_lo
	s_delay_alu instid0(VALU_DEP_3)
	v_cmp_ge_i32_e32 vcc_lo, v18, v16
	s_or_b32 s7, vcc_lo, s7
	s_waitcnt vmcnt(0)
	v_lshrrev_b32_e32 v23, 16, v19
	v_cvt_f32_f16_e64 v24, |v19|
	v_lshrrev_b32_e32 v25, 16, v20
	v_cvt_f32_f16_e64 v26, |v20|
	;; [unrolled: 2-line block ×3, first 2 shown]
	ds_store_b128 v17, v[19:22]
	v_cvt_f32_f16_e64 v25, |v25|
	v_add_nc_u32_e32 v17, 0x100, v17
	v_cvt_f32_f16_e64 v27, |v27|
	v_max3_f32 v13, v13, v24, v23
	v_cvt_f32_f16_e64 v23, |v21|
	v_lshrrev_b32_e32 v24, 16, v22
	s_delay_alu instid0(VALU_DEP_3) | instskip(SKIP_1) | instid1(VALU_DEP_3)
	v_max3_f32 v13, v13, v26, v25
	v_cvt_f32_f16_e64 v25, |v22|
	v_cvt_f32_f16_e64 v24, |v24|
	s_delay_alu instid0(VALU_DEP_3) | instskip(NEXT) | instid1(VALU_DEP_1)
	v_max3_f32 v13, v13, v23, v27
	v_max3_f32 v13, v13, v25, v24
	s_and_not1_b32 exec_lo, exec_lo, s7
	s_cbranch_execnz .LBB15_5
; %bb.6:
	s_set_inst_prefetch_distance 0x2
	s_or_b32 exec_lo, exec_lo, s7
.LBB15_7:
	s_delay_alu instid0(SALU_CYCLE_1) | instskip(SKIP_2) | instid1(VALU_DEP_1)
	s_or_b32 exec_lo, exec_lo, s6
	v_lshl_add_u32 v9, v16, 3, v11
	s_mov_b32 s6, exec_lo
	v_cmpx_lt_i32_e64 v9, v14
	s_cbranch_execz .LBB15_11
; %bb.8:
	v_ashrrev_i32_e32 v10, 31, v9
	v_lshlrev_b32_e32 v19, 4, v16
	v_add_co_u32 v5, vcc_lo, v5, v7
	v_lshlrev_b32_e32 v18, 1, v12
	s_delay_alu instid0(VALU_DEP_4) | instskip(SKIP_2) | instid1(VALU_DEP_4)
	v_lshlrev_b64 v[16:17], 1, v[9:10]
	v_add_co_ci_u32_e32 v6, vcc_lo, v6, v8, vcc_lo
	v_lshlrev_b32_e32 v20, 1, v11
	v_add3_u32 v7, v18, v19, v15
	s_mov_b32 s7, 0
	s_delay_alu instid0(VALU_DEP_4) | instskip(SKIP_1) | instid1(VALU_DEP_3)
	v_add_co_u32 v5, vcc_lo, v5, v16
	v_add_co_ci_u32_e32 v6, vcc_lo, v6, v17, vcc_lo
	v_add3_u32 v7, v7, v20, 0
	s_delay_alu instid0(VALU_DEP_3) | instskip(NEXT) | instid1(VALU_DEP_3)
	v_add_co_u32 v5, vcc_lo, s2, v5
	v_add_co_ci_u32_e32 v6, vcc_lo, s3, v6, vcc_lo
	.p2align	6
.LBB15_9:                               ; =>This Inner Loop Header: Depth=1
	global_load_u16 v8, v[5:6], off
	v_add_nc_u32_e32 v9, 16, v9
	v_max_f32_e32 v10, v13, v13
	v_add_co_u32 v5, vcc_lo, v5, 32
	v_add_co_ci_u32_e32 v6, vcc_lo, 0, v6, vcc_lo
	s_delay_alu instid0(VALU_DEP_4)
	v_cmp_ge_i32_e32 vcc_lo, v9, v14
	s_or_b32 s7, vcc_lo, s7
	s_waitcnt vmcnt(0)
	v_cvt_f32_f16_e64 v13, |v8|
	ds_store_b16 v7, v8
	v_add_nc_u32_e32 v7, 32, v7
	v_max_f32_e32 v13, v10, v13
	s_and_not1_b32 exec_lo, exec_lo, s7
	s_cbranch_execnz .LBB15_9
; %bb.10:
	s_or_b32 exec_lo, exec_lo, s7
.LBB15_11:
	s_delay_alu instid0(SALU_CYCLE_1)
	s_or_b32 exec_lo, exec_lo, s6
                                        ; implicit-def: $vgpr5_vgpr6
.LBB15_12:
	s_and_not1_saveexec_b32 s5, s5
	s_cbranch_execz .LBB15_18
; %bb.13:
	v_mov_b32_e32 v13, s9
	s_ashr_i32 s7, s12, 3
	s_mov_b32 s6, exec_lo
	v_cmpx_gt_i32_e64 s7, v11
	s_cbranch_execz .LBB15_17
; %bb.14:
	v_lshlrev_b32_e32 v7, 4, v11
	v_dual_mov_b32 v13, s9 :: v_dual_lshlrev_b32 v8, 1, v12
	s_delay_alu instid0(VALU_DEP_2) | instskip(SKIP_1) | instid1(VALU_DEP_3)
	v_add_co_u32 v5, vcc_lo, v5, v7
	v_add_co_ci_u32_e32 v6, vcc_lo, 0, v6, vcc_lo
	v_add3_u32 v7, v8, v7, 0
	s_delay_alu instid0(VALU_DEP_3) | instskip(NEXT) | instid1(VALU_DEP_3)
	v_add_co_u32 v5, vcc_lo, v5, s2
	v_add_co_ci_u32_e32 v6, vcc_lo, s3, v6, vcc_lo
	v_mov_b32_e32 v8, v11
	s_delay_alu instid0(VALU_DEP_3) | instskip(NEXT) | instid1(VALU_DEP_3)
	v_add_co_u32 v5, vcc_lo, v5, 8
	v_add_co_ci_u32_e32 v6, vcc_lo, 0, v6, vcc_lo
	s_mov_b32 s2, 0
	s_set_inst_prefetch_distance 0x1
	.p2align	6
.LBB15_15:                              ; =>This Inner Loop Header: Depth=1
	global_load_b128 v[14:17], v[5:6], off offset:-8
	v_add_nc_u32_e32 v8, 16, v8
	v_add_co_u32 v5, vcc_lo, 0x100, v5
	v_add_co_ci_u32_e32 v6, vcc_lo, 0, v6, vcc_lo
	s_delay_alu instid0(VALU_DEP_3)
	v_cmp_le_i32_e32 vcc_lo, s7, v8
	s_or_b32 s2, vcc_lo, s2
	s_waitcnt vmcnt(0)
	v_lshrrev_b32_e32 v9, 16, v14
	v_cvt_f32_f16_e64 v10, |v14|
	v_lshrrev_b32_e32 v18, 16, v15
	v_cvt_f32_f16_e64 v19, |v15|
	;; [unrolled: 2-line block ×3, first 2 shown]
	ds_store_b128 v7, v[14:17]
	v_cvt_f32_f16_e64 v18, |v18|
	v_add_nc_u32_e32 v7, 0x100, v7
	v_cvt_f32_f16_e64 v20, |v20|
	v_max3_f32 v9, v13, v10, v9
	v_cvt_f32_f16_e64 v10, |v16|
	v_lshrrev_b32_e32 v13, 16, v17
	s_delay_alu instid0(VALU_DEP_3) | instskip(SKIP_1) | instid1(VALU_DEP_3)
	v_max3_f32 v9, v9, v19, v18
	v_cvt_f32_f16_e64 v18, |v17|
	v_cvt_f32_f16_e64 v13, |v13|
	s_delay_alu instid0(VALU_DEP_3) | instskip(NEXT) | instid1(VALU_DEP_1)
	v_max3_f32 v9, v9, v10, v20
	v_max3_f32 v13, v9, v18, v13
	s_and_not1_b32 exec_lo, exec_lo, s2
	s_cbranch_execnz .LBB15_15
; %bb.16:
	s_set_inst_prefetch_distance 0x2
	s_or_b32 exec_lo, exec_lo, s2
.LBB15_17:
	s_delay_alu instid0(SALU_CYCLE_1)
	s_or_b32 exec_lo, exec_lo, s6
.LBB15_18:
	s_delay_alu instid0(SALU_CYCLE_1) | instskip(SKIP_4) | instid1(VALU_DEP_2)
	s_or_b32 exec_lo, exec_lo, s5
	v_mbcnt_lo_u32_b32 v5, -1, 0
	s_load_b64 s[8:9], s[0:1], 0x8
	s_mov_b32 s2, exec_lo
	v_max_f32_e32 v9, v13, v13
	v_xor_b32_e32 v7, 8, v5
	v_and_b32_e32 v6, 16, v5
	v_xor_b32_e32 v8, 4, v5
	s_delay_alu instid0(VALU_DEP_2) | instskip(NEXT) | instid1(VALU_DEP_1)
	v_add_nc_u32_e32 v6, 16, v6
	v_cmp_lt_i32_e32 vcc_lo, v7, v6
	v_cndmask_b32_e32 v7, v5, v7, vcc_lo
	s_delay_alu instid0(VALU_DEP_4) | instskip(NEXT) | instid1(VALU_DEP_2)
	v_cmp_lt_i32_e32 vcc_lo, v8, v6
	v_dual_cndmask_b32 v8, v5, v8 :: v_dual_lshlrev_b32 v7, 2, v7
	ds_bpermute_b32 v7, v7, v13
	s_waitcnt lgkmcnt(0)
	v_dual_max_f32 v7, v7, v7 :: v_dual_lshlrev_b32 v8, 2, v8
	s_delay_alu instid0(VALU_DEP_1)
	v_max_f32_e32 v7, v9, v7
	v_xor_b32_e32 v9, 2, v5
	ds_bpermute_b32 v8, v8, v7
	v_cmp_lt_i32_e32 vcc_lo, v9, v6
	s_waitcnt lgkmcnt(0)
	v_dual_cndmask_b32 v9, v5, v9 :: v_dual_max_f32 v8, v8, v8
	s_delay_alu instid0(VALU_DEP_1) | instskip(NEXT) | instid1(VALU_DEP_2)
	v_max_f32_e32 v7, v7, v8
	v_lshlrev_b32_e32 v9, 2, v9
	ds_bpermute_b32 v8, v9, v7
	v_xor_b32_e32 v9, 1, v5
	s_delay_alu instid0(VALU_DEP_1) | instskip(SKIP_2) | instid1(VALU_DEP_1)
	v_cmp_lt_i32_e32 vcc_lo, v9, v6
	v_cndmask_b32_e32 v5, v5, v9, vcc_lo
	s_waitcnt lgkmcnt(0)
	v_dual_max_f32 v6, v8, v8 :: v_dual_lshlrev_b32 v5, 2, v5
	s_delay_alu instid0(VALU_DEP_1) | instskip(SKIP_3) | instid1(VALU_DEP_1)
	v_max_f32_e32 v6, v7, v6
	ds_bpermute_b32 v5, v5, v6
	s_waitcnt lgkmcnt(0)
	v_max_f32_e32 v5, v5, v5
	v_max_f32_e32 v5, v6, v5
	s_delay_alu instid0(VALU_DEP_1) | instskip(SKIP_1) | instid1(VALU_DEP_2)
	v_div_scale_f32 v6, null, s11, s11, v5
	v_div_scale_f32 v9, vcc_lo, v5, s11, v5
	v_rcp_f32_e32 v7, v6
	s_waitcnt_depctr 0xfff
	v_fma_f32 v8, -v6, v7, 1.0
	s_delay_alu instid0(VALU_DEP_1) | instskip(NEXT) | instid1(VALU_DEP_1)
	v_fmac_f32_e32 v7, v8, v7
	v_mul_f32_e32 v8, v9, v7
	s_delay_alu instid0(VALU_DEP_1) | instskip(NEXT) | instid1(VALU_DEP_1)
	v_fma_f32 v10, -v6, v8, v9
	v_fmac_f32_e32 v8, v10, v7
	s_delay_alu instid0(VALU_DEP_1) | instskip(NEXT) | instid1(VALU_DEP_1)
	v_fma_f32 v6, -v6, v8, v9
	v_div_fmas_f32 v6, v6, v7, v8
	s_delay_alu instid0(VALU_DEP_1)
	v_div_fixup_f32 v5, v6, s11, v5
	v_cmpx_eq_u32_e32 0, v11
	s_cbranch_execz .LBB15_20
; %bb.19:
	s_load_b64 s[0:1], s[0:1], 0x10
	v_lshlrev_b64 v[3:4], 2, v[3:4]
	s_waitcnt lgkmcnt(0)
	s_delay_alu instid0(VALU_DEP_1) | instskip(NEXT) | instid1(VALU_DEP_2)
	v_add_co_u32 v3, vcc_lo, s0, v3
	v_add_co_ci_u32_e32 v4, vcc_lo, s1, v4, vcc_lo
	global_store_b32 v[3:4], v5, off
.LBB15_20:
	s_or_b32 exec_lo, exec_lo, s2
	v_dual_mov_b32 v4, 0 :: v_dual_and_b32 v3, 15, v0
	s_xor_b32 s0, s4, -1
	s_waitcnt_vscnt null, 0x0
	s_barrier
	buffer_gl0_inv
	v_cmp_ne_u64_e32 vcc_lo, 0, v[3:4]
	s_or_b32 s0, s0, vcc_lo
	s_delay_alu instid0(SALU_CYCLE_1) | instskip(NEXT) | instid1(SALU_CYCLE_1)
	s_and_saveexec_b32 s1, s0
	s_xor_b32 s13, exec_lo, s1
	s_cbranch_execz .LBB15_37
; %bb.21:
	v_sub_nc_u32_e32 v3, 0, v0
	v_add_co_u32 v7, vcc_lo, s8, v1
	v_add_co_ci_u32_e32 v8, vcc_lo, s9, v2, vcc_lo
	s_delay_alu instid0(VALU_DEP_3) | instskip(SKIP_1) | instid1(VALU_DEP_1)
	v_bfe_u32 v3, v3, 1, 3
	s_mov_b32 s0, exec_lo
	v_min_i32_e32 v6, s12, v3
	s_delay_alu instid0(VALU_DEP_1)
	v_cmpx_gt_i32_e64 v6, v11
	s_cbranch_execz .LBB15_23
; %bb.22:
	v_lshl_add_u32 v0, v11, 1, v0
	ds_load_u16 v0, v0
	s_waitcnt lgkmcnt(0)
	v_cvt_f32_f16_e32 v0, v0
	s_delay_alu instid0(VALU_DEP_1) | instskip(SKIP_1) | instid1(VALU_DEP_2)
	v_div_scale_f32 v3, null, v5, v5, v0
	v_div_scale_f32 v10, vcc_lo, v0, v5, v0
	v_rcp_f32_e32 v4, v3
	s_waitcnt_depctr 0xfff
	v_fma_f32 v9, -v3, v4, 1.0
	s_delay_alu instid0(VALU_DEP_1) | instskip(NEXT) | instid1(VALU_DEP_1)
	v_fmac_f32_e32 v4, v9, v4
	v_mul_f32_e32 v9, v10, v4
	s_delay_alu instid0(VALU_DEP_1) | instskip(NEXT) | instid1(VALU_DEP_1)
	v_fma_f32 v13, -v3, v9, v10
	v_fmac_f32_e32 v9, v13, v4
	s_delay_alu instid0(VALU_DEP_1) | instskip(NEXT) | instid1(VALU_DEP_1)
	v_fma_f32 v3, -v3, v9, v10
	v_div_fmas_f32 v3, v3, v4, v9
	v_max_f32_e64 v4, s10, s10
	s_delay_alu instid0(VALU_DEP_2) | instskip(SKIP_1) | instid1(VALU_DEP_1)
	v_div_fixup_f32 v0, v3, v5, v0
	v_max_f32_e64 v3, s11, s11
	v_maxmin_f32 v0, v0, v4, v3
	v_add_co_u32 v3, vcc_lo, v7, v11
	v_add_co_ci_u32_e32 v4, vcc_lo, 0, v8, vcc_lo
	s_delay_alu instid0(VALU_DEP_3)
	v_cvt_i32_f32_e32 v0, v0
	global_store_b8 v[3:4], v0, off
.LBB15_23:
	s_or_b32 exec_lo, exec_lo, s0
	v_sub_nc_u32_e32 v3, s12, v6
	v_ashrrev_i32_e32 v10, 31, v6
	v_lshlrev_b32_e32 v4, 1, v6
	s_mov_b32 s14, exec_lo
	s_delay_alu instid0(VALU_DEP_3) | instskip(NEXT) | instid1(VALU_DEP_1)
	v_ashrrev_i32_e32 v0, 31, v3
	v_lshrrev_b32_e32 v0, 29, v0
	s_delay_alu instid0(VALU_DEP_1) | instskip(NEXT) | instid1(VALU_DEP_1)
	v_add_nc_u32_e32 v0, v3, v0
	v_ashrrev_i32_e32 v9, 3, v0
	s_delay_alu instid0(VALU_DEP_1)
	v_cmpx_gt_i32_e64 v9, v11
	s_cbranch_execz .LBB15_26
; %bb.24:
	v_dual_mov_b32 v15, v11 :: v_dual_lshlrev_b32 v0, 4, v11
	v_lshlrev_b32_e32 v13, 3, v11
	v_add_co_u32 v1, vcc_lo, v6, v1
	v_add_co_ci_u32_e32 v2, vcc_lo, v10, v2, vcc_lo
	s_delay_alu instid0(VALU_DEP_4) | instskip(SKIP_1) | instid1(VALU_DEP_4)
	v_lshl_add_u32 v0, v12, 1, v0
	v_lshlrev_b32_e32 v14, 1, v6
	v_add_co_u32 v1, vcc_lo, v1, v13
	s_delay_alu instid0(VALU_DEP_4) | instskip(NEXT) | instid1(VALU_DEP_3)
	v_add_co_ci_u32_e32 v13, vcc_lo, 0, v2, vcc_lo
	v_add3_u32 v2, v0, v14, 0
	s_delay_alu instid0(VALU_DEP_3) | instskip(NEXT) | instid1(VALU_DEP_3)
	v_add_co_u32 v0, vcc_lo, s8, v1
	v_add_co_ci_u32_e32 v1, vcc_lo, s9, v13, vcc_lo
	v_max_f32_e64 v13, s10, s10
	v_max_f32_e64 v14, s11, s11
	s_mov_b32 s15, 0
.LBB15_25:                              ; =>This Inner Loop Header: Depth=1
	ds_load_b128 v[16:19], v2
	s_waitcnt lgkmcnt(0)
	v_lshrrev_b32_e32 v20, 16, v16
	v_cvt_f32_f16_e32 v16, v16
	v_lshrrev_b32_e32 v21, 16, v17
	v_lshrrev_b32_e32 v22, 16, v18
	;; [unrolled: 1-line block ×3, first 2 shown]
	v_cvt_f32_f16_e32 v17, v17
	v_cvt_f32_f16_e32 v18, v18
	;; [unrolled: 1-line block ×3, first 2 shown]
	v_div_scale_f32 v24, null, v5, v5, v16
	v_cvt_f32_f16_e32 v20, v20
	v_div_scale_f32 v26, null, v5, v5, v17
	v_cvt_f32_f16_e32 v21, v21
	;; [unrolled: 2-line block ×4, first 2 shown]
	v_rcp_f32_e32 v32, v24
	v_div_scale_f32 v33, null, v5, v5, v20
	v_rcp_f32_e32 v35, v26
	v_div_scale_f32 v36, null, v5, v5, v21
	;; [unrolled: 2-line block ×4, first 2 shown]
	v_rcp_f32_e32 v44, v33
	v_rcp_f32_e32 v45, v36
	;; [unrolled: 1-line block ×3, first 2 shown]
	s_delay_alu instid0(VALU_DEP_1) | instskip(SKIP_4) | instid1(VALU_DEP_4)
	v_rcp_f32_e32 v47, v42
	v_fma_f32 v48, -v24, v32, 1.0
	v_add_nc_u32_e32 v15, 16, v15
	v_div_scale_f32 v25, vcc_lo, v16, v5, v16
	v_fma_f32 v49, -v26, v35, 1.0
	v_fmac_f32_e32 v32, v48, v32
	v_fma_f32 v50, -v28, v38, 1.0
	v_fma_f32 v51, -v30, v41, 1.0
	;; [unrolled: 1-line block ×3, first 2 shown]
	v_dual_fmac_f32 v35, v49, v35 :: v_dual_add_nc_u32 v2, 0x100, v2
	v_div_scale_f32 v27, s1, v17, v5, v17
	v_div_scale_f32 v29, s2, v18, v5, v18
	;; [unrolled: 1-line block ×4, first 2 shown]
	v_fma_f32 v49, -v36, v45, 1.0
	v_dual_fmac_f32 v38, v50, v38 :: v_dual_fmac_f32 v41, v51, v41
	v_fma_f32 v50, -v39, v46, 1.0
	v_fma_f32 v51, -v42, v47, 1.0
	v_mul_f32_e32 v52, v25, v32
	v_dual_fmac_f32 v44, v48, v44 :: v_dual_fmac_f32 v45, v49, v45
	v_div_scale_f32 v37, s5, v21, v5, v21
	v_div_scale_f32 v40, s6, v22, v5, v22
	v_dual_mul_f32 v48, v27, v35 :: v_dual_mul_f32 v49, v29, v38
	s_delay_alu instid0(VALU_DEP_3)
	v_dual_fmac_f32 v46, v50, v46 :: v_dual_mul_f32 v55, v37, v45
	v_dual_mul_f32 v50, v31, v41 :: v_dual_mul_f32 v53, v34, v44
	v_fmac_f32_e32 v47, v51, v47
	v_fma_f32 v51, -v24, v52, v25
	v_fma_f32 v54, -v26, v48, v27
	;; [unrolled: 1-line block ×3, first 2 shown]
	v_mul_f32_e32 v57, v40, v46
	v_div_scale_f32 v43, s7, v23, v5, v23
	v_fmac_f32_e32 v52, v51, v32
	v_fma_f32 v51, -v33, v53, v34
	v_dual_fmac_f32 v48, v54, v35 :: v_dual_fmac_f32 v49, v56, v38
	v_fma_f32 v54, -v36, v55, v37
	s_delay_alu instid0(VALU_DEP_4) | instskip(NEXT) | instid1(VALU_DEP_4)
	v_fma_f32 v24, -v24, v52, v25
	v_fmac_f32_e32 v53, v51, v44
	s_delay_alu instid0(VALU_DEP_4)
	v_fma_f32 v25, -v26, v48, v27
	v_fma_f32 v26, -v28, v49, v29
	;; [unrolled: 1-line block ×3, first 2 shown]
	v_div_fmas_f32 v24, v24, v32, v52
	v_fma_f32 v28, -v33, v53, v34
	s_mov_b32 vcc_lo, s4
	v_fma_f32 v56, -v39, v57, v40
	v_dual_mul_f32 v59, v43, v47 :: v_dual_fmac_f32 v50, v58, v41
	v_div_fixup_f32 v16, v24, v5, v16
	v_div_fmas_f32 v24, v28, v44, v53
	s_mov_b32 vcc_lo, s1
	s_delay_alu instid0(VALU_DEP_3)
	v_fma_f32 v58, -v42, v59, v43
	v_div_fmas_f32 v25, v25, v35, v48
	v_maxmin_f32 v16, v16, v13, v14
	v_div_fixup_f32 v20, v24, v5, v20
	s_mov_b32 vcc_lo, s5
	v_fma_f32 v27, -v30, v50, v31
	v_div_fixup_f32 v17, v25, v5, v17
	v_cvt_i32_f32_e32 v16, v16
	v_maxmin_f32 v20, v20, v13, v14
	v_fmac_f32_e32 v55, v54, v45
	v_cmp_ge_i32_e64 s0, v15, v9
	v_maxmin_f32 v17, v17, v13, v14
	v_and_b32_e32 v16, 0xff, v16
	v_cvt_i32_f32_e32 v20, v20
	v_fmac_f32_e32 v57, v56, v46
	v_fma_f32 v29, -v36, v55, v37
	v_cvt_i32_f32_e32 v17, v17
	s_or_b32 s15, s0, s15
	v_and_b32_e32 v20, 0xff, v20
	v_fma_f32 v30, -v39, v57, v40
	v_div_fmas_f32 v28, v29, v45, v55
	s_mov_b32 vcc_lo, s2
	s_delay_alu instid0(VALU_DEP_3)
	v_dual_fmac_f32 v59, v58, v47 :: v_dual_lshlrev_b32 v20, 8, v20
	v_div_fmas_f32 v24, v26, v38, v49
	s_mov_b32 vcc_lo, s6
	v_div_fixup_f32 v21, v28, v5, v21
	v_div_fmas_f32 v25, v30, v46, v57
	s_mov_b32 vcc_lo, s3
	v_fma_f32 v31, -v42, v59, v43
	v_div_fmas_f32 v26, v27, v41, v50
	s_mov_b32 vcc_lo, s7
	v_div_fixup_f32 v18, v24, v5, v18
	v_div_fixup_f32 v22, v25, v5, v22
	v_div_fmas_f32 v24, v31, v47, v59
	v_div_fixup_f32 v19, v26, v5, v19
	v_maxmin_f32 v21, v21, v13, v14
	v_and_b32_e32 v17, 0xff, v17
	v_maxmin_f32 v22, v22, v13, v14
	v_div_fixup_f32 v23, v24, v5, v23
	v_maxmin_f32 v19, v19, v13, v14
	v_cvt_i32_f32_e32 v21, v21
	v_maxmin_f32 v18, v18, v13, v14
	v_cvt_i32_f32_e32 v22, v22
	;; [unrolled: 2-line block ×3, first 2 shown]
	v_lshlrev_b32_e32 v21, 24, v21
	v_lshlrev_b32_e32 v17, 16, v17
	v_cvt_i32_f32_e32 v18, v18
	v_cvt_i32_f32_e32 v23, v23
	v_and_b32_e32 v19, 0xff, v19
	v_and_b32_e32 v22, 0xff, v22
	v_or3_b32 v17, v21, v17, v20
	v_and_b32_e32 v18, 0xff, v18
	v_lshlrev_b32_e32 v23, 24, v23
	v_lshlrev_b32_e32 v19, 16, v19
	;; [unrolled: 1-line block ×3, first 2 shown]
	v_or_b32_e32 v16, v17, v16
	s_delay_alu instid0(VALU_DEP_3) | instskip(NEXT) | instid1(VALU_DEP_1)
	v_or_b32_e32 v17, v23, v19
	v_or3_b32 v17, v17, v20, v18
	global_store_b64 v[0:1], v[16:17], off
	v_add_co_u32 v0, vcc_lo, 0x80, v0
	v_add_co_ci_u32_e32 v1, vcc_lo, 0, v1, vcc_lo
	s_and_not1_b32 exec_lo, exec_lo, s15
	s_cbranch_execnz .LBB15_25
.LBB15_26:
	s_or_b32 exec_lo, exec_lo, s14
	v_lshlrev_b32_e32 v2, 3, v9
	s_mov_b32 s2, exec_lo
	s_delay_alu instid0(VALU_DEP_1) | instskip(NEXT) | instid1(VALU_DEP_1)
	v_add_nc_u32_e32 v0, v2, v11
	v_cmpx_lt_i32_e64 v0, v3
	s_cbranch_execz .LBB15_36
; %bb.27:
	v_add_nc_u32_e32 v1, 16, v0
	v_add_co_u32 v7, vcc_lo, v7, v6
	v_add_co_ci_u32_e32 v8, vcc_lo, v8, v10, vcc_lo
	s_delay_alu instid0(VALU_DEP_3) | instskip(SKIP_2) | instid1(VALU_DEP_1)
	v_max_i32_e32 v13, v1, v3
	s_mov_b32 s0, 0
                                        ; implicit-def: $vgpr10
	s_mov_b32 s1, exec_lo
	v_xad_u32 v13, v11, -1, v13
	s_delay_alu instid0(VALU_DEP_1) | instskip(NEXT) | instid1(VALU_DEP_1)
	v_sub_nc_u32_e32 v2, v13, v2
	v_cmpx_lt_u32_e32 15, v2
	s_xor_b32 s3, exec_lo, s1
	s_cbranch_execnz .LBB15_30
; %bb.28:
	s_and_not1_saveexec_b32 s1, s3
	s_cbranch_execnz .LBB15_33
.LBB15_29:
	s_or_b32 exec_lo, exec_lo, s1
	s_delay_alu instid0(SALU_CYCLE_1)
	s_and_b32 exec_lo, exec_lo, s0
	s_cbranch_execnz .LBB15_34
	s_branch .LBB15_36
.LBB15_30:
	v_lshrrev_b32_e32 v2, 4, v2
	v_lshlrev_b32_e32 v4, 1, v6
	v_lshlrev_b32_e32 v10, 1, v12
	s_mov_b32 s0, s10
	s_mov_b32 s1, s10
	v_add_nc_u32_e32 v6, 1, v2
	v_lshlrev_b32_e32 v2, 1, v11
	s_mov_b32 s4, s11
	s_mov_b32 s5, s11
	v_max_f32_e64 v13, s1, s1
	v_and_b32_e32 v11, 0x1ffffffe, v6
	v_dual_mov_b32 v9, v5 :: v_dual_lshlrev_b32 v12, 4, v9
	v_max_f32_e64 v14, s0, s0
	v_max_f32_e64 v15, s4, s4
	s_delay_alu instid0(VALU_DEP_4) | instskip(NEXT) | instid1(VALU_DEP_4)
	v_mov_b32_e32 v17, v11
	v_add3_u32 v12, v10, v12, v4
	v_max_f32_e64 v16, s5, s5
	s_mov_b32 s4, 0
	s_delay_alu instid0(VALU_DEP_2)
	v_add3_u32 v12, v12, v2, 0
	v_mov_b32_e32 v2, v1
	v_mov_b32_e32 v1, v0
.LBB15_31:                              ; =>This Inner Loop Header: Depth=1
	ds_load_u16 v19, v12 offset:32
	ds_load_u16 v20, v12
	v_ashrrev_i32_e32 v21, 31, v2
	v_mov_b32_e32 v22, v2
	v_ashrrev_i32_e32 v23, 31, v1
	v_add_co_u32 v18, s0, v7, v1
	v_add_nc_u32_e32 v1, 32, v1
	v_add_nc_u32_e32 v12, 64, v12
	s_waitcnt lgkmcnt(1)
	v_cvt_f32_f16_e32 v24, v19
	s_waitcnt lgkmcnt(0)
	v_cvt_f32_f16_e32 v20, v20
	s_delay_alu instid0(VALU_DEP_2) | instskip(NEXT) | instid1(VALU_DEP_2)
	v_div_scale_f32 v19, null, v9, v9, v24
	v_div_scale_f32 v25, null, v5, v5, v20
	v_div_scale_f32 v28, vcc_lo, v24, v9, v24
	s_delay_alu instid0(VALU_DEP_3) | instskip(NEXT) | instid1(VALU_DEP_2)
	v_rcp_f32_e32 v26, v19
	v_rcp_f32_e32 v27, v25
	v_div_scale_f32 v29, s1, v20, v5, v20
	s_waitcnt_depctr 0xfff
	v_fma_f32 v30, -v19, v26, 1.0
	v_fma_f32 v31, -v25, v27, 1.0
	v_add_nc_u32_e32 v17, -2, v17
	v_add_nc_u32_e32 v2, 32, v2
	s_delay_alu instid0(VALU_DEP_3) | instskip(NEXT) | instid1(VALU_DEP_1)
	v_dual_fmac_f32 v26, v30, v26 :: v_dual_fmac_f32 v27, v31, v27
	v_dual_mul_f32 v30, v28, v26 :: v_dual_mul_f32 v31, v29, v27
	s_delay_alu instid0(VALU_DEP_1) | instskip(NEXT) | instid1(VALU_DEP_2)
	v_fma_f32 v32, -v19, v30, v28
	v_fma_f32 v33, -v25, v31, v29
	s_delay_alu instid0(VALU_DEP_1) | instskip(NEXT) | instid1(VALU_DEP_1)
	v_dual_fmac_f32 v30, v32, v26 :: v_dual_fmac_f32 v31, v33, v27
	v_fma_f32 v19, -v19, v30, v28
	s_delay_alu instid0(VALU_DEP_2) | instskip(NEXT) | instid1(VALU_DEP_2)
	v_fma_f32 v25, -v25, v31, v29
	v_div_fmas_f32 v26, v19, v26, v30
	s_mov_b32 vcc_lo, s1
	s_delay_alu instid0(VALU_DEP_2) | instskip(SKIP_1) | instid1(VALU_DEP_3)
	v_div_fmas_f32 v25, v25, v27, v31
	v_add_co_ci_u32_e64 v19, vcc_lo, v8, v23, s0
	v_div_fixup_f32 v23, v26, v9, v24
	s_delay_alu instid0(VALU_DEP_3) | instskip(SKIP_1) | instid1(VALU_DEP_3)
	v_div_fixup_f32 v24, v25, v5, v20
	v_add_co_u32 v20, vcc_lo, v7, v22
	v_maxmin_f32 v22, v23, v13, v16
	v_add_co_ci_u32_e32 v21, vcc_lo, v8, v21, vcc_lo
	s_delay_alu instid0(VALU_DEP_4) | instskip(SKIP_1) | instid1(VALU_DEP_4)
	v_maxmin_f32 v23, v24, v14, v15
	v_cmp_eq_u32_e32 vcc_lo, 0, v17
	v_cvt_i32_f32_e32 v22, v22
	s_delay_alu instid0(VALU_DEP_3)
	v_cvt_i32_f32_e32 v23, v23
	s_or_b32 s4, vcc_lo, s4
	s_clause 0x1
	global_store_b8 v[18:19], v23, off
	global_store_b8 v[20:21], v22, off
	s_and_not1_b32 exec_lo, exec_lo, s4
	s_cbranch_execnz .LBB15_31
; %bb.32:
	s_or_b32 exec_lo, exec_lo, s4
	v_cmp_ne_u32_e32 vcc_lo, v6, v11
	v_lshl_add_u32 v0, v11, 4, v0
                                        ; implicit-def: $vgpr12
	s_and_b32 s0, vcc_lo, exec_lo
	s_and_not1_saveexec_b32 s1, s3
	s_cbranch_execz .LBB15_29
.LBB15_33:
	v_lshlrev_b32_e32 v10, 1, v12
	s_or_b32 s0, s0, exec_lo
	s_or_b32 exec_lo, exec_lo, s1
	s_delay_alu instid0(SALU_CYCLE_1)
	s_and_b32 exec_lo, exec_lo, s0
	s_cbranch_execz .LBB15_36
.LBB15_34:
	v_lshl_add_u32 v6, v0, 1, v10
	v_ashrrev_i32_e32 v1, 31, v0
	v_max_f32_e64 v2, s10, s10
	s_mov_b32 s1, 0
	s_delay_alu instid0(VALU_DEP_3)
	v_add3_u32 v4, v6, v4, 0
	v_max_f32_e64 v6, s11, s11
	s_set_inst_prefetch_distance 0x1
	.p2align	6
.LBB15_35:                              ; =>This Inner Loop Header: Depth=1
	ds_load_u16 v9, v4
	v_add_nc_u32_e32 v4, 32, v4
	s_waitcnt lgkmcnt(0)
	v_cvt_f32_f16_e32 v10, v9
	s_delay_alu instid0(VALU_DEP_1) | instskip(SKIP_1) | instid1(VALU_DEP_2)
	v_div_scale_f32 v9, null, v5, v5, v10
	v_div_scale_f32 v13, vcc_lo, v10, v5, v10
	v_rcp_f32_e32 v11, v9
	s_waitcnt_depctr 0xfff
	v_fma_f32 v12, -v9, v11, 1.0
	s_delay_alu instid0(VALU_DEP_1) | instskip(NEXT) | instid1(VALU_DEP_1)
	v_fmac_f32_e32 v11, v12, v11
	v_mul_f32_e32 v12, v13, v11
	s_delay_alu instid0(VALU_DEP_1) | instskip(NEXT) | instid1(VALU_DEP_1)
	v_fma_f32 v14, -v9, v12, v13
	v_fmac_f32_e32 v12, v14, v11
	s_delay_alu instid0(VALU_DEP_1) | instskip(NEXT) | instid1(VALU_DEP_1)
	v_fma_f32 v9, -v9, v12, v13
	v_div_fmas_f32 v11, v9, v11, v12
	v_add_co_u32 v9, vcc_lo, v7, v0
	v_add_co_u32 v0, s0, v0, 16
	s_delay_alu instid0(VALU_DEP_3) | instskip(SKIP_2) | instid1(VALU_DEP_3)
	v_div_fixup_f32 v11, v11, v5, v10
	v_add_co_ci_u32_e32 v10, vcc_lo, v8, v1, vcc_lo
	v_add_co_ci_u32_e64 v1, vcc_lo, 0, v1, s0
	v_maxmin_f32 v11, v11, v2, v6
	v_cmp_ge_i32_e32 vcc_lo, v0, v3
	s_delay_alu instid0(VALU_DEP_2)
	v_cvt_i32_f32_e32 v11, v11
	s_or_b32 s1, vcc_lo, s1
	global_store_b8 v[9:10], v11, off
	s_and_not1_b32 exec_lo, exec_lo, s1
	s_cbranch_execnz .LBB15_35
.LBB15_36:
	s_set_inst_prefetch_distance 0x2
	s_or_b32 exec_lo, exec_lo, s2
                                        ; implicit-def: $vgpr11
                                        ; implicit-def: $vgpr5
                                        ; implicit-def: $vgpr12
                                        ; implicit-def: $vgpr1_vgpr2
.LBB15_37:
	s_and_not1_saveexec_b32 s0, s13
	s_cbranch_execz .LBB15_41
; %bb.38:
	s_ashr_i32 s12, s12, 3
	s_mov_b32 s0, exec_lo
	v_cmpx_gt_i32_e64 s12, v11
	s_cbranch_execz .LBB15_41
; %bb.39:
	v_lshlrev_b32_e32 v0, 3, v11
	v_lshlrev_b32_e32 v3, 1, v12
	;; [unrolled: 1-line block ×3, first 2 shown]
	s_delay_alu instid0(VALU_DEP_3) | instskip(SKIP_1) | instid1(VALU_DEP_3)
	v_add_co_u32 v0, vcc_lo, v1, v0
	v_add_co_ci_u32_e32 v1, vcc_lo, 0, v2, vcc_lo
	v_add3_u32 v2, v3, v4, 0
	s_delay_alu instid0(VALU_DEP_3) | instskip(NEXT) | instid1(VALU_DEP_3)
	v_add_co_u32 v0, vcc_lo, s8, v0
	v_add_co_ci_u32_e32 v1, vcc_lo, s9, v1, vcc_lo
	v_max_f32_e64 v3, s10, s10
	v_max_f32_e64 v4, s11, s11
	s_mov_b32 s8, 0
.LBB15_40:                              ; =>This Inner Loop Header: Depth=1
	ds_load_b128 v[6:9], v2
	s_waitcnt lgkmcnt(0)
	v_lshrrev_b32_e32 v10, 16, v6
	v_cvt_f32_f16_e32 v6, v6
	v_lshrrev_b32_e32 v12, 16, v7
	v_lshrrev_b32_e32 v13, 16, v8
	;; [unrolled: 1-line block ×3, first 2 shown]
	v_cvt_f32_f16_e32 v7, v7
	v_cvt_f32_f16_e32 v8, v8
	;; [unrolled: 1-line block ×3, first 2 shown]
	v_div_scale_f32 v15, null, v5, v5, v6
	v_cvt_f32_f16_e32 v10, v10
	v_div_scale_f32 v17, null, v5, v5, v7
	v_cvt_f32_f16_e32 v12, v12
	;; [unrolled: 2-line block ×4, first 2 shown]
	v_rcp_f32_e32 v23, v15
	v_div_scale_f32 v24, null, v5, v5, v10
	v_rcp_f32_e32 v26, v17
	v_div_scale_f32 v27, null, v5, v5, v12
	v_rcp_f32_e32 v29, v19
	v_div_scale_f32 v30, null, v5, v5, v13
	v_rcp_f32_e32 v32, v21
	v_div_scale_f32 v33, null, v5, v5, v14
	v_rcp_f32_e32 v35, v24
	v_rcp_f32_e32 v36, v27
	v_rcp_f32_e32 v37, v30
	s_delay_alu instid0(VALU_DEP_1) | instskip(SKIP_4) | instid1(VALU_DEP_4)
	v_rcp_f32_e32 v38, v33
	v_fma_f32 v39, -v15, v23, 1.0
	v_add_nc_u32_e32 v2, 0x100, v2
	v_div_scale_f32 v16, vcc_lo, v6, v5, v6
	v_fma_f32 v40, -v17, v26, 1.0
	v_fmac_f32_e32 v23, v39, v23
	v_fma_f32 v41, -v19, v29, 1.0
	v_fma_f32 v42, -v21, v32, 1.0
	;; [unrolled: 1-line block ×3, first 2 shown]
	v_dual_fmac_f32 v26, v40, v26 :: v_dual_add_nc_u32 v11, 16, v11
	v_div_scale_f32 v18, s1, v7, v5, v7
	v_div_scale_f32 v20, s2, v8, v5, v8
	;; [unrolled: 1-line block ×4, first 2 shown]
	v_fma_f32 v40, -v27, v36, 1.0
	v_dual_fmac_f32 v29, v41, v29 :: v_dual_fmac_f32 v32, v42, v32
	v_fma_f32 v41, -v30, v37, 1.0
	v_fma_f32 v42, -v33, v38, 1.0
	v_mul_f32_e32 v43, v16, v23
	v_dual_fmac_f32 v35, v39, v35 :: v_dual_fmac_f32 v36, v40, v36
	v_div_scale_f32 v28, s5, v12, v5, v12
	v_div_scale_f32 v31, s6, v13, v5, v13
	v_dual_mul_f32 v39, v18, v26 :: v_dual_mul_f32 v40, v20, v29
	s_delay_alu instid0(VALU_DEP_3)
	v_dual_fmac_f32 v37, v41, v37 :: v_dual_mul_f32 v46, v28, v36
	v_dual_mul_f32 v41, v22, v32 :: v_dual_mul_f32 v44, v25, v35
	v_fmac_f32_e32 v38, v42, v38
	v_fma_f32 v42, -v15, v43, v16
	v_fma_f32 v45, -v17, v39, v18
	;; [unrolled: 1-line block ×3, first 2 shown]
	v_mul_f32_e32 v48, v31, v37
	v_div_scale_f32 v34, s7, v14, v5, v14
	v_fmac_f32_e32 v43, v42, v23
	v_fma_f32 v42, -v24, v44, v25
	v_dual_fmac_f32 v39, v45, v26 :: v_dual_fmac_f32 v40, v47, v29
	v_fma_f32 v45, -v27, v46, v28
	s_delay_alu instid0(VALU_DEP_4) | instskip(NEXT) | instid1(VALU_DEP_4)
	v_fma_f32 v15, -v15, v43, v16
	v_fmac_f32_e32 v44, v42, v35
	s_delay_alu instid0(VALU_DEP_4)
	v_fma_f32 v16, -v17, v39, v18
	v_fma_f32 v17, -v19, v40, v20
	;; [unrolled: 1-line block ×3, first 2 shown]
	v_div_fmas_f32 v15, v15, v23, v43
	v_fma_f32 v19, -v24, v44, v25
	s_mov_b32 vcc_lo, s4
	v_fma_f32 v47, -v30, v48, v31
	v_dual_mul_f32 v50, v34, v38 :: v_dual_fmac_f32 v41, v49, v32
	v_div_fixup_f32 v6, v15, v5, v6
	v_div_fmas_f32 v15, v19, v35, v44
	s_mov_b32 vcc_lo, s1
	s_delay_alu instid0(VALU_DEP_3)
	v_fma_f32 v49, -v33, v50, v34
	v_div_fmas_f32 v16, v16, v26, v39
	s_mov_b32 vcc_lo, s5
	v_fma_f32 v18, -v21, v41, v22
	v_div_fixup_f32 v10, v15, v5, v10
	v_maxmin_f32 v6, v6, v3, v4
	v_div_fixup_f32 v7, v16, v5, v7
	v_cmp_le_i32_e64 s0, s12, v11
	s_delay_alu instid0(VALU_DEP_4) | instskip(NEXT) | instid1(VALU_DEP_4)
	v_maxmin_f32 v10, v10, v3, v4
	v_cvt_i32_f32_e32 v6, v6
	s_delay_alu instid0(VALU_DEP_4) | instskip(NEXT) | instid1(VALU_DEP_4)
	v_maxmin_f32 v7, v7, v3, v4
	s_or_b32 s8, s0, s8
	s_delay_alu instid0(VALU_DEP_3) | instskip(NEXT) | instid1(VALU_DEP_3)
	v_cvt_i32_f32_e32 v10, v10
	v_and_b32_e32 v6, 0xff, v6
	s_delay_alu instid0(VALU_DEP_3) | instskip(SKIP_1) | instid1(VALU_DEP_4)
	v_cvt_i32_f32_e32 v7, v7
	v_fmac_f32_e32 v46, v45, v36
	v_and_b32_e32 v10, 0xff, v10
	s_delay_alu instid0(VALU_DEP_3) | instskip(NEXT) | instid1(VALU_DEP_3)
	v_dual_fmac_f32 v48, v47, v37 :: v_dual_and_b32 v7, 0xff, v7
	v_fma_f32 v20, -v27, v46, v28
	s_delay_alu instid0(VALU_DEP_3) | instskip(NEXT) | instid1(VALU_DEP_3)
	v_lshlrev_b32_e32 v10, 8, v10
	v_lshlrev_b32_e32 v7, 16, v7
	s_delay_alu instid0(VALU_DEP_4) | instskip(NEXT) | instid1(VALU_DEP_4)
	v_fma_f32 v21, -v30, v48, v31
	v_div_fmas_f32 v19, v20, v36, v46
	s_mov_b32 vcc_lo, s2
	v_div_fmas_f32 v15, v17, v29, v40
	s_mov_b32 vcc_lo, s6
	s_delay_alu instid0(VALU_DEP_2)
	v_div_fixup_f32 v12, v19, v5, v12
	v_div_fmas_f32 v16, v21, v37, v48
	s_mov_b32 vcc_lo, s3
	v_div_fixup_f32 v8, v15, v5, v8
	v_div_fmas_f32 v17, v18, v32, v41
	s_mov_b32 vcc_lo, s7
	v_div_fixup_f32 v13, v16, v5, v13
	v_maxmin_f32 v12, v12, v3, v4
	v_maxmin_f32 v8, v8, v3, v4
	v_div_fixup_f32 v9, v17, v5, v9
	s_delay_alu instid0(VALU_DEP_4) | instskip(NEXT) | instid1(VALU_DEP_4)
	v_maxmin_f32 v13, v13, v3, v4
	v_cvt_i32_f32_e32 v12, v12
	s_delay_alu instid0(VALU_DEP_4) | instskip(NEXT) | instid1(VALU_DEP_4)
	v_cvt_i32_f32_e32 v8, v8
	v_maxmin_f32 v9, v9, v3, v4
	s_delay_alu instid0(VALU_DEP_4) | instskip(NEXT) | instid1(VALU_DEP_4)
	v_cvt_i32_f32_e32 v13, v13
	v_lshlrev_b32_e32 v12, 24, v12
	s_delay_alu instid0(VALU_DEP_4) | instskip(NEXT) | instid1(VALU_DEP_4)
	v_and_b32_e32 v8, 0xff, v8
	v_cvt_i32_f32_e32 v9, v9
	s_delay_alu instid0(VALU_DEP_4) | instskip(NEXT) | instid1(VALU_DEP_4)
	v_dual_fmac_f32 v50, v49, v38 :: v_dual_and_b32 v13, 0xff, v13
	v_or3_b32 v7, v12, v7, v10
	s_delay_alu instid0(VALU_DEP_3) | instskip(NEXT) | instid1(VALU_DEP_3)
	v_and_b32_e32 v9, 0xff, v9
	v_fma_f32 v22, -v33, v50, v34
	s_delay_alu instid0(VALU_DEP_4) | instskip(NEXT) | instid1(VALU_DEP_4)
	v_lshlrev_b32_e32 v10, 8, v13
	v_or_b32_e32 v6, v7, v6
	s_delay_alu instid0(VALU_DEP_4) | instskip(NEXT) | instid1(VALU_DEP_4)
	v_lshlrev_b32_e32 v9, 16, v9
	v_div_fmas_f32 v15, v22, v38, v50
	s_delay_alu instid0(VALU_DEP_1) | instskip(NEXT) | instid1(VALU_DEP_1)
	v_div_fixup_f32 v14, v15, v5, v14
	v_maxmin_f32 v14, v14, v3, v4
	s_delay_alu instid0(VALU_DEP_1) | instskip(NEXT) | instid1(VALU_DEP_1)
	v_cvt_i32_f32_e32 v14, v14
	v_lshlrev_b32_e32 v14, 24, v14
	s_delay_alu instid0(VALU_DEP_1) | instskip(NEXT) | instid1(VALU_DEP_1)
	v_or_b32_e32 v7, v14, v9
	v_or3_b32 v7, v7, v10, v8
	global_store_b64 v[0:1], v[6:7], off
	v_add_co_u32 v0, vcc_lo, 0x80, v0
	v_add_co_ci_u32_e32 v1, vcc_lo, 0, v1, vcc_lo
	s_and_not1_b32 exec_lo, exec_lo, s8
	s_cbranch_execnz .LBB15_40
.LBB15_41:
	s_nop 0
	s_sendmsg sendmsg(MSG_DEALLOC_VGPRS)
	s_endpgm
	.section	.rodata,"a",@progbits
	.p2align	6, 0x0
	.amdhsa_kernel _Z33per_token_group_quant_8bit_kernelIN3c104HalfEaLb0ELb0EfEvPKT_PvPT3_iiifffii
		.amdhsa_group_segment_fixed_size 0
		.amdhsa_private_segment_fixed_size 0
		.amdhsa_kernarg_size 56
		.amdhsa_user_sgpr_count 15
		.amdhsa_user_sgpr_dispatch_ptr 0
		.amdhsa_user_sgpr_queue_ptr 0
		.amdhsa_user_sgpr_kernarg_segment_ptr 1
		.amdhsa_user_sgpr_dispatch_id 0
		.amdhsa_user_sgpr_private_segment_size 0
		.amdhsa_wavefront_size32 1
		.amdhsa_uses_dynamic_stack 0
		.amdhsa_enable_private_segment 0
		.amdhsa_system_sgpr_workgroup_id_x 1
		.amdhsa_system_sgpr_workgroup_id_y 0
		.amdhsa_system_sgpr_workgroup_id_z 0
		.amdhsa_system_sgpr_workgroup_info 0
		.amdhsa_system_vgpr_workitem_id 0
		.amdhsa_next_free_vgpr 60
		.amdhsa_next_free_sgpr 16
		.amdhsa_reserve_vcc 1
		.amdhsa_float_round_mode_32 0
		.amdhsa_float_round_mode_16_64 0
		.amdhsa_float_denorm_mode_32 3
		.amdhsa_float_denorm_mode_16_64 3
		.amdhsa_dx10_clamp 1
		.amdhsa_ieee_mode 1
		.amdhsa_fp16_overflow 0
		.amdhsa_workgroup_processor_mode 1
		.amdhsa_memory_ordered 1
		.amdhsa_forward_progress 0
		.amdhsa_shared_vgpr_count 0
		.amdhsa_exception_fp_ieee_invalid_op 0
		.amdhsa_exception_fp_denorm_src 0
		.amdhsa_exception_fp_ieee_div_zero 0
		.amdhsa_exception_fp_ieee_overflow 0
		.amdhsa_exception_fp_ieee_underflow 0
		.amdhsa_exception_fp_ieee_inexact 0
		.amdhsa_exception_int_div_zero 0
	.end_amdhsa_kernel
	.section	.text._Z33per_token_group_quant_8bit_kernelIN3c104HalfEaLb0ELb0EfEvPKT_PvPT3_iiifffii,"axG",@progbits,_Z33per_token_group_quant_8bit_kernelIN3c104HalfEaLb0ELb0EfEvPKT_PvPT3_iiifffii,comdat
.Lfunc_end15:
	.size	_Z33per_token_group_quant_8bit_kernelIN3c104HalfEaLb0ELb0EfEvPKT_PvPT3_iiifffii, .Lfunc_end15-_Z33per_token_group_quant_8bit_kernelIN3c104HalfEaLb0ELb0EfEvPKT_PvPT3_iiifffii
                                        ; -- End function
	.section	.AMDGPU.csdata,"",@progbits
; Kernel info:
; codeLenInByte = 4940
; NumSgprs: 18
; NumVgprs: 60
; ScratchSize: 0
; MemoryBound: 0
; FloatMode: 240
; IeeeMode: 1
; LDSByteSize: 0 bytes/workgroup (compile time only)
; SGPRBlocks: 2
; VGPRBlocks: 7
; NumSGPRsForWavesPerEU: 18
; NumVGPRsForWavesPerEU: 60
; Occupancy: 16
; WaveLimiterHint : 0
; COMPUTE_PGM_RSRC2:SCRATCH_EN: 0
; COMPUTE_PGM_RSRC2:USER_SGPR: 15
; COMPUTE_PGM_RSRC2:TRAP_HANDLER: 0
; COMPUTE_PGM_RSRC2:TGID_X_EN: 1
; COMPUTE_PGM_RSRC2:TGID_Y_EN: 0
; COMPUTE_PGM_RSRC2:TGID_Z_EN: 0
; COMPUTE_PGM_RSRC2:TIDIG_COMP_CNT: 0
	.section	.text._Z33per_token_group_quant_8bit_kernelIN3c104HalfENS0_13Float8_e4m3fnELb1ELb1EfEvPKT_PvPT3_iiifffii,"axG",@progbits,_Z33per_token_group_quant_8bit_kernelIN3c104HalfENS0_13Float8_e4m3fnELb1ELb1EfEvPKT_PvPT3_iiifffii,comdat
	.protected	_Z33per_token_group_quant_8bit_kernelIN3c104HalfENS0_13Float8_e4m3fnELb1ELb1EfEvPKT_PvPT3_iiifffii ; -- Begin function _Z33per_token_group_quant_8bit_kernelIN3c104HalfENS0_13Float8_e4m3fnELb1ELb1EfEvPKT_PvPT3_iiifffii
	.globl	_Z33per_token_group_quant_8bit_kernelIN3c104HalfENS0_13Float8_e4m3fnELb1ELb1EfEvPKT_PvPT3_iiifffii
	.p2align	8
	.type	_Z33per_token_group_quant_8bit_kernelIN3c104HalfENS0_13Float8_e4m3fnELb1ELb1EfEvPKT_PvPT3_iiifffii,@function
_Z33per_token_group_quant_8bit_kernelIN3c104HalfENS0_13Float8_e4m3fnELb1ELb1EfEvPKT_PvPT3_iiifffii: ; @_Z33per_token_group_quant_8bit_kernelIN3c104HalfENS0_13Float8_e4m3fnELb1ELb1EfEvPKT_PvPT3_iiifffii
; %bb.0:
	s_clause 0x1
	s_load_b128 s[4:7], s[0:1], 0x20
	s_load_b32 s14, s[0:1], 0x18
	v_lshrrev_b32_e32 v3, 4, v0
	s_load_b64 s[8:9], s[0:1], 0x30
	v_and_b32_e32 v10, 15, v0
                                        ; implicit-def: $vgpr14
	s_waitcnt lgkmcnt(0)
	s_mul_i32 s15, s15, s4
	s_ashr_i32 s4, s14, 31
	v_add_co_u32 v12, s2, s15, v3
	s_delay_alu instid0(VALU_DEP_1) | instskip(SKIP_1) | instid1(VALU_DEP_2)
	v_add_co_ci_u32_e64 v13, null, 0, 0, s2
	s_load_b64 s[2:3], s[0:1], 0x0
	v_mul_lo_u32 v2, v12, s4
	v_mad_u64_u32 v[4:5], null, v12, s14, 0
	s_delay_alu instid0(VALU_DEP_3) | instskip(SKIP_2) | instid1(SALU_CYCLE_1)
	v_mul_lo_u32 v1, v13, s14
	v_mul_lo_u32 v11, v3, s14
	s_and_b32 s4, s14, 7
	s_cmp_eq_u32 s4, 0
	s_cselect_b32 s15, -1, 0
	s_cmp_lg_u32 s4, 0
	s_delay_alu instid0(VALU_DEP_2) | instskip(NEXT) | instid1(VALU_DEP_2)
	v_add3_u32 v5, v5, v2, v1
	v_lshl_add_u32 v3, v11, 1, 0
	s_cselect_b32 s4, -1, 0
	s_delay_alu instid0(VALU_DEP_2) | instskip(SKIP_1) | instid1(VALU_DEP_1)
	v_lshlrev_b64 v[1:2], 1, v[4:5]
	s_waitcnt lgkmcnt(0)
	v_add_co_u32 v6, vcc_lo, s2, v1
	v_mov_b32_e32 v9, 0
	s_delay_alu instid0(VALU_DEP_3) | instskip(NEXT) | instid1(VALU_DEP_3)
	v_add_co_ci_u32_e32 v7, vcc_lo, s3, v2, vcc_lo
	v_and_b32_e32 v8, 15, v6
	s_delay_alu instid0(VALU_DEP_1) | instskip(SKIP_1) | instid1(SALU_CYCLE_1)
	v_cmp_ne_u64_e32 vcc_lo, 0, v[8:9]
	s_or_b32 s4, s4, vcc_lo
	s_and_saveexec_b32 s10, s4
	s_delay_alu instid0(SALU_CYCLE_1)
	s_xor_b32 s4, exec_lo, s10
	s_cbranch_execz .LBB16_12
; %bb.1:
	v_sub_nc_u32_e32 v0, 0, v6
	v_mov_b32_e32 v14, s5
	s_mov_b32 s10, exec_lo
	s_delay_alu instid0(VALU_DEP_2) | instskip(NEXT) | instid1(VALU_DEP_1)
	v_bfe_u32 v0, v0, 1, 3
	v_min_i32_e32 v8, s14, v0
	s_delay_alu instid0(VALU_DEP_1)
	v_cmpx_gt_i32_e64 v8, v10
	s_cbranch_execz .LBB16_3
; %bb.2:
	v_lshlrev_b32_e32 v0, 1, v10
	v_max_f32_e64 v9, s5, s5
	s_delay_alu instid0(VALU_DEP_2)
	v_add_co_u32 v6, vcc_lo, v6, v0
	v_add_co_ci_u32_e32 v7, vcc_lo, 0, v7, vcc_lo
	v_add_nc_u32_e32 v0, v3, v0
	global_load_u16 v6, v[6:7], off
	s_waitcnt vmcnt(0)
	v_cvt_f32_f16_e64 v7, |v6|
	ds_store_b16 v0, v6
	v_max_f32_e32 v14, v9, v7
.LBB16_3:
	s_or_b32 exec_lo, exec_lo, s10
	v_sub_nc_u32_e32 v15, s14, v8
	v_ashrrev_i32_e32 v9, 31, v8
	s_mov_b32 s10, exec_lo
	s_delay_alu instid0(VALU_DEP_2) | instskip(NEXT) | instid1(VALU_DEP_2)
	v_ashrrev_i32_e32 v0, 31, v15
	v_lshlrev_b64 v[6:7], 1, v[8:9]
	s_delay_alu instid0(VALU_DEP_2) | instskip(NEXT) | instid1(VALU_DEP_1)
	v_lshrrev_b32_e32 v0, 29, v0
	v_add_nc_u32_e32 v0, v15, v0
	s_delay_alu instid0(VALU_DEP_1) | instskip(SKIP_1) | instid1(VALU_DEP_2)
	v_ashrrev_i32_e32 v16, 3, v0
	v_lshlrev_b32_e32 v0, 1, v8
	v_cmpx_gt_i32_e64 v16, v10
	s_cbranch_execz .LBB16_7
; %bb.4:
	v_lshlrev_b32_e32 v8, 4, v10
	s_mov_b32 s11, 0
	s_delay_alu instid0(VALU_DEP_1) | instskip(SKIP_2) | instid1(VALU_DEP_3)
	v_add_co_u32 v9, vcc_lo, v1, v8
	v_add_co_ci_u32_e32 v17, vcc_lo, 0, v2, vcc_lo
	v_lshl_add_u32 v8, v11, 1, v8
	v_add_co_u32 v9, vcc_lo, v9, v6
	s_delay_alu instid0(VALU_DEP_3) | instskip(NEXT) | instid1(VALU_DEP_2)
	v_add_co_ci_u32_e32 v17, vcc_lo, v17, v7, vcc_lo
	v_add_co_u32 v9, vcc_lo, v9, s2
	s_delay_alu instid0(VALU_DEP_2) | instskip(SKIP_1) | instid1(VALU_DEP_3)
	v_add_co_ci_u32_e32 v18, vcc_lo, s3, v17, vcc_lo
	v_add3_u32 v17, v8, v0, 0
	v_add_co_u32 v8, vcc_lo, v9, 8
	s_delay_alu instid0(VALU_DEP_3)
	v_add_co_ci_u32_e32 v9, vcc_lo, 0, v18, vcc_lo
	v_mov_b32_e32 v18, v10
	s_set_inst_prefetch_distance 0x1
	.p2align	6
.LBB16_5:                               ; =>This Inner Loop Header: Depth=1
	global_load_b128 v[19:22], v[8:9], off offset:-8
	v_add_nc_u32_e32 v18, 16, v18
	v_add_co_u32 v8, vcc_lo, 0x100, v8
	v_add_co_ci_u32_e32 v9, vcc_lo, 0, v9, vcc_lo
	s_delay_alu instid0(VALU_DEP_3)
	v_cmp_ge_i32_e32 vcc_lo, v18, v16
	s_or_b32 s11, vcc_lo, s11
	s_waitcnt vmcnt(0)
	v_lshrrev_b32_e32 v23, 16, v19
	v_cvt_f32_f16_e64 v24, |v19|
	v_lshrrev_b32_e32 v25, 16, v20
	v_cvt_f32_f16_e64 v26, |v20|
	v_lshrrev_b32_e32 v27, 16, v21
	v_cvt_f32_f16_e64 v23, |v23|
	ds_store_b128 v17, v[19:22]
	v_cvt_f32_f16_e64 v25, |v25|
	v_add_nc_u32_e32 v17, 0x100, v17
	v_cvt_f32_f16_e64 v27, |v27|
	v_max3_f32 v14, v14, v24, v23
	v_cvt_f32_f16_e64 v23, |v21|
	v_lshrrev_b32_e32 v24, 16, v22
	s_delay_alu instid0(VALU_DEP_3) | instskip(SKIP_1) | instid1(VALU_DEP_3)
	v_max3_f32 v14, v14, v26, v25
	v_cvt_f32_f16_e64 v25, |v22|
	v_cvt_f32_f16_e64 v24, |v24|
	s_delay_alu instid0(VALU_DEP_3) | instskip(NEXT) | instid1(VALU_DEP_1)
	v_max3_f32 v14, v14, v23, v27
	v_max3_f32 v14, v14, v25, v24
	s_and_not1_b32 exec_lo, exec_lo, s11
	s_cbranch_execnz .LBB16_5
; %bb.6:
	s_set_inst_prefetch_distance 0x2
	s_or_b32 exec_lo, exec_lo, s11
.LBB16_7:
	s_delay_alu instid0(SALU_CYCLE_1) | instskip(SKIP_2) | instid1(VALU_DEP_1)
	s_or_b32 exec_lo, exec_lo, s10
	v_lshl_add_u32 v8, v16, 3, v10
	s_mov_b32 s10, exec_lo
	v_cmpx_lt_i32_e64 v8, v15
	s_cbranch_execz .LBB16_11
; %bb.8:
	v_ashrrev_i32_e32 v9, 31, v8
	v_lshlrev_b32_e32 v19, 4, v16
	v_lshlrev_b32_e32 v18, 1, v11
	v_add_co_u32 v1, vcc_lo, v1, v6
	s_delay_alu instid0(VALU_DEP_4) | instskip(SKIP_4) | instid1(VALU_DEP_4)
	v_lshlrev_b64 v[16:17], 1, v[8:9]
	v_add_co_ci_u32_e32 v2, vcc_lo, v2, v7, vcc_lo
	v_lshlrev_b32_e32 v20, 1, v10
	v_add3_u32 v0, v18, v19, v0
	s_mov_b32 s11, 0
	v_add_co_u32 v1, vcc_lo, v1, v16
	v_add_co_ci_u32_e32 v6, vcc_lo, v2, v17, vcc_lo
	s_delay_alu instid0(VALU_DEP_3) | instskip(NEXT) | instid1(VALU_DEP_3)
	v_add3_u32 v2, v0, v20, 0
	v_add_co_u32 v0, vcc_lo, s2, v1
	s_delay_alu instid0(VALU_DEP_3)
	v_add_co_ci_u32_e32 v1, vcc_lo, s3, v6, vcc_lo
	.p2align	6
.LBB16_9:                               ; =>This Inner Loop Header: Depth=1
	global_load_u16 v6, v[0:1], off
	v_dual_max_f32 v7, v14, v14 :: v_dual_add_nc_u32 v8, 16, v8
	v_add_co_u32 v0, vcc_lo, v0, 32
	v_add_co_ci_u32_e32 v1, vcc_lo, 0, v1, vcc_lo
	s_delay_alu instid0(VALU_DEP_3)
	v_cmp_ge_i32_e32 vcc_lo, v8, v15
	s_or_b32 s11, vcc_lo, s11
	s_waitcnt vmcnt(0)
	v_cvt_f32_f16_e64 v9, |v6|
	ds_store_b16 v2, v6
	v_add_nc_u32_e32 v2, 32, v2
	v_max_f32_e32 v14, v7, v9
	s_and_not1_b32 exec_lo, exec_lo, s11
	s_cbranch_execnz .LBB16_9
; %bb.10:
	s_or_b32 exec_lo, exec_lo, s11
.LBB16_11:
	s_delay_alu instid0(SALU_CYCLE_1)
	s_or_b32 exec_lo, exec_lo, s10
                                        ; implicit-def: $vgpr1_vgpr2
.LBB16_12:
	s_and_not1_saveexec_b32 s4, s4
	s_cbranch_execz .LBB16_18
; %bb.13:
	v_mov_b32_e32 v14, s5
	s_ashr_i32 s11, s14, 3
	s_mov_b32 s10, exec_lo
	v_cmpx_gt_i32_e64 s11, v10
	s_cbranch_execz .LBB16_17
; %bb.14:
	v_lshlrev_b32_e32 v0, 4, v10
	v_lshlrev_b32_e32 v6, 1, v11
	v_mov_b32_e32 v14, s5
	s_delay_alu instid0(VALU_DEP_3) | instskip(SKIP_1) | instid1(VALU_DEP_2)
	v_add_co_u32 v1, vcc_lo, v1, v0
	v_add_co_ci_u32_e32 v2, vcc_lo, 0, v2, vcc_lo
	v_add_co_u32 v1, vcc_lo, v1, s2
	s_delay_alu instid0(VALU_DEP_2) | instskip(SKIP_1) | instid1(VALU_DEP_3)
	v_add_co_ci_u32_e32 v7, vcc_lo, s3, v2, vcc_lo
	v_add3_u32 v2, v6, v0, 0
	v_add_co_u32 v0, vcc_lo, v1, 8
	s_delay_alu instid0(VALU_DEP_3)
	v_add_co_ci_u32_e32 v1, vcc_lo, 0, v7, vcc_lo
	v_mov_b32_e32 v6, v10
	s_mov_b32 s2, 0
	s_set_inst_prefetch_distance 0x1
	.p2align	6
.LBB16_15:                              ; =>This Inner Loop Header: Depth=1
	global_load_b128 v[15:18], v[0:1], off offset:-8
	v_add_nc_u32_e32 v6, 16, v6
	v_add_co_u32 v0, vcc_lo, 0x100, v0
	v_add_co_ci_u32_e32 v1, vcc_lo, 0, v1, vcc_lo
	s_delay_alu instid0(VALU_DEP_3)
	v_cmp_le_i32_e32 vcc_lo, s11, v6
	s_or_b32 s2, vcc_lo, s2
	s_waitcnt vmcnt(0)
	v_lshrrev_b32_e32 v7, 16, v15
	v_cvt_f32_f16_e64 v8, |v15|
	v_lshrrev_b32_e32 v9, 16, v16
	v_cvt_f32_f16_e64 v19, |v16|
	;; [unrolled: 2-line block ×3, first 2 shown]
	ds_store_b128 v2, v[15:18]
	v_cvt_f32_f16_e64 v9, |v9|
	v_add_nc_u32_e32 v2, 0x100, v2
	v_cvt_f32_f16_e64 v20, |v20|
	v_max3_f32 v7, v14, v8, v7
	v_cvt_f32_f16_e64 v8, |v17|
	v_lshrrev_b32_e32 v14, 16, v18
	s_delay_alu instid0(VALU_DEP_3) | instskip(SKIP_1) | instid1(VALU_DEP_3)
	v_max3_f32 v7, v7, v19, v9
	v_cvt_f32_f16_e64 v9, |v18|
	v_cvt_f32_f16_e64 v14, |v14|
	s_delay_alu instid0(VALU_DEP_3) | instskip(NEXT) | instid1(VALU_DEP_1)
	v_max3_f32 v7, v7, v8, v20
	v_max3_f32 v14, v7, v9, v14
	s_and_not1_b32 exec_lo, exec_lo, s2
	s_cbranch_execnz .LBB16_15
; %bb.16:
	s_set_inst_prefetch_distance 0x2
	s_or_b32 exec_lo, exec_lo, s2
.LBB16_17:
	s_delay_alu instid0(SALU_CYCLE_1)
	s_or_b32 exec_lo, exec_lo, s10
.LBB16_18:
	s_delay_alu instid0(SALU_CYCLE_1) | instskip(SKIP_4) | instid1(VALU_DEP_2)
	s_or_b32 exec_lo, exec_lo, s4
	v_mbcnt_lo_u32_b32 v0, -1, 0
	v_max_f32_e32 v7, v14, v14
	s_load_b64 s[2:3], s[0:1], 0x8
	s_mov_b32 s16, exec_lo
	v_xor_b32_e32 v2, 8, v0
	v_and_b32_e32 v1, 16, v0
	v_xor_b32_e32 v6, 4, v0
	s_delay_alu instid0(VALU_DEP_2) | instskip(NEXT) | instid1(VALU_DEP_1)
	v_add_nc_u32_e32 v1, 16, v1
	v_cmp_lt_i32_e32 vcc_lo, v2, v1
	v_cndmask_b32_e32 v2, v0, v2, vcc_lo
	s_delay_alu instid0(VALU_DEP_4) | instskip(NEXT) | instid1(VALU_DEP_2)
	v_cmp_lt_i32_e32 vcc_lo, v6, v1
	v_lshlrev_b32_e32 v2, 2, v2
	v_cndmask_b32_e32 v6, v0, v6, vcc_lo
	ds_bpermute_b32 v2, v2, v14
	v_lshlrev_b32_e32 v6, 2, v6
	s_waitcnt lgkmcnt(0)
	v_max_f32_e32 v2, v2, v2
	s_delay_alu instid0(VALU_DEP_1)
	v_max_f32_e32 v2, v7, v2
	v_xor_b32_e32 v7, 2, v0
	ds_bpermute_b32 v6, v6, v2
	v_cmp_lt_i32_e32 vcc_lo, v7, v1
	v_cndmask_b32_e32 v7, v0, v7, vcc_lo
	s_waitcnt lgkmcnt(0)
	s_delay_alu instid0(VALU_DEP_1) | instskip(NEXT) | instid1(VALU_DEP_1)
	v_dual_max_f32 v6, v6, v6 :: v_dual_lshlrev_b32 v7, 2, v7
	v_max_f32_e32 v2, v2, v6
	ds_bpermute_b32 v6, v7, v2
	v_xor_b32_e32 v7, 1, v0
	s_delay_alu instid0(VALU_DEP_1) | instskip(SKIP_2) | instid1(VALU_DEP_1)
	v_cmp_lt_i32_e32 vcc_lo, v7, v1
	s_waitcnt lgkmcnt(0)
	v_dual_cndmask_b32 v0, v0, v7 :: v_dual_max_f32 v1, v6, v6
	v_dual_max_f32 v1, v2, v1 :: v_dual_lshlrev_b32 v0, 2, v0
	ds_bpermute_b32 v0, v0, v1
	s_waitcnt lgkmcnt(0)
	v_max_f32_e32 v0, v0, v0
	s_delay_alu instid0(VALU_DEP_1) | instskip(NEXT) | instid1(VALU_DEP_1)
	v_max_f32_e32 v0, v1, v0
	v_div_scale_f32 v1, null, s7, s7, v0
	v_div_scale_f32 v7, vcc_lo, v0, s7, v0
	s_delay_alu instid0(VALU_DEP_2) | instskip(SKIP_2) | instid1(VALU_DEP_1)
	v_rcp_f32_e32 v2, v1
	s_waitcnt_depctr 0xfff
	v_fma_f32 v6, -v1, v2, 1.0
	v_fmac_f32_e32 v2, v6, v2
	s_delay_alu instid0(VALU_DEP_1) | instskip(NEXT) | instid1(VALU_DEP_1)
	v_mul_f32_e32 v6, v7, v2
	v_fma_f32 v8, -v1, v6, v7
	s_delay_alu instid0(VALU_DEP_1) | instskip(NEXT) | instid1(VALU_DEP_1)
	v_fmac_f32_e32 v6, v8, v2
	v_fma_f32 v1, -v1, v6, v7
	s_delay_alu instid0(VALU_DEP_1) | instskip(NEXT) | instid1(VALU_DEP_1)
	v_div_fmas_f32 v1, v1, v2, v6
	v_div_fixup_f32 v0, v1, s7, v0
	s_delay_alu instid0(VALU_DEP_1) | instskip(NEXT) | instid1(VALU_DEP_1)
	v_max_f32_e64 v0, 0x2edbe6ff, |v0|
	v_cmp_gt_f32_e32 vcc_lo, 0x800000, v0
	v_cndmask_b32_e64 v1, 1.0, 0x4f800000, vcc_lo
	s_delay_alu instid0(VALU_DEP_1) | instskip(SKIP_1) | instid1(VALU_DEP_2)
	v_mul_f32_e32 v0, v0, v1
	v_cndmask_b32_e64 v1, 0, 0x42000000, vcc_lo
	v_log_f32_e32 v0, v0
	s_waitcnt_depctr 0xfff
	v_sub_f32_e32 v0, v0, v1
	s_delay_alu instid0(VALU_DEP_1) | instskip(NEXT) | instid1(VALU_DEP_1)
	v_ceil_f32_e32 v0, v0
	v_cmp_gt_f32_e32 vcc_lo, 0xc2fc0000, v0
	v_cndmask_b32_e64 v1, 0, 0x42800000, vcc_lo
	s_delay_alu instid0(VALU_DEP_1) | instskip(SKIP_1) | instid1(VALU_DEP_2)
	v_add_f32_e32 v0, v0, v1
	v_cndmask_b32_e64 v1, 1.0, 0x1f800000, vcc_lo
	v_exp_f32_e32 v0, v0
	s_waitcnt_depctr 0xfff
	v_mul_f32_e32 v8, v0, v1
	v_cmpx_eq_u32_e32 0, v10
	s_cbranch_execz .LBB16_24
; %bb.19:
	s_load_b64 s[4:5], s[0:1], 0x10
	s_ashr_i32 s0, s8, 31
	v_mov_b32_e32 v0, 0
	v_or_b32_e32 v1, s0, v13
	s_mov_b32 s1, s8
	s_delay_alu instid0(VALU_DEP_1) | instskip(SKIP_1) | instid1(SALU_CYCLE_1)
	v_cmp_ne_u64_e32 vcc_lo, 0, v[0:1]
                                        ; implicit-def: $vgpr0_vgpr1
	s_and_saveexec_b32 s8, vcc_lo
	s_xor_b32 s8, exec_lo, s8
	s_cbranch_execz .LBB16_21
; %bb.20:
	s_add_u32 s12, s1, s0
	s_mov_b32 s10, s0
	s_mov_b32 s11, s0
	s_addc_u32 s13, s0, s0
	s_delay_alu instid0(SALU_CYCLE_1) | instskip(NEXT) | instid1(SALU_CYCLE_1)
	s_xor_b64 s[12:13], s[12:13], s[10:11]
	v_cvt_f32_u32_e32 v0, s12
	v_cvt_f32_u32_e32 v1, s13
	s_sub_u32 s0, 0, s12
	s_subb_u32 s11, 0, s13
	s_delay_alu instid0(VALU_DEP_1) | instskip(NEXT) | instid1(VALU_DEP_1)
	v_fmamk_f32 v0, v1, 0x4f800000, v0
	v_rcp_f32_e32 v0, v0
	s_waitcnt_depctr 0xfff
	v_mul_f32_e32 v0, 0x5f7ffffc, v0
	s_delay_alu instid0(VALU_DEP_1) | instskip(NEXT) | instid1(VALU_DEP_1)
	v_mul_f32_e32 v1, 0x2f800000, v0
	v_trunc_f32_e32 v1, v1
	s_delay_alu instid0(VALU_DEP_1) | instskip(SKIP_1) | instid1(VALU_DEP_2)
	v_fmamk_f32 v0, v1, 0xcf800000, v0
	v_cvt_u32_f32_e32 v1, v1
	v_cvt_u32_f32_e32 v0, v0
	s_delay_alu instid0(VALU_DEP_2) | instskip(NEXT) | instid1(VALU_DEP_2)
	v_mul_lo_u32 v2, s0, v1
	v_mul_hi_u32 v6, s0, v0
	v_mul_lo_u32 v7, s11, v0
	s_delay_alu instid0(VALU_DEP_2) | instskip(SKIP_1) | instid1(VALU_DEP_2)
	v_add_nc_u32_e32 v2, v6, v2
	v_mul_lo_u32 v6, s0, v0
	v_add_nc_u32_e32 v2, v2, v7
	s_delay_alu instid0(VALU_DEP_2) | instskip(NEXT) | instid1(VALU_DEP_2)
	v_mul_hi_u32 v7, v0, v6
	v_mul_lo_u32 v9, v0, v2
	v_mul_hi_u32 v14, v0, v2
	v_mul_hi_u32 v15, v1, v6
	v_mul_lo_u32 v6, v1, v6
	v_mul_hi_u32 v16, v1, v2
	v_mul_lo_u32 v2, v1, v2
	v_add_co_u32 v7, vcc_lo, v7, v9
	v_add_co_ci_u32_e32 v9, vcc_lo, 0, v14, vcc_lo
	s_delay_alu instid0(VALU_DEP_2) | instskip(NEXT) | instid1(VALU_DEP_2)
	v_add_co_u32 v6, vcc_lo, v7, v6
	v_add_co_ci_u32_e32 v6, vcc_lo, v9, v15, vcc_lo
	v_add_co_ci_u32_e32 v7, vcc_lo, 0, v16, vcc_lo
	s_delay_alu instid0(VALU_DEP_2) | instskip(NEXT) | instid1(VALU_DEP_2)
	v_add_co_u32 v2, vcc_lo, v6, v2
	v_add_co_ci_u32_e32 v6, vcc_lo, 0, v7, vcc_lo
	s_delay_alu instid0(VALU_DEP_2) | instskip(NEXT) | instid1(VALU_DEP_2)
	v_add_co_u32 v0, vcc_lo, v0, v2
	v_add_co_ci_u32_e32 v1, vcc_lo, v1, v6, vcc_lo
	s_delay_alu instid0(VALU_DEP_2) | instskip(SKIP_1) | instid1(VALU_DEP_3)
	v_mul_hi_u32 v2, s0, v0
	v_mul_lo_u32 v7, s11, v0
	v_mul_lo_u32 v6, s0, v1
	s_delay_alu instid0(VALU_DEP_1) | instskip(SKIP_1) | instid1(VALU_DEP_2)
	v_add_nc_u32_e32 v2, v2, v6
	v_mul_lo_u32 v6, s0, v0
	v_add_nc_u32_e32 v2, v2, v7
	s_delay_alu instid0(VALU_DEP_2) | instskip(NEXT) | instid1(VALU_DEP_2)
	v_mul_hi_u32 v7, v0, v6
	v_mul_lo_u32 v9, v0, v2
	v_mul_hi_u32 v14, v0, v2
	v_mul_hi_u32 v15, v1, v6
	v_mul_lo_u32 v6, v1, v6
	v_mul_hi_u32 v16, v1, v2
	v_mul_lo_u32 v2, v1, v2
	v_add_co_u32 v7, vcc_lo, v7, v9
	v_add_co_ci_u32_e32 v9, vcc_lo, 0, v14, vcc_lo
	s_delay_alu instid0(VALU_DEP_2) | instskip(NEXT) | instid1(VALU_DEP_2)
	v_add_co_u32 v6, vcc_lo, v7, v6
	v_add_co_ci_u32_e32 v6, vcc_lo, v9, v15, vcc_lo
	v_add_co_ci_u32_e32 v7, vcc_lo, 0, v16, vcc_lo
	s_delay_alu instid0(VALU_DEP_2) | instskip(NEXT) | instid1(VALU_DEP_2)
	v_add_co_u32 v2, vcc_lo, v6, v2
	v_add_co_ci_u32_e32 v6, vcc_lo, 0, v7, vcc_lo
	s_delay_alu instid0(VALU_DEP_2) | instskip(NEXT) | instid1(VALU_DEP_2)
	v_add_co_u32 v2, vcc_lo, v0, v2
	v_add_co_ci_u32_e32 v9, vcc_lo, v1, v6, vcc_lo
	s_delay_alu instid0(VALU_DEP_2) | instskip(SKIP_1) | instid1(VALU_DEP_3)
	v_mul_hi_u32 v16, v12, v2
	v_mad_u64_u32 v[6:7], null, v13, v2, 0
	v_mad_u64_u32 v[0:1], null, v12, v9, 0
	;; [unrolled: 1-line block ×3, first 2 shown]
	s_delay_alu instid0(VALU_DEP_2) | instskip(NEXT) | instid1(VALU_DEP_3)
	v_add_co_u32 v0, vcc_lo, v16, v0
	v_add_co_ci_u32_e32 v1, vcc_lo, 0, v1, vcc_lo
	s_delay_alu instid0(VALU_DEP_2) | instskip(NEXT) | instid1(VALU_DEP_2)
	v_add_co_u32 v0, vcc_lo, v0, v6
	v_add_co_ci_u32_e32 v0, vcc_lo, v1, v7, vcc_lo
	v_add_co_ci_u32_e32 v1, vcc_lo, 0, v15, vcc_lo
	s_delay_alu instid0(VALU_DEP_2) | instskip(NEXT) | instid1(VALU_DEP_2)
	v_add_co_u32 v2, vcc_lo, v0, v14
	v_add_co_ci_u32_e32 v6, vcc_lo, 0, v1, vcc_lo
	s_delay_alu instid0(VALU_DEP_2) | instskip(SKIP_1) | instid1(VALU_DEP_3)
	v_mul_lo_u32 v7, s13, v2
	v_mad_u64_u32 v[0:1], null, s12, v2, 0
	v_mul_lo_u32 v6, s12, v6
	s_delay_alu instid0(VALU_DEP_2) | instskip(NEXT) | instid1(VALU_DEP_2)
	v_sub_co_u32 v0, vcc_lo, v12, v0
	v_add3_u32 v1, v1, v6, v7
	v_add_co_u32 v7, s0, v2, 2
	s_delay_alu instid0(VALU_DEP_2) | instskip(NEXT) | instid1(VALU_DEP_1)
	v_sub_nc_u32_e32 v6, v13, v1
	v_subrev_co_ci_u32_e64 v6, s0, s13, v6, vcc_lo
	v_sub_co_u32 v9, s0, v0, s12
	v_sub_co_ci_u32_e32 v1, vcc_lo, v13, v1, vcc_lo
	s_delay_alu instid0(VALU_DEP_3) | instskip(NEXT) | instid1(VALU_DEP_3)
	v_subrev_co_ci_u32_e64 v6, s0, 0, v6, s0
	v_cmp_le_u32_e32 vcc_lo, s12, v9
	v_cndmask_b32_e64 v9, 0, -1, vcc_lo
	s_delay_alu instid0(VALU_DEP_3)
	v_cmp_le_u32_e32 vcc_lo, s13, v6
	v_cndmask_b32_e64 v13, 0, -1, vcc_lo
	v_cmp_le_u32_e32 vcc_lo, s12, v0
	v_cndmask_b32_e64 v0, 0, -1, vcc_lo
	;; [unrolled: 2-line block ×3, first 2 shown]
	v_cmp_eq_u32_e32 vcc_lo, s13, v6
	v_cndmask_b32_e32 v6, v13, v9, vcc_lo
	v_add_co_u32 v9, vcc_lo, v2, 1
	v_cmp_eq_u32_e32 vcc_lo, s13, v1
	v_cndmask_b32_e32 v0, v14, v0, vcc_lo
	s_delay_alu instid0(VALU_DEP_4) | instskip(NEXT) | instid1(VALU_DEP_4)
	v_cmp_ne_u32_e32 vcc_lo, 0, v6
	v_cndmask_b32_e32 v1, v9, v7, vcc_lo
	s_delay_alu instid0(VALU_DEP_3) | instskip(NEXT) | instid1(VALU_DEP_2)
	v_cmp_ne_u32_e32 vcc_lo, 0, v0
	v_cndmask_b32_e32 v0, v2, v1, vcc_lo
	s_delay_alu instid0(VALU_DEP_1) | instskip(NEXT) | instid1(VALU_DEP_1)
	v_xor_b32_e32 v0, s10, v0
	v_sub_co_u32 v0, vcc_lo, v0, s10
.LBB16_21:
	s_and_not1_saveexec_b32 s0, s8
	s_cbranch_execz .LBB16_23
; %bb.22:
	v_cvt_f32_u32_e32 v0, s1
	s_sub_i32 s8, 0, s1
	s_delay_alu instid0(VALU_DEP_1) | instskip(SKIP_2) | instid1(VALU_DEP_1)
	v_rcp_iflag_f32_e32 v0, v0
	s_waitcnt_depctr 0xfff
	v_mul_f32_e32 v0, 0x4f7ffffe, v0
	v_cvt_u32_f32_e32 v0, v0
	s_delay_alu instid0(VALU_DEP_1) | instskip(NEXT) | instid1(VALU_DEP_1)
	v_mul_lo_u32 v1, s8, v0
	v_mul_hi_u32 v1, v0, v1
	s_delay_alu instid0(VALU_DEP_1) | instskip(NEXT) | instid1(VALU_DEP_1)
	v_add_nc_u32_e32 v0, v0, v1
	v_mul_hi_u32 v0, v12, v0
	s_delay_alu instid0(VALU_DEP_1) | instskip(SKIP_1) | instid1(VALU_DEP_2)
	v_mul_lo_u32 v1, v0, s1
	v_add_nc_u32_e32 v2, 1, v0
	v_sub_nc_u32_e32 v1, v12, v1
	s_delay_alu instid0(VALU_DEP_1) | instskip(SKIP_1) | instid1(VALU_DEP_2)
	v_subrev_nc_u32_e32 v6, s1, v1
	v_cmp_le_u32_e32 vcc_lo, s1, v1
	v_cndmask_b32_e32 v1, v1, v6, vcc_lo
	v_cndmask_b32_e32 v0, v0, v2, vcc_lo
	s_delay_alu instid0(VALU_DEP_2) | instskip(NEXT) | instid1(VALU_DEP_2)
	v_cmp_le_u32_e32 vcc_lo, s1, v1
	v_add_nc_u32_e32 v2, 1, v0
	s_delay_alu instid0(VALU_DEP_1)
	v_cndmask_b32_e32 v0, v0, v2, vcc_lo
.LBB16_23:
	s_or_b32 exec_lo, exec_lo, s0
	s_delay_alu instid0(VALU_DEP_1) | instskip(NEXT) | instid1(VALU_DEP_1)
	v_mul_lo_u32 v1, v0, s1
	v_sub_nc_u32_e32 v6, v12, v1
	s_delay_alu instid0(VALU_DEP_1) | instskip(NEXT) | instid1(VALU_DEP_1)
	v_mad_u64_u32 v[1:2], null, v6, s9, v[0:1]
	v_ashrrev_i32_e32 v2, 31, v1
	s_delay_alu instid0(VALU_DEP_1) | instskip(SKIP_1) | instid1(VALU_DEP_1)
	v_lshlrev_b64 v[0:1], 2, v[1:2]
	s_waitcnt lgkmcnt(0)
	v_add_co_u32 v0, vcc_lo, s4, v0
	s_delay_alu instid0(VALU_DEP_2)
	v_add_co_ci_u32_e32 v1, vcc_lo, s5, v1, vcc_lo
	global_store_b32 v[0:1], v8, off
.LBB16_24:
	s_or_b32 exec_lo, exec_lo, s16
	v_dual_mov_b32 v1, 0 :: v_dual_and_b32 v0, 15, v3
	s_xor_b32 s0, s15, -1
	s_waitcnt_vscnt null, 0x0
	s_barrier
	buffer_gl0_inv
	v_cmp_ne_u64_e32 vcc_lo, 0, v[0:1]
	s_or_b32 s0, s0, vcc_lo
	s_delay_alu instid0(SALU_CYCLE_1) | instskip(NEXT) | instid1(SALU_CYCLE_1)
	s_and_saveexec_b32 s1, s0
	s_xor_b32 s4, exec_lo, s1
	s_cbranch_execz .LBB16_101
; %bb.25:
	v_sub_nc_u32_e32 v0, 0, v3
	v_add_co_u32 v15, vcc_lo, s2, v4
	v_add_co_ci_u32_e32 v16, vcc_lo, s3, v5, vcc_lo
	s_delay_alu instid0(VALU_DEP_3) | instskip(SKIP_1) | instid1(VALU_DEP_1)
	v_bfe_u32 v0, v0, 1, 3
	s_mov_b32 s0, exec_lo
	v_min_i32_e32 v12, s14, v0
	s_delay_alu instid0(VALU_DEP_1)
	v_cmpx_gt_i32_e64 v12, v10
	s_cbranch_execz .LBB16_33
; %bb.26:
	v_lshl_add_u32 v0, v10, 1, v3
	s_mov_b32 s1, exec_lo
	ds_load_u16 v0, v0
	s_waitcnt lgkmcnt(0)
	v_cvt_f32_f16_e32 v0, v0
	s_delay_alu instid0(VALU_DEP_1) | instskip(SKIP_1) | instid1(VALU_DEP_2)
	v_div_scale_f32 v1, null, v8, v8, v0
	v_div_scale_f32 v6, vcc_lo, v0, v8, v0
	v_rcp_f32_e32 v2, v1
	s_waitcnt_depctr 0xfff
	v_fma_f32 v3, -v1, v2, 1.0
	s_delay_alu instid0(VALU_DEP_1) | instskip(NEXT) | instid1(VALU_DEP_1)
	v_fmac_f32_e32 v2, v3, v2
	v_mul_f32_e32 v3, v6, v2
	s_delay_alu instid0(VALU_DEP_1) | instskip(NEXT) | instid1(VALU_DEP_1)
	v_fma_f32 v7, -v1, v3, v6
	v_fmac_f32_e32 v3, v7, v2
	s_delay_alu instid0(VALU_DEP_1) | instskip(NEXT) | instid1(VALU_DEP_1)
	v_fma_f32 v1, -v1, v3, v6
	v_div_fmas_f32 v1, v1, v2, v3
	v_max_f32_e64 v2, s6, s6
	v_max_f32_e64 v3, s7, s7
	s_delay_alu instid0(VALU_DEP_3) | instskip(SKIP_1) | instid1(VALU_DEP_2)
	v_div_fixup_f32 v0, v1, v8, v0
	v_mov_b32_e32 v1, 0x7f
	v_maxmin_f32 v0, v0, v2, v3
	s_delay_alu instid0(VALU_DEP_1) | instskip(NEXT) | instid1(VALU_DEP_1)
	v_and_b32_e32 v2, 0x7fffffff, v0
	v_cmpx_gt_u32_e32 0x43f00000, v2
	s_cbranch_execz .LBB16_32
; %bb.27:
	s_mov_b32 s5, exec_lo
                                        ; implicit-def: $vgpr1
	v_cmpx_lt_u32_e32 0x3c7fffff, v2
	s_xor_b32 s5, exec_lo, s5
; %bb.28:
	v_bfe_u32 v1, v0, 20, 1
	s_delay_alu instid0(VALU_DEP_1) | instskip(NEXT) | instid1(VALU_DEP_1)
	v_add3_u32 v1, v0, v1, 0x407ffff
	v_lshrrev_b32_e32 v1, 20, v1
; %bb.29:
	s_and_not1_saveexec_b32 s5, s5
; %bb.30:
	v_add_f32_e64 v1, 0x46800000, |v0|
; %bb.31:
	s_or_b32 exec_lo, exec_lo, s5
.LBB16_32:
	s_delay_alu instid0(SALU_CYCLE_1) | instskip(SKIP_3) | instid1(VALU_DEP_3)
	s_or_b32 exec_lo, exec_lo, s1
	v_lshrrev_b32_e32 v0, 24, v0
	v_add_co_u32 v2, vcc_lo, v15, v10
	v_add_co_ci_u32_e32 v3, vcc_lo, 0, v16, vcc_lo
	v_and_or_b32 v0, 0x80, v0, v1
	global_store_b8 v[2:3], v0, off
.LBB16_33:
	s_or_b32 exec_lo, exec_lo, s0
	v_sub_nc_u32_e32 v9, s14, v12
	v_ashrrev_i32_e32 v13, 31, v12
	v_lshlrev_b32_e32 v14, 1, v12
	s_mov_b32 s1, exec_lo
	s_delay_alu instid0(VALU_DEP_3) | instskip(NEXT) | instid1(VALU_DEP_1)
	v_ashrrev_i32_e32 v0, 31, v9
	v_lshrrev_b32_e32 v0, 29, v0
	s_delay_alu instid0(VALU_DEP_1) | instskip(NEXT) | instid1(VALU_DEP_1)
	v_add_nc_u32_e32 v0, v9, v0
	v_ashrrev_i32_e32 v17, 3, v0
	s_delay_alu instid0(VALU_DEP_1)
	v_cmpx_gt_i32_e64 v17, v10
	s_cbranch_execz .LBB16_84
; %bb.34:
	v_dual_mov_b32 v21, v10 :: v_dual_lshlrev_b32 v0, 4, v10
	v_lshlrev_b32_e32 v1, 3, v10
	v_add_co_u32 v2, vcc_lo, v12, v4
	v_add_co_ci_u32_e32 v3, vcc_lo, v13, v5, vcc_lo
	s_delay_alu instid0(VALU_DEP_4) | instskip(SKIP_1) | instid1(VALU_DEP_4)
	v_lshl_add_u32 v0, v11, 1, v0
	v_lshlrev_b32_e32 v6, 1, v12
	v_add_co_u32 v1, vcc_lo, v2, v1
	s_delay_alu instid0(VALU_DEP_4) | instskip(NEXT) | instid1(VALU_DEP_3)
	v_add_co_ci_u32_e32 v2, vcc_lo, 0, v3, vcc_lo
	v_add3_u32 v18, v0, v6, 0
	s_delay_alu instid0(VALU_DEP_3) | instskip(NEXT) | instid1(VALU_DEP_3)
	v_add_co_u32 v6, vcc_lo, s2, v1
	v_add_co_ci_u32_e32 v7, vcc_lo, s3, v2, vcc_lo
	v_max_f32_e64 v19, s6, s6
	v_max_f32_e64 v20, s7, s7
	s_mov_b32 s5, 0
	s_branch .LBB16_37
.LBB16_35:                              ;   in Loop: Header=BB16_37 Depth=1
	s_or_b32 exec_lo, exec_lo, s8
.LBB16_36:                              ;   in Loop: Header=BB16_37 Depth=1
	s_delay_alu instid0(SALU_CYCLE_1)
	s_or_b32 exec_lo, exec_lo, s0
	v_lshrrev_b32_e32 v33, 24, v33
	v_lshrrev_b32_e32 v27, 24, v27
	;; [unrolled: 1-line block ×5, first 2 shown]
	v_and_b32_e32 v33, 0x80, v33
	v_and_b32_e32 v27, 0x80, v27
	v_lshrrev_b32_e32 v30, 24, v30
	v_and_b32_e32 v2, 0x80, v2
	v_lshrrev_b32_e32 v24, 24, v24
	v_and_or_b32 v3, 0x80, v3, v32
	v_and_or_b32 v31, 0xff, v31, v33
	v_and_b32_e32 v0, 0x80, v0
	v_and_or_b32 v26, 0xff, v26, v27
	v_and_b32_e32 v30, 0x80, v30
	v_and_b32_e32 v24, 0x80, v24
	v_lshlrev_b32_e32 v3, 24, v3
	v_lshlrev_b32_e32 v31, 16, v31
	v_and_or_b32 v2, 0xff, v29, v2
	v_lshlrev_b32_e32 v25, 24, v25
	v_and_b32_e32 v1, 0x80000000, v1
	v_and_or_b32 v0, 0xff, v23, v0
	v_lshlrev_b32_e32 v23, 16, v26
	v_or_b32_e32 v3, v3, v31
	v_lshlrev_b32_e32 v2, 8, v2
	v_and_or_b32 v26, 0xff, v28, v30
	v_lshlrev_b32_e32 v0, 8, v0
	v_or3_b32 v23, v25, v1, v23
	v_and_or_b32 v22, 0xff, v22, v24
	v_add_nc_u32_e32 v21, 16, v21
	v_or3_b32 v1, v3, v2, v26
	v_add_nc_u32_e32 v18, 0x100, v18
	s_delay_alu instid0(VALU_DEP_4) | instskip(NEXT) | instid1(VALU_DEP_4)
	v_or3_b32 v0, v23, v0, v22
	v_cmp_ge_i32_e32 vcc_lo, v21, v17
	global_store_b64 v[6:7], v[0:1], off
	v_add_co_u32 v6, s0, 0x80, v6
	s_delay_alu instid0(VALU_DEP_1) | instskip(SKIP_1) | instid1(SALU_CYCLE_1)
	v_add_co_ci_u32_e64 v7, s0, 0, v7, s0
	s_or_b32 s5, vcc_lo, s5
	s_and_not1_b32 exec_lo, exec_lo, s5
	s_cbranch_execz .LBB16_84
.LBB16_37:                              ; =>This Inner Loop Header: Depth=1
	ds_load_b128 v[0:3], v18
	s_mov_b32 s0, exec_lo
	s_waitcnt lgkmcnt(0)
	v_cvt_f32_f16_e32 v22, v0
	s_delay_alu instid0(VALU_DEP_1) | instskip(SKIP_1) | instid1(VALU_DEP_2)
	v_div_scale_f32 v23, null, v8, v8, v22
	v_div_scale_f32 v26, vcc_lo, v22, v8, v22
	v_rcp_f32_e32 v24, v23
	s_waitcnt_depctr 0xfff
	v_fma_f32 v25, -v23, v24, 1.0
	s_delay_alu instid0(VALU_DEP_1) | instskip(NEXT) | instid1(VALU_DEP_1)
	v_fmac_f32_e32 v24, v25, v24
	v_mul_f32_e32 v25, v26, v24
	s_delay_alu instid0(VALU_DEP_1) | instskip(NEXT) | instid1(VALU_DEP_1)
	v_fma_f32 v27, -v23, v25, v26
	v_fmac_f32_e32 v25, v27, v24
	s_delay_alu instid0(VALU_DEP_1) | instskip(NEXT) | instid1(VALU_DEP_1)
	v_fma_f32 v23, -v23, v25, v26
	v_div_fmas_f32 v23, v23, v24, v25
	s_delay_alu instid0(VALU_DEP_1) | instskip(SKIP_1) | instid1(VALU_DEP_2)
	v_div_fixup_f32 v22, v23, v8, v22
	v_mov_b32_e32 v23, 0x7f
	v_maxmin_f32 v24, v22, v19, v20
	v_mov_b32_e32 v22, 0x7f
	s_delay_alu instid0(VALU_DEP_2) | instskip(NEXT) | instid1(VALU_DEP_1)
	v_and_b32_e32 v25, 0x7fffffff, v24
	v_cmpx_gt_u32_e32 0x43f00000, v25
	s_cbranch_execz .LBB16_43
; %bb.38:                               ;   in Loop: Header=BB16_37 Depth=1
	s_mov_b32 s8, exec_lo
                                        ; implicit-def: $vgpr22
	v_cmpx_lt_u32_e32 0x3c7fffff, v25
	s_xor_b32 s8, exec_lo, s8
; %bb.39:                               ;   in Loop: Header=BB16_37 Depth=1
	v_bfe_u32 v22, v24, 20, 1
	s_delay_alu instid0(VALU_DEP_1) | instskip(NEXT) | instid1(VALU_DEP_1)
	v_add3_u32 v22, v24, v22, 0x407ffff
	v_lshrrev_b32_e32 v22, 20, v22
; %bb.40:                               ;   in Loop: Header=BB16_37 Depth=1
	s_and_not1_saveexec_b32 s8, s8
; %bb.41:                               ;   in Loop: Header=BB16_37 Depth=1
	v_add_f32_e64 v22, 0x46800000, |v24|
; %bb.42:                               ;   in Loop: Header=BB16_37 Depth=1
	s_or_b32 exec_lo, exec_lo, s8
.LBB16_43:                              ;   in Loop: Header=BB16_37 Depth=1
	s_delay_alu instid0(SALU_CYCLE_1) | instskip(SKIP_2) | instid1(VALU_DEP_1)
	s_or_b32 exec_lo, exec_lo, s0
	v_lshrrev_b32_e32 v0, 16, v0
	s_mov_b32 s0, exec_lo
	v_cvt_f32_f16_e32 v0, v0
	s_delay_alu instid0(VALU_DEP_1) | instskip(NEXT) | instid1(VALU_DEP_1)
	v_div_scale_f32 v25, null, v8, v8, v0
	v_rcp_f32_e32 v26, v25
	s_waitcnt_depctr 0xfff
	v_fma_f32 v27, -v25, v26, 1.0
	s_delay_alu instid0(VALU_DEP_1) | instskip(SKIP_1) | instid1(VALU_DEP_1)
	v_fmac_f32_e32 v26, v27, v26
	v_div_scale_f32 v27, vcc_lo, v0, v8, v0
	v_mul_f32_e32 v28, v27, v26
	s_delay_alu instid0(VALU_DEP_1) | instskip(NEXT) | instid1(VALU_DEP_1)
	v_fma_f32 v29, -v25, v28, v27
	v_fmac_f32_e32 v28, v29, v26
	s_delay_alu instid0(VALU_DEP_1) | instskip(NEXT) | instid1(VALU_DEP_1)
	v_fma_f32 v25, -v25, v28, v27
	v_div_fmas_f32 v25, v25, v26, v28
	s_delay_alu instid0(VALU_DEP_1) | instskip(NEXT) | instid1(VALU_DEP_1)
	v_div_fixup_f32 v0, v25, v8, v0
	v_maxmin_f32 v0, v0, v19, v20
	s_delay_alu instid0(VALU_DEP_1) | instskip(NEXT) | instid1(VALU_DEP_1)
	v_and_b32_e32 v25, 0x7fffffff, v0
	v_cmpx_gt_u32_e32 0x43f00000, v25
	s_cbranch_execz .LBB16_49
; %bb.44:                               ;   in Loop: Header=BB16_37 Depth=1
	s_mov_b32 s8, exec_lo
                                        ; implicit-def: $vgpr23
	v_cmpx_lt_u32_e32 0x3c7fffff, v25
	s_xor_b32 s8, exec_lo, s8
; %bb.45:                               ;   in Loop: Header=BB16_37 Depth=1
	v_bfe_u32 v23, v0, 20, 1
	s_delay_alu instid0(VALU_DEP_1) | instskip(NEXT) | instid1(VALU_DEP_1)
	v_add3_u32 v23, v0, v23, 0x407ffff
	v_lshrrev_b32_e32 v23, 20, v23
; %bb.46:                               ;   in Loop: Header=BB16_37 Depth=1
	s_and_not1_saveexec_b32 s8, s8
; %bb.47:                               ;   in Loop: Header=BB16_37 Depth=1
	v_add_f32_e64 v23, 0x46800000, |v0|
; %bb.48:                               ;   in Loop: Header=BB16_37 Depth=1
	s_or_b32 exec_lo, exec_lo, s8
.LBB16_49:                              ;   in Loop: Header=BB16_37 Depth=1
	s_delay_alu instid0(SALU_CYCLE_1) | instskip(SKIP_2) | instid1(VALU_DEP_1)
	s_or_b32 exec_lo, exec_lo, s0
	v_cvt_f32_f16_e32 v25, v1
	s_mov_b32 s0, exec_lo
	v_div_scale_f32 v26, null, v8, v8, v25
	v_div_scale_f32 v29, vcc_lo, v25, v8, v25
	s_delay_alu instid0(VALU_DEP_2) | instskip(SKIP_2) | instid1(VALU_DEP_1)
	v_rcp_f32_e32 v27, v26
	s_waitcnt_depctr 0xfff
	v_fma_f32 v28, -v26, v27, 1.0
	v_fmac_f32_e32 v27, v28, v27
	s_delay_alu instid0(VALU_DEP_1) | instskip(NEXT) | instid1(VALU_DEP_1)
	v_mul_f32_e32 v28, v29, v27
	v_fma_f32 v30, -v26, v28, v29
	s_delay_alu instid0(VALU_DEP_1) | instskip(NEXT) | instid1(VALU_DEP_1)
	v_fmac_f32_e32 v28, v30, v27
	v_fma_f32 v26, -v26, v28, v29
	s_delay_alu instid0(VALU_DEP_1) | instskip(NEXT) | instid1(VALU_DEP_1)
	v_div_fmas_f32 v26, v26, v27, v28
	v_div_fixup_f32 v25, v26, v8, v25
	v_mov_b32_e32 v26, 0x7f
	s_delay_alu instid0(VALU_DEP_2) | instskip(SKIP_1) | instid1(VALU_DEP_2)
	v_maxmin_f32 v27, v25, v19, v20
	v_mov_b32_e32 v25, 0x7f
	v_and_b32_e32 v28, 0x7fffffff, v27
	s_delay_alu instid0(VALU_DEP_1)
	v_cmpx_gt_u32_e32 0x43f00000, v28
	s_cbranch_execz .LBB16_55
; %bb.50:                               ;   in Loop: Header=BB16_37 Depth=1
	s_mov_b32 s8, exec_lo
                                        ; implicit-def: $vgpr26
	v_cmpx_lt_u32_e32 0x3c7fffff, v28
	s_xor_b32 s8, exec_lo, s8
; %bb.51:                               ;   in Loop: Header=BB16_37 Depth=1
	v_bfe_u32 v26, v27, 20, 1
	s_delay_alu instid0(VALU_DEP_1) | instskip(NEXT) | instid1(VALU_DEP_1)
	v_add3_u32 v26, v27, v26, 0x407ffff
	v_lshrrev_b32_e32 v26, 20, v26
; %bb.52:                               ;   in Loop: Header=BB16_37 Depth=1
	s_and_not1_saveexec_b32 s8, s8
; %bb.53:                               ;   in Loop: Header=BB16_37 Depth=1
	v_add_f32_e64 v26, 0x46800000, |v27|
; %bb.54:                               ;   in Loop: Header=BB16_37 Depth=1
	s_or_b32 exec_lo, exec_lo, s8
.LBB16_55:                              ;   in Loop: Header=BB16_37 Depth=1
	s_delay_alu instid0(SALU_CYCLE_1) | instskip(SKIP_2) | instid1(VALU_DEP_1)
	s_or_b32 exec_lo, exec_lo, s0
	v_lshrrev_b32_e32 v1, 16, v1
	s_mov_b32 s0, exec_lo
	v_cvt_f32_f16_e32 v1, v1
	s_delay_alu instid0(VALU_DEP_1) | instskip(NEXT) | instid1(VALU_DEP_1)
	v_div_scale_f32 v28, null, v8, v8, v1
	v_rcp_f32_e32 v29, v28
	s_waitcnt_depctr 0xfff
	v_fma_f32 v30, -v28, v29, 1.0
	s_delay_alu instid0(VALU_DEP_1) | instskip(SKIP_1) | instid1(VALU_DEP_1)
	v_fmac_f32_e32 v29, v30, v29
	v_div_scale_f32 v30, vcc_lo, v1, v8, v1
	v_mul_f32_e32 v31, v30, v29
	s_delay_alu instid0(VALU_DEP_1) | instskip(NEXT) | instid1(VALU_DEP_1)
	v_fma_f32 v32, -v28, v31, v30
	v_fmac_f32_e32 v31, v32, v29
	s_delay_alu instid0(VALU_DEP_1) | instskip(NEXT) | instid1(VALU_DEP_1)
	v_fma_f32 v28, -v28, v31, v30
	v_div_fmas_f32 v28, v28, v29, v31
	s_delay_alu instid0(VALU_DEP_1) | instskip(NEXT) | instid1(VALU_DEP_1)
	v_div_fixup_f32 v1, v28, v8, v1
	v_maxmin_f32 v1, v1, v19, v20
	s_delay_alu instid0(VALU_DEP_1) | instskip(NEXT) | instid1(VALU_DEP_1)
	v_and_b32_e32 v28, 0x7fffffff, v1
	v_cmpx_gt_u32_e32 0x43f00000, v28
	s_cbranch_execz .LBB16_61
; %bb.56:                               ;   in Loop: Header=BB16_37 Depth=1
	s_mov_b32 s8, exec_lo
                                        ; implicit-def: $vgpr25
	v_cmpx_lt_u32_e32 0x3c7fffff, v28
	s_xor_b32 s8, exec_lo, s8
; %bb.57:                               ;   in Loop: Header=BB16_37 Depth=1
	v_bfe_u32 v25, v1, 20, 1
	s_delay_alu instid0(VALU_DEP_1) | instskip(NEXT) | instid1(VALU_DEP_1)
	v_add3_u32 v25, v1, v25, 0x407ffff
	v_lshrrev_b32_e32 v25, 20, v25
; %bb.58:                               ;   in Loop: Header=BB16_37 Depth=1
	s_and_not1_saveexec_b32 s8, s8
; %bb.59:                               ;   in Loop: Header=BB16_37 Depth=1
	v_add_f32_e64 v25, 0x46800000, |v1|
; %bb.60:                               ;   in Loop: Header=BB16_37 Depth=1
	s_or_b32 exec_lo, exec_lo, s8
.LBB16_61:                              ;   in Loop: Header=BB16_37 Depth=1
	s_delay_alu instid0(SALU_CYCLE_1) | instskip(SKIP_2) | instid1(VALU_DEP_1)
	s_or_b32 exec_lo, exec_lo, s0
	v_cvt_f32_f16_e32 v28, v2
	s_mov_b32 s0, exec_lo
	v_div_scale_f32 v29, null, v8, v8, v28
	v_div_scale_f32 v32, vcc_lo, v28, v8, v28
	s_delay_alu instid0(VALU_DEP_2) | instskip(SKIP_2) | instid1(VALU_DEP_1)
	v_rcp_f32_e32 v30, v29
	s_waitcnt_depctr 0xfff
	v_fma_f32 v31, -v29, v30, 1.0
	v_fmac_f32_e32 v30, v31, v30
	s_delay_alu instid0(VALU_DEP_1) | instskip(NEXT) | instid1(VALU_DEP_1)
	v_mul_f32_e32 v31, v32, v30
	v_fma_f32 v33, -v29, v31, v32
	s_delay_alu instid0(VALU_DEP_1) | instskip(NEXT) | instid1(VALU_DEP_1)
	v_fmac_f32_e32 v31, v33, v30
	v_fma_f32 v29, -v29, v31, v32
	s_delay_alu instid0(VALU_DEP_1) | instskip(NEXT) | instid1(VALU_DEP_1)
	v_div_fmas_f32 v29, v29, v30, v31
	v_div_fixup_f32 v28, v29, v8, v28
	v_mov_b32_e32 v29, 0x7f
	s_delay_alu instid0(VALU_DEP_2) | instskip(SKIP_1) | instid1(VALU_DEP_2)
	v_maxmin_f32 v30, v28, v19, v20
	v_mov_b32_e32 v28, 0x7f
	v_and_b32_e32 v31, 0x7fffffff, v30
	s_delay_alu instid0(VALU_DEP_1)
	v_cmpx_gt_u32_e32 0x43f00000, v31
	s_cbranch_execz .LBB16_67
; %bb.62:                               ;   in Loop: Header=BB16_37 Depth=1
	s_mov_b32 s8, exec_lo
                                        ; implicit-def: $vgpr28
	v_cmpx_lt_u32_e32 0x3c7fffff, v31
	s_xor_b32 s8, exec_lo, s8
; %bb.63:                               ;   in Loop: Header=BB16_37 Depth=1
	v_bfe_u32 v28, v30, 20, 1
	s_delay_alu instid0(VALU_DEP_1) | instskip(NEXT) | instid1(VALU_DEP_1)
	v_add3_u32 v28, v30, v28, 0x407ffff
	v_lshrrev_b32_e32 v28, 20, v28
; %bb.64:                               ;   in Loop: Header=BB16_37 Depth=1
	s_and_not1_saveexec_b32 s8, s8
; %bb.65:                               ;   in Loop: Header=BB16_37 Depth=1
	v_add_f32_e64 v28, 0x46800000, |v30|
; %bb.66:                               ;   in Loop: Header=BB16_37 Depth=1
	s_or_b32 exec_lo, exec_lo, s8
.LBB16_67:                              ;   in Loop: Header=BB16_37 Depth=1
	s_delay_alu instid0(SALU_CYCLE_1) | instskip(SKIP_2) | instid1(VALU_DEP_1)
	s_or_b32 exec_lo, exec_lo, s0
	v_lshrrev_b32_e32 v2, 16, v2
	s_mov_b32 s0, exec_lo
	v_cvt_f32_f16_e32 v2, v2
	s_delay_alu instid0(VALU_DEP_1) | instskip(NEXT) | instid1(VALU_DEP_1)
	v_div_scale_f32 v31, null, v8, v8, v2
	v_rcp_f32_e32 v32, v31
	s_waitcnt_depctr 0xfff
	v_fma_f32 v33, -v31, v32, 1.0
	s_delay_alu instid0(VALU_DEP_1) | instskip(SKIP_1) | instid1(VALU_DEP_1)
	v_fmac_f32_e32 v32, v33, v32
	v_div_scale_f32 v33, vcc_lo, v2, v8, v2
	v_mul_f32_e32 v34, v33, v32
	s_delay_alu instid0(VALU_DEP_1) | instskip(NEXT) | instid1(VALU_DEP_1)
	v_fma_f32 v35, -v31, v34, v33
	v_fmac_f32_e32 v34, v35, v32
	s_delay_alu instid0(VALU_DEP_1) | instskip(NEXT) | instid1(VALU_DEP_1)
	v_fma_f32 v31, -v31, v34, v33
	v_div_fmas_f32 v31, v31, v32, v34
	s_delay_alu instid0(VALU_DEP_1) | instskip(NEXT) | instid1(VALU_DEP_1)
	v_div_fixup_f32 v2, v31, v8, v2
	v_maxmin_f32 v2, v2, v19, v20
	s_delay_alu instid0(VALU_DEP_1) | instskip(NEXT) | instid1(VALU_DEP_1)
	v_and_b32_e32 v31, 0x7fffffff, v2
	v_cmpx_gt_u32_e32 0x43f00000, v31
	s_cbranch_execz .LBB16_73
; %bb.68:                               ;   in Loop: Header=BB16_37 Depth=1
	s_mov_b32 s8, exec_lo
                                        ; implicit-def: $vgpr29
	v_cmpx_lt_u32_e32 0x3c7fffff, v31
	s_xor_b32 s8, exec_lo, s8
; %bb.69:                               ;   in Loop: Header=BB16_37 Depth=1
	v_bfe_u32 v29, v2, 20, 1
	s_delay_alu instid0(VALU_DEP_1) | instskip(NEXT) | instid1(VALU_DEP_1)
	v_add3_u32 v29, v2, v29, 0x407ffff
	v_lshrrev_b32_e32 v29, 20, v29
; %bb.70:                               ;   in Loop: Header=BB16_37 Depth=1
	s_and_not1_saveexec_b32 s8, s8
; %bb.71:                               ;   in Loop: Header=BB16_37 Depth=1
	v_add_f32_e64 v29, 0x46800000, |v2|
; %bb.72:                               ;   in Loop: Header=BB16_37 Depth=1
	s_or_b32 exec_lo, exec_lo, s8
.LBB16_73:                              ;   in Loop: Header=BB16_37 Depth=1
	s_delay_alu instid0(SALU_CYCLE_1) | instskip(SKIP_2) | instid1(VALU_DEP_1)
	s_or_b32 exec_lo, exec_lo, s0
	v_cvt_f32_f16_e32 v31, v3
	s_mov_b32 s0, exec_lo
	v_div_scale_f32 v32, null, v8, v8, v31
	v_div_scale_f32 v35, vcc_lo, v31, v8, v31
	s_delay_alu instid0(VALU_DEP_2) | instskip(SKIP_2) | instid1(VALU_DEP_1)
	v_rcp_f32_e32 v33, v32
	s_waitcnt_depctr 0xfff
	v_fma_f32 v34, -v32, v33, 1.0
	v_fmac_f32_e32 v33, v34, v33
	s_delay_alu instid0(VALU_DEP_1) | instskip(NEXT) | instid1(VALU_DEP_1)
	v_mul_f32_e32 v34, v35, v33
	v_fma_f32 v36, -v32, v34, v35
	s_delay_alu instid0(VALU_DEP_1) | instskip(NEXT) | instid1(VALU_DEP_1)
	v_fmac_f32_e32 v34, v36, v33
	v_fma_f32 v32, -v32, v34, v35
	s_delay_alu instid0(VALU_DEP_1) | instskip(NEXT) | instid1(VALU_DEP_1)
	v_div_fmas_f32 v32, v32, v33, v34
	v_div_fixup_f32 v31, v32, v8, v31
	v_mov_b32_e32 v32, 0x7f
	s_delay_alu instid0(VALU_DEP_2) | instskip(SKIP_1) | instid1(VALU_DEP_2)
	v_maxmin_f32 v33, v31, v19, v20
	v_mov_b32_e32 v31, 0x7f
	v_and_b32_e32 v34, 0x7fffffff, v33
	s_delay_alu instid0(VALU_DEP_1)
	v_cmpx_gt_u32_e32 0x43f00000, v34
	s_cbranch_execz .LBB16_79
; %bb.74:                               ;   in Loop: Header=BB16_37 Depth=1
	s_mov_b32 s8, exec_lo
                                        ; implicit-def: $vgpr31
	v_cmpx_lt_u32_e32 0x3c7fffff, v34
	s_xor_b32 s8, exec_lo, s8
; %bb.75:                               ;   in Loop: Header=BB16_37 Depth=1
	v_bfe_u32 v31, v33, 20, 1
	s_delay_alu instid0(VALU_DEP_1) | instskip(NEXT) | instid1(VALU_DEP_1)
	v_add3_u32 v31, v33, v31, 0x407ffff
	v_lshrrev_b32_e32 v31, 20, v31
; %bb.76:                               ;   in Loop: Header=BB16_37 Depth=1
	s_and_not1_saveexec_b32 s8, s8
; %bb.77:                               ;   in Loop: Header=BB16_37 Depth=1
	v_add_f32_e64 v31, 0x46800000, |v33|
; %bb.78:                               ;   in Loop: Header=BB16_37 Depth=1
	s_or_b32 exec_lo, exec_lo, s8
.LBB16_79:                              ;   in Loop: Header=BB16_37 Depth=1
	s_delay_alu instid0(SALU_CYCLE_1) | instskip(SKIP_2) | instid1(VALU_DEP_1)
	s_or_b32 exec_lo, exec_lo, s0
	v_lshrrev_b32_e32 v3, 16, v3
	s_mov_b32 s0, exec_lo
	v_cvt_f32_f16_e32 v3, v3
	s_delay_alu instid0(VALU_DEP_1) | instskip(NEXT) | instid1(VALU_DEP_1)
	v_div_scale_f32 v34, null, v8, v8, v3
	v_rcp_f32_e32 v35, v34
	s_waitcnt_depctr 0xfff
	v_fma_f32 v36, -v34, v35, 1.0
	s_delay_alu instid0(VALU_DEP_1) | instskip(SKIP_1) | instid1(VALU_DEP_1)
	v_fmac_f32_e32 v35, v36, v35
	v_div_scale_f32 v36, vcc_lo, v3, v8, v3
	v_mul_f32_e32 v37, v36, v35
	s_delay_alu instid0(VALU_DEP_1) | instskip(NEXT) | instid1(VALU_DEP_1)
	v_fma_f32 v38, -v34, v37, v36
	v_fmac_f32_e32 v37, v38, v35
	s_delay_alu instid0(VALU_DEP_1) | instskip(NEXT) | instid1(VALU_DEP_1)
	v_fma_f32 v34, -v34, v37, v36
	v_div_fmas_f32 v34, v34, v35, v37
	s_delay_alu instid0(VALU_DEP_1) | instskip(NEXT) | instid1(VALU_DEP_1)
	v_div_fixup_f32 v3, v34, v8, v3
	v_maxmin_f32 v3, v3, v19, v20
	s_delay_alu instid0(VALU_DEP_1) | instskip(NEXT) | instid1(VALU_DEP_1)
	v_and_b32_e32 v34, 0x7fffffff, v3
	v_cmpx_gt_u32_e32 0x43f00000, v34
	s_cbranch_execz .LBB16_36
; %bb.80:                               ;   in Loop: Header=BB16_37 Depth=1
	s_mov_b32 s8, exec_lo
                                        ; implicit-def: $vgpr32
	v_cmpx_lt_u32_e32 0x3c7fffff, v34
	s_xor_b32 s8, exec_lo, s8
; %bb.81:                               ;   in Loop: Header=BB16_37 Depth=1
	v_bfe_u32 v32, v3, 20, 1
	s_delay_alu instid0(VALU_DEP_1) | instskip(NEXT) | instid1(VALU_DEP_1)
	v_add3_u32 v32, v3, v32, 0x407ffff
	v_lshrrev_b32_e32 v32, 20, v32
; %bb.82:                               ;   in Loop: Header=BB16_37 Depth=1
	s_and_not1_saveexec_b32 s8, s8
	s_cbranch_execz .LBB16_35
; %bb.83:                               ;   in Loop: Header=BB16_37 Depth=1
	v_add_f32_e64 v32, 0x46800000, |v3|
	s_branch .LBB16_35
.LBB16_84:
	s_or_b32 exec_lo, exec_lo, s1
	v_lshlrev_b32_e32 v2, 3, v17
	s_mov_b32 s5, exec_lo
	s_delay_alu instid0(VALU_DEP_1) | instskip(NEXT) | instid1(VALU_DEP_1)
	v_add_nc_u32_e32 v0, v2, v10
	v_cmpx_lt_i32_e64 v0, v9
	s_cbranch_execz .LBB16_100
; %bb.85:
	v_add_nc_u32_e32 v1, 16, v0
	s_mov_b32 s0, 0
	s_mov_b32 s1, exec_lo
	s_delay_alu instid0(VALU_DEP_1) | instskip(NEXT) | instid1(VALU_DEP_1)
	v_max_i32_e32 v3, v1, v9
	v_xad_u32 v3, v10, -1, v3
	s_delay_alu instid0(VALU_DEP_1) | instskip(NEXT) | instid1(VALU_DEP_1)
	v_sub_nc_u32_e32 v2, v3, v2
                                        ; implicit-def: $vgpr3
	v_cmpx_lt_u32_e32 15, v2
	s_xor_b32 s8, exec_lo, s1
	s_cbranch_execnz .LBB16_88
; %bb.86:
	s_and_not1_saveexec_b32 s1, s8
	s_cbranch_execnz .LBB16_91
.LBB16_87:
	s_or_b32 exec_lo, exec_lo, s1
	s_delay_alu instid0(SALU_CYCLE_1)
	s_and_b32 exec_lo, exec_lo, s0
	s_cbranch_execnz .LBB16_92
	s_branch .LBB16_100
.LBB16_88:
	v_lshrrev_b32_e32 v2, 4, v2
	v_lshlrev_b32_e32 v3, 1, v11
	v_lshlrev_b32_e32 v17, 4, v17
	v_add_co_u32 v11, vcc_lo, v15, v12
	s_delay_alu instid0(VALU_DEP_4) | instskip(SKIP_3) | instid1(VALU_DEP_4)
	v_add_nc_u32_e32 v6, 1, v2
	v_add_co_ci_u32_e32 v15, vcc_lo, v16, v13, vcc_lo
	v_mov_b32_e32 v16, v8
	v_lshlrev_b32_e32 v10, 1, v10
	v_and_b32_e32 v7, 0x1ffffffe, v6
	v_lshlrev_b32_e32 v14, 1, v12
	s_mov_b32 s0, s6
	s_mov_b32 s1, s6
	;; [unrolled: 1-line block ×3, first 2 shown]
	v_mov_b32_e32 v21, v7
	v_add3_u32 v2, v3, v17, v14
	s_mov_b32 s10, s7
	v_max_f32_e64 v17, s0, s0
	v_max_f32_e64 v18, s1, s1
	;; [unrolled: 1-line block ×3, first 2 shown]
	v_add3_u32 v10, v2, v10, 0
	v_mov_b32_e32 v2, v1
	v_max_f32_e64 v20, s9, s9
	v_mov_b32_e32 v1, v0
	s_mov_b32 s9, 0
.LBB16_89:                              ; =>This Inner Loop Header: Depth=1
	ds_load_u16 v22, v10
	ds_load_u16 v23, v10 offset:32
	v_ashrrev_i32_e32 v25, 31, v2
	v_ashrrev_i32_e32 v26, 31, v1
	v_add_nc_u32_e32 v10, 64, v10
	v_add_nc_u32_e32 v21, -2, v21
	s_waitcnt lgkmcnt(1)
	v_cvt_f32_f16_e32 v27, v22
	s_waitcnt lgkmcnt(0)
	v_cvt_f32_f16_e32 v23, v23
	s_delay_alu instid0(VALU_DEP_2) | instskip(NEXT) | instid1(VALU_DEP_2)
	v_div_scale_f32 v22, null, v8, v8, v27
	v_div_scale_f32 v28, null, v16, v16, v23
	v_div_scale_f32 v31, vcc_lo, v27, v8, v27
	s_delay_alu instid0(VALU_DEP_3) | instskip(NEXT) | instid1(VALU_DEP_2)
	v_rcp_f32_e32 v29, v22
	v_rcp_f32_e32 v30, v28
	v_div_scale_f32 v32, s0, v23, v16, v23
	s_waitcnt_depctr 0xfff
	v_fma_f32 v33, -v22, v29, 1.0
	v_mov_b32_e32 v24, v2
	v_fma_f32 v34, -v28, v30, 1.0
	s_delay_alu instid0(VALU_DEP_3) | instskip(NEXT) | instid1(VALU_DEP_1)
	v_dual_fmac_f32 v29, v33, v29 :: v_dual_add_nc_u32 v2, 32, v2
	v_mul_f32_e32 v33, v31, v29
	s_delay_alu instid0(VALU_DEP_1) | instskip(NEXT) | instid1(VALU_DEP_1)
	v_fma_f32 v35, -v22, v33, v31
	v_dual_fmac_f32 v30, v34, v30 :: v_dual_fmac_f32 v33, v35, v29
	s_delay_alu instid0(VALU_DEP_1) | instskip(NEXT) | instid1(VALU_DEP_2)
	v_mul_f32_e32 v34, v32, v30
	v_fma_f32 v22, -v22, v33, v31
	s_delay_alu instid0(VALU_DEP_2) | instskip(NEXT) | instid1(VALU_DEP_2)
	v_fma_f32 v36, -v28, v34, v32
	v_div_fmas_f32 v29, v22, v29, v33
	s_delay_alu instid0(VALU_DEP_2) | instskip(SKIP_1) | instid1(VALU_DEP_2)
	v_fmac_f32_e32 v34, v36, v30
	s_mov_b32 vcc_lo, s0
	v_div_fixup_f32 v27, v29, v8, v27
	s_delay_alu instid0(VALU_DEP_2) | instskip(NEXT) | instid1(VALU_DEP_2)
	v_fma_f32 v28, -v28, v34, v32
	v_maxmin_f32 v27, v27, v17, v20
	s_delay_alu instid0(VALU_DEP_2) | instskip(SKIP_2) | instid1(VALU_DEP_4)
	v_div_fmas_f32 v28, v28, v30, v34
	v_add_co_u32 v22, vcc_lo, v11, v1
	v_add_nc_u32_e32 v1, 32, v1
	v_and_b32_e32 v30, 0x7fffffff, v27
	s_delay_alu instid0(VALU_DEP_4) | instskip(SKIP_1) | instid1(VALU_DEP_3)
	v_div_fixup_f32 v23, v28, v16, v23
	v_add_f32_e64 v31, 0x46800000, |v27|
	v_add_nc_u32_e32 v34, 0xc3800000, v30
	s_delay_alu instid0(VALU_DEP_3) | instskip(SKIP_2) | instid1(VALU_DEP_4)
	v_maxmin_f32 v28, v23, v18, v19
	v_add_co_ci_u32_e32 v23, vcc_lo, v15, v26, vcc_lo
	v_bfe_u32 v26, v27, 20, 1
	v_cmp_gt_u32_e64 s0, 0x7700000, v34
	s_delay_alu instid0(VALU_DEP_4)
	v_bfe_u32 v29, v28, 20, 1
	v_and_b32_e32 v32, 0x7fffffff, v28
	v_add_f32_e64 v33, 0x46800000, |v28|
	v_add3_u32 v26, v27, v26, 0x407ffff
	v_add_co_u32 v24, vcc_lo, v11, v24
	v_add3_u32 v29, v28, v29, 0x407ffff
	v_add_nc_u32_e32 v35, 0xc3800000, v32
	s_delay_alu instid0(VALU_DEP_4)
	v_lshrrev_b32_e32 v26, 20, v26
	v_lshrrev_b32_e32 v27, 24, v27
	;; [unrolled: 1-line block ×4, first 2 shown]
	v_cmp_gt_u32_e64 s1, 0x7700000, v35
	v_cndmask_b32_e64 v26, v31, v26, s0
	v_cmp_gt_u32_e64 s0, 0x43f00000, v30
	v_add_co_ci_u32_e32 v25, vcc_lo, v15, v25, vcc_lo
	s_delay_alu instid0(VALU_DEP_4) | instskip(SKIP_1) | instid1(VALU_DEP_4)
	v_cndmask_b32_e64 v29, v33, v29, s1
	v_cmp_gt_u32_e64 s1, 0x43f00000, v32
	v_cndmask_b32_e64 v26, 0x7f, v26, s0
	v_cmp_eq_u32_e32 vcc_lo, 0, v21
	s_delay_alu instid0(VALU_DEP_3) | instskip(NEXT) | instid1(VALU_DEP_3)
	v_cndmask_b32_e64 v29, 0x7f, v29, s1
	v_and_or_b32 v26, 0x80, v27, v26
	s_or_b32 s9, vcc_lo, s9
	s_delay_alu instid0(VALU_DEP_2)
	v_and_or_b32 v27, 0x80, v28, v29
	s_clause 0x1
	global_store_b8 v[22:23], v26, off
	global_store_b8 v[24:25], v27, off
	s_and_not1_b32 exec_lo, exec_lo, s9
	s_cbranch_execnz .LBB16_89
; %bb.90:
	s_or_b32 exec_lo, exec_lo, s9
	v_cmp_ne_u32_e32 vcc_lo, v6, v7
	v_lshl_add_u32 v0, v7, 4, v0
                                        ; implicit-def: $vgpr11
	s_and_b32 s0, vcc_lo, exec_lo
	s_and_not1_saveexec_b32 s1, s8
	s_cbranch_execz .LBB16_87
.LBB16_91:
	v_lshlrev_b32_e32 v3, 1, v11
	s_or_b32 s0, s0, exec_lo
	s_or_b32 exec_lo, exec_lo, s1
	s_delay_alu instid0(SALU_CYCLE_1)
	s_and_b32 exec_lo, exec_lo, s0
	s_cbranch_execz .LBB16_100
.LBB16_92:
	v_add_co_u32 v1, vcc_lo, v12, v4
	v_add_co_ci_u32_e32 v2, vcc_lo, v13, v5, vcc_lo
	v_ashrrev_i32_e32 v4, 31, v0
	s_delay_alu instid0(VALU_DEP_3) | instskip(SKIP_2) | instid1(VALU_DEP_4)
	v_add_co_u32 v1, vcc_lo, v1, v0
	v_lshl_add_u32 v3, v0, 1, v3
	v_max_f32_e64 v5, s7, s7
	v_add_co_ci_u32_e32 v2, vcc_lo, v2, v4, vcc_lo
	s_delay_alu instid0(VALU_DEP_4) | instskip(NEXT) | instid1(VALU_DEP_4)
	v_add_co_u32 v1, vcc_lo, s2, v1
	v_add3_u32 v3, v3, v14, 0
	s_delay_alu instid0(VALU_DEP_3)
	v_add_co_ci_u32_e32 v2, vcc_lo, s3, v2, vcc_lo
	v_max_f32_e64 v4, s6, s6
	s_mov_b32 s1, 0
	s_branch .LBB16_95
.LBB16_93:                              ;   in Loop: Header=BB16_95 Depth=1
	s_or_b32 exec_lo, exec_lo, s8
.LBB16_94:                              ;   in Loop: Header=BB16_95 Depth=1
	s_delay_alu instid0(SALU_CYCLE_1) | instskip(SKIP_3) | instid1(VALU_DEP_3)
	s_or_b32 exec_lo, exec_lo, s0
	v_lshrrev_b32_e32 v6, 24, v6
	v_add_nc_u32_e32 v0, 16, v0
	v_add_nc_u32_e32 v3, 32, v3
	v_and_or_b32 v6, 0x80, v6, v7
	s_delay_alu instid0(VALU_DEP_3) | instskip(SKIP_2) | instid1(VALU_DEP_1)
	v_cmp_ge_i32_e32 vcc_lo, v0, v9
	global_store_b8 v[1:2], v6, off
	v_add_co_u32 v1, s0, v1, 16
	v_add_co_ci_u32_e64 v2, s0, 0, v2, s0
	s_or_b32 s1, vcc_lo, s1
	s_delay_alu instid0(SALU_CYCLE_1)
	s_and_not1_b32 exec_lo, exec_lo, s1
	s_cbranch_execz .LBB16_100
.LBB16_95:                              ; =>This Inner Loop Header: Depth=1
	ds_load_u16 v6, v3
	s_mov_b32 s0, exec_lo
	s_waitcnt lgkmcnt(0)
	v_cvt_f32_f16_e32 v6, v6
	s_delay_alu instid0(VALU_DEP_1) | instskip(SKIP_1) | instid1(VALU_DEP_2)
	v_div_scale_f32 v7, null, v8, v8, v6
	v_div_scale_f32 v12, vcc_lo, v6, v8, v6
	v_rcp_f32_e32 v10, v7
	s_waitcnt_depctr 0xfff
	v_fma_f32 v11, -v7, v10, 1.0
	s_delay_alu instid0(VALU_DEP_1) | instskip(NEXT) | instid1(VALU_DEP_1)
	v_fmac_f32_e32 v10, v11, v10
	v_mul_f32_e32 v11, v12, v10
	s_delay_alu instid0(VALU_DEP_1) | instskip(NEXT) | instid1(VALU_DEP_1)
	v_fma_f32 v13, -v7, v11, v12
	v_fmac_f32_e32 v11, v13, v10
	s_delay_alu instid0(VALU_DEP_1) | instskip(NEXT) | instid1(VALU_DEP_1)
	v_fma_f32 v7, -v7, v11, v12
	v_div_fmas_f32 v7, v7, v10, v11
	s_delay_alu instid0(VALU_DEP_1) | instskip(SKIP_1) | instid1(VALU_DEP_2)
	v_div_fixup_f32 v6, v7, v8, v6
	v_mov_b32_e32 v7, 0x7f
	v_maxmin_f32 v6, v6, v4, v5
	s_delay_alu instid0(VALU_DEP_1) | instskip(NEXT) | instid1(VALU_DEP_1)
	v_and_b32_e32 v10, 0x7fffffff, v6
	v_cmpx_gt_u32_e32 0x43f00000, v10
	s_cbranch_execz .LBB16_94
; %bb.96:                               ;   in Loop: Header=BB16_95 Depth=1
	s_mov_b32 s8, exec_lo
                                        ; implicit-def: $vgpr7
	v_cmpx_lt_u32_e32 0x3c7fffff, v10
	s_xor_b32 s8, exec_lo, s8
; %bb.97:                               ;   in Loop: Header=BB16_95 Depth=1
	v_bfe_u32 v7, v6, 20, 1
	s_delay_alu instid0(VALU_DEP_1) | instskip(NEXT) | instid1(VALU_DEP_1)
	v_add3_u32 v7, v6, v7, 0x407ffff
	v_lshrrev_b32_e32 v7, 20, v7
; %bb.98:                               ;   in Loop: Header=BB16_95 Depth=1
	s_and_not1_saveexec_b32 s8, s8
	s_cbranch_execz .LBB16_93
; %bb.99:                               ;   in Loop: Header=BB16_95 Depth=1
	v_add_f32_e64 v7, 0x46800000, |v6|
	s_branch .LBB16_93
.LBB16_100:
	s_or_b32 exec_lo, exec_lo, s5
                                        ; implicit-def: $vgpr10
                                        ; implicit-def: $vgpr8
                                        ; implicit-def: $vgpr11
                                        ; implicit-def: $vgpr4_vgpr5
.LBB16_101:
	s_and_not1_saveexec_b32 s0, s4
	s_cbranch_execz .LBB16_153
; %bb.102:
	s_ashr_i32 s1, s14, 3
	s_mov_b32 s0, exec_lo
	v_cmpx_gt_i32_e64 s1, v10
	s_cbranch_execz .LBB16_153
; %bb.103:
	v_lshlrev_b32_e32 v0, 3, v10
	v_lshlrev_b32_e32 v1, 1, v11
	;; [unrolled: 1-line block ×3, first 2 shown]
	v_max_f32_e64 v7, s6, s6
	v_max_f32_e64 v9, s7, s7
	v_add_co_u32 v0, vcc_lo, v4, v0
	v_add_co_ci_u32_e32 v3, vcc_lo, 0, v5, vcc_lo
	v_add3_u32 v6, v1, v2, 0
	s_delay_alu instid0(VALU_DEP_3) | instskip(NEXT) | instid1(VALU_DEP_3)
	v_add_co_u32 v4, vcc_lo, s2, v0
	v_add_co_ci_u32_e32 v5, vcc_lo, s3, v3, vcc_lo
	s_mov_b32 s2, 0
	s_branch .LBB16_106
.LBB16_104:                             ;   in Loop: Header=BB16_106 Depth=1
	s_or_b32 exec_lo, exec_lo, s3
.LBB16_105:                             ;   in Loop: Header=BB16_106 Depth=1
	s_delay_alu instid0(SALU_CYCLE_1)
	s_or_b32 exec_lo, exec_lo, s0
	v_lshrrev_b32_e32 v22, 24, v22
	v_lshrrev_b32_e32 v16, 24, v16
	;; [unrolled: 1-line block ×5, first 2 shown]
	v_and_b32_e32 v22, 0x80, v22
	v_and_b32_e32 v16, 0x80, v16
	v_lshrrev_b32_e32 v19, 24, v19
	v_and_b32_e32 v2, 0x80, v2
	v_lshrrev_b32_e32 v13, 24, v13
	v_and_or_b32 v3, 0x80, v3, v21
	v_and_or_b32 v20, 0xff, v20, v22
	v_and_b32_e32 v0, 0x80, v0
	v_and_or_b32 v15, 0xff, v15, v16
	v_and_b32_e32 v19, 0x80, v19
	v_and_b32_e32 v13, 0x80, v13
	v_lshlrev_b32_e32 v3, 24, v3
	v_lshlrev_b32_e32 v20, 16, v20
	v_and_or_b32 v2, 0xff, v18, v2
	v_lshlrev_b32_e32 v14, 24, v14
	v_and_b32_e32 v1, 0x80000000, v1
	v_and_or_b32 v0, 0xff, v12, v0
	v_lshlrev_b32_e32 v12, 16, v15
	v_or_b32_e32 v3, v3, v20
	v_lshlrev_b32_e32 v2, 8, v2
	v_and_or_b32 v15, 0xff, v17, v19
	v_lshlrev_b32_e32 v0, 8, v0
	v_or3_b32 v12, v14, v1, v12
	v_and_or_b32 v11, 0xff, v11, v13
	v_add_nc_u32_e32 v10, 16, v10
	v_or3_b32 v1, v3, v2, v15
	v_add_nc_u32_e32 v6, 0x100, v6
	s_delay_alu instid0(VALU_DEP_4) | instskip(NEXT) | instid1(VALU_DEP_4)
	v_or3_b32 v0, v12, v0, v11
	v_cmp_le_i32_e32 vcc_lo, s1, v10
	global_store_b64 v[4:5], v[0:1], off
	v_add_co_u32 v4, s0, 0x80, v4
	s_delay_alu instid0(VALU_DEP_1) | instskip(SKIP_1) | instid1(SALU_CYCLE_1)
	v_add_co_ci_u32_e64 v5, s0, 0, v5, s0
	s_or_b32 s2, vcc_lo, s2
	s_and_not1_b32 exec_lo, exec_lo, s2
	s_cbranch_execz .LBB16_153
.LBB16_106:                             ; =>This Inner Loop Header: Depth=1
	ds_load_b128 v[0:3], v6
	s_mov_b32 s0, exec_lo
	s_waitcnt lgkmcnt(0)
	v_cvt_f32_f16_e32 v11, v0
	s_delay_alu instid0(VALU_DEP_1) | instskip(SKIP_1) | instid1(VALU_DEP_2)
	v_div_scale_f32 v12, null, v8, v8, v11
	v_div_scale_f32 v15, vcc_lo, v11, v8, v11
	v_rcp_f32_e32 v13, v12
	s_waitcnt_depctr 0xfff
	v_fma_f32 v14, -v12, v13, 1.0
	s_delay_alu instid0(VALU_DEP_1) | instskip(NEXT) | instid1(VALU_DEP_1)
	v_fmac_f32_e32 v13, v14, v13
	v_mul_f32_e32 v14, v15, v13
	s_delay_alu instid0(VALU_DEP_1) | instskip(NEXT) | instid1(VALU_DEP_1)
	v_fma_f32 v16, -v12, v14, v15
	v_fmac_f32_e32 v14, v16, v13
	s_delay_alu instid0(VALU_DEP_1) | instskip(NEXT) | instid1(VALU_DEP_1)
	v_fma_f32 v12, -v12, v14, v15
	v_div_fmas_f32 v12, v12, v13, v14
	s_delay_alu instid0(VALU_DEP_1) | instskip(SKIP_1) | instid1(VALU_DEP_2)
	v_div_fixup_f32 v11, v12, v8, v11
	v_mov_b32_e32 v12, 0x7f
	v_maxmin_f32 v13, v11, v7, v9
	v_mov_b32_e32 v11, 0x7f
	s_delay_alu instid0(VALU_DEP_2) | instskip(NEXT) | instid1(VALU_DEP_1)
	v_and_b32_e32 v14, 0x7fffffff, v13
	v_cmpx_gt_u32_e32 0x43f00000, v14
	s_cbranch_execz .LBB16_112
; %bb.107:                              ;   in Loop: Header=BB16_106 Depth=1
	s_mov_b32 s3, exec_lo
                                        ; implicit-def: $vgpr11
	v_cmpx_lt_u32_e32 0x3c7fffff, v14
	s_xor_b32 s3, exec_lo, s3
; %bb.108:                              ;   in Loop: Header=BB16_106 Depth=1
	v_bfe_u32 v11, v13, 20, 1
	s_delay_alu instid0(VALU_DEP_1) | instskip(NEXT) | instid1(VALU_DEP_1)
	v_add3_u32 v11, v13, v11, 0x407ffff
	v_lshrrev_b32_e32 v11, 20, v11
; %bb.109:                              ;   in Loop: Header=BB16_106 Depth=1
	s_and_not1_saveexec_b32 s3, s3
; %bb.110:                              ;   in Loop: Header=BB16_106 Depth=1
	v_add_f32_e64 v11, 0x46800000, |v13|
; %bb.111:                              ;   in Loop: Header=BB16_106 Depth=1
	s_or_b32 exec_lo, exec_lo, s3
.LBB16_112:                             ;   in Loop: Header=BB16_106 Depth=1
	s_delay_alu instid0(SALU_CYCLE_1) | instskip(SKIP_2) | instid1(VALU_DEP_1)
	s_or_b32 exec_lo, exec_lo, s0
	v_lshrrev_b32_e32 v0, 16, v0
	s_mov_b32 s0, exec_lo
	v_cvt_f32_f16_e32 v0, v0
	s_delay_alu instid0(VALU_DEP_1) | instskip(NEXT) | instid1(VALU_DEP_1)
	v_div_scale_f32 v14, null, v8, v8, v0
	v_rcp_f32_e32 v15, v14
	s_waitcnt_depctr 0xfff
	v_fma_f32 v16, -v14, v15, 1.0
	s_delay_alu instid0(VALU_DEP_1) | instskip(SKIP_1) | instid1(VALU_DEP_1)
	v_fmac_f32_e32 v15, v16, v15
	v_div_scale_f32 v16, vcc_lo, v0, v8, v0
	v_mul_f32_e32 v17, v16, v15
	s_delay_alu instid0(VALU_DEP_1) | instskip(NEXT) | instid1(VALU_DEP_1)
	v_fma_f32 v18, -v14, v17, v16
	v_fmac_f32_e32 v17, v18, v15
	s_delay_alu instid0(VALU_DEP_1) | instskip(NEXT) | instid1(VALU_DEP_1)
	v_fma_f32 v14, -v14, v17, v16
	v_div_fmas_f32 v14, v14, v15, v17
	s_delay_alu instid0(VALU_DEP_1) | instskip(NEXT) | instid1(VALU_DEP_1)
	v_div_fixup_f32 v0, v14, v8, v0
	v_maxmin_f32 v0, v0, v7, v9
	s_delay_alu instid0(VALU_DEP_1) | instskip(NEXT) | instid1(VALU_DEP_1)
	v_and_b32_e32 v14, 0x7fffffff, v0
	v_cmpx_gt_u32_e32 0x43f00000, v14
	s_cbranch_execz .LBB16_118
; %bb.113:                              ;   in Loop: Header=BB16_106 Depth=1
	s_mov_b32 s3, exec_lo
                                        ; implicit-def: $vgpr12
	v_cmpx_lt_u32_e32 0x3c7fffff, v14
	s_xor_b32 s3, exec_lo, s3
; %bb.114:                              ;   in Loop: Header=BB16_106 Depth=1
	v_bfe_u32 v12, v0, 20, 1
	s_delay_alu instid0(VALU_DEP_1) | instskip(NEXT) | instid1(VALU_DEP_1)
	v_add3_u32 v12, v0, v12, 0x407ffff
	v_lshrrev_b32_e32 v12, 20, v12
; %bb.115:                              ;   in Loop: Header=BB16_106 Depth=1
	s_and_not1_saveexec_b32 s3, s3
; %bb.116:                              ;   in Loop: Header=BB16_106 Depth=1
	v_add_f32_e64 v12, 0x46800000, |v0|
; %bb.117:                              ;   in Loop: Header=BB16_106 Depth=1
	s_or_b32 exec_lo, exec_lo, s3
.LBB16_118:                             ;   in Loop: Header=BB16_106 Depth=1
	s_delay_alu instid0(SALU_CYCLE_1) | instskip(SKIP_2) | instid1(VALU_DEP_1)
	s_or_b32 exec_lo, exec_lo, s0
	v_cvt_f32_f16_e32 v14, v1
	s_mov_b32 s0, exec_lo
	v_div_scale_f32 v15, null, v8, v8, v14
	v_div_scale_f32 v18, vcc_lo, v14, v8, v14
	s_delay_alu instid0(VALU_DEP_2) | instskip(SKIP_2) | instid1(VALU_DEP_1)
	v_rcp_f32_e32 v16, v15
	s_waitcnt_depctr 0xfff
	v_fma_f32 v17, -v15, v16, 1.0
	v_fmac_f32_e32 v16, v17, v16
	s_delay_alu instid0(VALU_DEP_1) | instskip(NEXT) | instid1(VALU_DEP_1)
	v_mul_f32_e32 v17, v18, v16
	v_fma_f32 v19, -v15, v17, v18
	s_delay_alu instid0(VALU_DEP_1) | instskip(NEXT) | instid1(VALU_DEP_1)
	v_fmac_f32_e32 v17, v19, v16
	v_fma_f32 v15, -v15, v17, v18
	s_delay_alu instid0(VALU_DEP_1) | instskip(NEXT) | instid1(VALU_DEP_1)
	v_div_fmas_f32 v15, v15, v16, v17
	v_div_fixup_f32 v14, v15, v8, v14
	v_mov_b32_e32 v15, 0x7f
	s_delay_alu instid0(VALU_DEP_2) | instskip(SKIP_1) | instid1(VALU_DEP_2)
	v_maxmin_f32 v16, v14, v7, v9
	v_mov_b32_e32 v14, 0x7f
	v_and_b32_e32 v17, 0x7fffffff, v16
	s_delay_alu instid0(VALU_DEP_1)
	v_cmpx_gt_u32_e32 0x43f00000, v17
	s_cbranch_execz .LBB16_124
; %bb.119:                              ;   in Loop: Header=BB16_106 Depth=1
	s_mov_b32 s3, exec_lo
                                        ; implicit-def: $vgpr15
	v_cmpx_lt_u32_e32 0x3c7fffff, v17
	s_xor_b32 s3, exec_lo, s3
; %bb.120:                              ;   in Loop: Header=BB16_106 Depth=1
	v_bfe_u32 v15, v16, 20, 1
	s_delay_alu instid0(VALU_DEP_1) | instskip(NEXT) | instid1(VALU_DEP_1)
	v_add3_u32 v15, v16, v15, 0x407ffff
	v_lshrrev_b32_e32 v15, 20, v15
; %bb.121:                              ;   in Loop: Header=BB16_106 Depth=1
	s_and_not1_saveexec_b32 s3, s3
; %bb.122:                              ;   in Loop: Header=BB16_106 Depth=1
	v_add_f32_e64 v15, 0x46800000, |v16|
; %bb.123:                              ;   in Loop: Header=BB16_106 Depth=1
	s_or_b32 exec_lo, exec_lo, s3
.LBB16_124:                             ;   in Loop: Header=BB16_106 Depth=1
	s_delay_alu instid0(SALU_CYCLE_1) | instskip(SKIP_2) | instid1(VALU_DEP_1)
	s_or_b32 exec_lo, exec_lo, s0
	v_lshrrev_b32_e32 v1, 16, v1
	s_mov_b32 s0, exec_lo
	v_cvt_f32_f16_e32 v1, v1
	s_delay_alu instid0(VALU_DEP_1) | instskip(NEXT) | instid1(VALU_DEP_1)
	v_div_scale_f32 v17, null, v8, v8, v1
	v_rcp_f32_e32 v18, v17
	s_waitcnt_depctr 0xfff
	v_fma_f32 v19, -v17, v18, 1.0
	s_delay_alu instid0(VALU_DEP_1) | instskip(SKIP_1) | instid1(VALU_DEP_1)
	v_fmac_f32_e32 v18, v19, v18
	v_div_scale_f32 v19, vcc_lo, v1, v8, v1
	v_mul_f32_e32 v20, v19, v18
	s_delay_alu instid0(VALU_DEP_1) | instskip(NEXT) | instid1(VALU_DEP_1)
	v_fma_f32 v21, -v17, v20, v19
	v_fmac_f32_e32 v20, v21, v18
	s_delay_alu instid0(VALU_DEP_1) | instskip(NEXT) | instid1(VALU_DEP_1)
	v_fma_f32 v17, -v17, v20, v19
	v_div_fmas_f32 v17, v17, v18, v20
	s_delay_alu instid0(VALU_DEP_1) | instskip(NEXT) | instid1(VALU_DEP_1)
	v_div_fixup_f32 v1, v17, v8, v1
	v_maxmin_f32 v1, v1, v7, v9
	s_delay_alu instid0(VALU_DEP_1) | instskip(NEXT) | instid1(VALU_DEP_1)
	v_and_b32_e32 v17, 0x7fffffff, v1
	v_cmpx_gt_u32_e32 0x43f00000, v17
	s_cbranch_execz .LBB16_130
; %bb.125:                              ;   in Loop: Header=BB16_106 Depth=1
	s_mov_b32 s3, exec_lo
                                        ; implicit-def: $vgpr14
	v_cmpx_lt_u32_e32 0x3c7fffff, v17
	s_xor_b32 s3, exec_lo, s3
; %bb.126:                              ;   in Loop: Header=BB16_106 Depth=1
	v_bfe_u32 v14, v1, 20, 1
	s_delay_alu instid0(VALU_DEP_1) | instskip(NEXT) | instid1(VALU_DEP_1)
	v_add3_u32 v14, v1, v14, 0x407ffff
	v_lshrrev_b32_e32 v14, 20, v14
; %bb.127:                              ;   in Loop: Header=BB16_106 Depth=1
	s_and_not1_saveexec_b32 s3, s3
; %bb.128:                              ;   in Loop: Header=BB16_106 Depth=1
	v_add_f32_e64 v14, 0x46800000, |v1|
; %bb.129:                              ;   in Loop: Header=BB16_106 Depth=1
	s_or_b32 exec_lo, exec_lo, s3
.LBB16_130:                             ;   in Loop: Header=BB16_106 Depth=1
	s_delay_alu instid0(SALU_CYCLE_1) | instskip(SKIP_2) | instid1(VALU_DEP_1)
	s_or_b32 exec_lo, exec_lo, s0
	v_cvt_f32_f16_e32 v17, v2
	s_mov_b32 s0, exec_lo
	v_div_scale_f32 v18, null, v8, v8, v17
	v_div_scale_f32 v21, vcc_lo, v17, v8, v17
	s_delay_alu instid0(VALU_DEP_2) | instskip(SKIP_2) | instid1(VALU_DEP_1)
	v_rcp_f32_e32 v19, v18
	s_waitcnt_depctr 0xfff
	v_fma_f32 v20, -v18, v19, 1.0
	v_fmac_f32_e32 v19, v20, v19
	s_delay_alu instid0(VALU_DEP_1) | instskip(NEXT) | instid1(VALU_DEP_1)
	v_mul_f32_e32 v20, v21, v19
	v_fma_f32 v22, -v18, v20, v21
	s_delay_alu instid0(VALU_DEP_1) | instskip(NEXT) | instid1(VALU_DEP_1)
	v_fmac_f32_e32 v20, v22, v19
	v_fma_f32 v18, -v18, v20, v21
	s_delay_alu instid0(VALU_DEP_1) | instskip(NEXT) | instid1(VALU_DEP_1)
	v_div_fmas_f32 v18, v18, v19, v20
	v_div_fixup_f32 v17, v18, v8, v17
	v_mov_b32_e32 v18, 0x7f
	s_delay_alu instid0(VALU_DEP_2) | instskip(SKIP_1) | instid1(VALU_DEP_2)
	v_maxmin_f32 v19, v17, v7, v9
	v_mov_b32_e32 v17, 0x7f
	v_and_b32_e32 v20, 0x7fffffff, v19
	s_delay_alu instid0(VALU_DEP_1)
	v_cmpx_gt_u32_e32 0x43f00000, v20
	s_cbranch_execz .LBB16_136
; %bb.131:                              ;   in Loop: Header=BB16_106 Depth=1
	s_mov_b32 s3, exec_lo
                                        ; implicit-def: $vgpr17
	v_cmpx_lt_u32_e32 0x3c7fffff, v20
	s_xor_b32 s3, exec_lo, s3
; %bb.132:                              ;   in Loop: Header=BB16_106 Depth=1
	v_bfe_u32 v17, v19, 20, 1
	s_delay_alu instid0(VALU_DEP_1) | instskip(NEXT) | instid1(VALU_DEP_1)
	v_add3_u32 v17, v19, v17, 0x407ffff
	v_lshrrev_b32_e32 v17, 20, v17
; %bb.133:                              ;   in Loop: Header=BB16_106 Depth=1
	s_and_not1_saveexec_b32 s3, s3
; %bb.134:                              ;   in Loop: Header=BB16_106 Depth=1
	v_add_f32_e64 v17, 0x46800000, |v19|
; %bb.135:                              ;   in Loop: Header=BB16_106 Depth=1
	s_or_b32 exec_lo, exec_lo, s3
.LBB16_136:                             ;   in Loop: Header=BB16_106 Depth=1
	s_delay_alu instid0(SALU_CYCLE_1) | instskip(SKIP_2) | instid1(VALU_DEP_1)
	s_or_b32 exec_lo, exec_lo, s0
	v_lshrrev_b32_e32 v2, 16, v2
	s_mov_b32 s0, exec_lo
	v_cvt_f32_f16_e32 v2, v2
	s_delay_alu instid0(VALU_DEP_1) | instskip(NEXT) | instid1(VALU_DEP_1)
	v_div_scale_f32 v20, null, v8, v8, v2
	v_rcp_f32_e32 v21, v20
	s_waitcnt_depctr 0xfff
	v_fma_f32 v22, -v20, v21, 1.0
	s_delay_alu instid0(VALU_DEP_1) | instskip(SKIP_1) | instid1(VALU_DEP_1)
	v_fmac_f32_e32 v21, v22, v21
	v_div_scale_f32 v22, vcc_lo, v2, v8, v2
	v_mul_f32_e32 v23, v22, v21
	s_delay_alu instid0(VALU_DEP_1) | instskip(NEXT) | instid1(VALU_DEP_1)
	v_fma_f32 v24, -v20, v23, v22
	v_fmac_f32_e32 v23, v24, v21
	s_delay_alu instid0(VALU_DEP_1) | instskip(NEXT) | instid1(VALU_DEP_1)
	v_fma_f32 v20, -v20, v23, v22
	v_div_fmas_f32 v20, v20, v21, v23
	s_delay_alu instid0(VALU_DEP_1) | instskip(NEXT) | instid1(VALU_DEP_1)
	v_div_fixup_f32 v2, v20, v8, v2
	v_maxmin_f32 v2, v2, v7, v9
	s_delay_alu instid0(VALU_DEP_1) | instskip(NEXT) | instid1(VALU_DEP_1)
	v_and_b32_e32 v20, 0x7fffffff, v2
	v_cmpx_gt_u32_e32 0x43f00000, v20
	s_cbranch_execz .LBB16_142
; %bb.137:                              ;   in Loop: Header=BB16_106 Depth=1
	s_mov_b32 s3, exec_lo
                                        ; implicit-def: $vgpr18
	v_cmpx_lt_u32_e32 0x3c7fffff, v20
	s_xor_b32 s3, exec_lo, s3
; %bb.138:                              ;   in Loop: Header=BB16_106 Depth=1
	v_bfe_u32 v18, v2, 20, 1
	s_delay_alu instid0(VALU_DEP_1) | instskip(NEXT) | instid1(VALU_DEP_1)
	v_add3_u32 v18, v2, v18, 0x407ffff
	v_lshrrev_b32_e32 v18, 20, v18
; %bb.139:                              ;   in Loop: Header=BB16_106 Depth=1
	s_and_not1_saveexec_b32 s3, s3
; %bb.140:                              ;   in Loop: Header=BB16_106 Depth=1
	v_add_f32_e64 v18, 0x46800000, |v2|
; %bb.141:                              ;   in Loop: Header=BB16_106 Depth=1
	s_or_b32 exec_lo, exec_lo, s3
.LBB16_142:                             ;   in Loop: Header=BB16_106 Depth=1
	s_delay_alu instid0(SALU_CYCLE_1) | instskip(SKIP_2) | instid1(VALU_DEP_1)
	s_or_b32 exec_lo, exec_lo, s0
	v_cvt_f32_f16_e32 v20, v3
	s_mov_b32 s0, exec_lo
	v_div_scale_f32 v21, null, v8, v8, v20
	v_div_scale_f32 v24, vcc_lo, v20, v8, v20
	s_delay_alu instid0(VALU_DEP_2) | instskip(SKIP_2) | instid1(VALU_DEP_1)
	v_rcp_f32_e32 v22, v21
	s_waitcnt_depctr 0xfff
	v_fma_f32 v23, -v21, v22, 1.0
	v_fmac_f32_e32 v22, v23, v22
	s_delay_alu instid0(VALU_DEP_1) | instskip(NEXT) | instid1(VALU_DEP_1)
	v_mul_f32_e32 v23, v24, v22
	v_fma_f32 v25, -v21, v23, v24
	s_delay_alu instid0(VALU_DEP_1) | instskip(NEXT) | instid1(VALU_DEP_1)
	v_fmac_f32_e32 v23, v25, v22
	v_fma_f32 v21, -v21, v23, v24
	s_delay_alu instid0(VALU_DEP_1) | instskip(NEXT) | instid1(VALU_DEP_1)
	v_div_fmas_f32 v21, v21, v22, v23
	v_div_fixup_f32 v20, v21, v8, v20
	v_mov_b32_e32 v21, 0x7f
	s_delay_alu instid0(VALU_DEP_2) | instskip(SKIP_1) | instid1(VALU_DEP_2)
	v_maxmin_f32 v22, v20, v7, v9
	v_mov_b32_e32 v20, 0x7f
	v_and_b32_e32 v23, 0x7fffffff, v22
	s_delay_alu instid0(VALU_DEP_1)
	v_cmpx_gt_u32_e32 0x43f00000, v23
	s_cbranch_execz .LBB16_148
; %bb.143:                              ;   in Loop: Header=BB16_106 Depth=1
	s_mov_b32 s3, exec_lo
                                        ; implicit-def: $vgpr20
	v_cmpx_lt_u32_e32 0x3c7fffff, v23
	s_xor_b32 s3, exec_lo, s3
; %bb.144:                              ;   in Loop: Header=BB16_106 Depth=1
	v_bfe_u32 v20, v22, 20, 1
	s_delay_alu instid0(VALU_DEP_1) | instskip(NEXT) | instid1(VALU_DEP_1)
	v_add3_u32 v20, v22, v20, 0x407ffff
	v_lshrrev_b32_e32 v20, 20, v20
; %bb.145:                              ;   in Loop: Header=BB16_106 Depth=1
	s_and_not1_saveexec_b32 s3, s3
; %bb.146:                              ;   in Loop: Header=BB16_106 Depth=1
	v_add_f32_e64 v20, 0x46800000, |v22|
; %bb.147:                              ;   in Loop: Header=BB16_106 Depth=1
	s_or_b32 exec_lo, exec_lo, s3
.LBB16_148:                             ;   in Loop: Header=BB16_106 Depth=1
	s_delay_alu instid0(SALU_CYCLE_1) | instskip(SKIP_2) | instid1(VALU_DEP_1)
	s_or_b32 exec_lo, exec_lo, s0
	v_lshrrev_b32_e32 v3, 16, v3
	s_mov_b32 s0, exec_lo
	v_cvt_f32_f16_e32 v3, v3
	s_delay_alu instid0(VALU_DEP_1) | instskip(NEXT) | instid1(VALU_DEP_1)
	v_div_scale_f32 v23, null, v8, v8, v3
	v_rcp_f32_e32 v24, v23
	s_waitcnt_depctr 0xfff
	v_fma_f32 v25, -v23, v24, 1.0
	s_delay_alu instid0(VALU_DEP_1) | instskip(SKIP_1) | instid1(VALU_DEP_1)
	v_fmac_f32_e32 v24, v25, v24
	v_div_scale_f32 v25, vcc_lo, v3, v8, v3
	v_mul_f32_e32 v26, v25, v24
	s_delay_alu instid0(VALU_DEP_1) | instskip(NEXT) | instid1(VALU_DEP_1)
	v_fma_f32 v27, -v23, v26, v25
	v_fmac_f32_e32 v26, v27, v24
	s_delay_alu instid0(VALU_DEP_1) | instskip(NEXT) | instid1(VALU_DEP_1)
	v_fma_f32 v23, -v23, v26, v25
	v_div_fmas_f32 v23, v23, v24, v26
	s_delay_alu instid0(VALU_DEP_1) | instskip(NEXT) | instid1(VALU_DEP_1)
	v_div_fixup_f32 v3, v23, v8, v3
	v_maxmin_f32 v3, v3, v7, v9
	s_delay_alu instid0(VALU_DEP_1) | instskip(NEXT) | instid1(VALU_DEP_1)
	v_and_b32_e32 v23, 0x7fffffff, v3
	v_cmpx_gt_u32_e32 0x43f00000, v23
	s_cbranch_execz .LBB16_105
; %bb.149:                              ;   in Loop: Header=BB16_106 Depth=1
	s_mov_b32 s3, exec_lo
                                        ; implicit-def: $vgpr21
	v_cmpx_lt_u32_e32 0x3c7fffff, v23
	s_xor_b32 s3, exec_lo, s3
; %bb.150:                              ;   in Loop: Header=BB16_106 Depth=1
	v_bfe_u32 v21, v3, 20, 1
	s_delay_alu instid0(VALU_DEP_1) | instskip(NEXT) | instid1(VALU_DEP_1)
	v_add3_u32 v21, v3, v21, 0x407ffff
	v_lshrrev_b32_e32 v21, 20, v21
; %bb.151:                              ;   in Loop: Header=BB16_106 Depth=1
	s_and_not1_saveexec_b32 s3, s3
	s_cbranch_execz .LBB16_104
; %bb.152:                              ;   in Loop: Header=BB16_106 Depth=1
	v_add_f32_e64 v21, 0x46800000, |v3|
	s_branch .LBB16_104
.LBB16_153:
	s_nop 0
	s_sendmsg sendmsg(MSG_DEALLOC_VGPRS)
	s_endpgm
	.section	.rodata,"a",@progbits
	.p2align	6, 0x0
	.amdhsa_kernel _Z33per_token_group_quant_8bit_kernelIN3c104HalfENS0_13Float8_e4m3fnELb1ELb1EfEvPKT_PvPT3_iiifffii
		.amdhsa_group_segment_fixed_size 0
		.amdhsa_private_segment_fixed_size 0
		.amdhsa_kernarg_size 56
		.amdhsa_user_sgpr_count 15
		.amdhsa_user_sgpr_dispatch_ptr 0
		.amdhsa_user_sgpr_queue_ptr 0
		.amdhsa_user_sgpr_kernarg_segment_ptr 1
		.amdhsa_user_sgpr_dispatch_id 0
		.amdhsa_user_sgpr_private_segment_size 0
		.amdhsa_wavefront_size32 1
		.amdhsa_uses_dynamic_stack 0
		.amdhsa_enable_private_segment 0
		.amdhsa_system_sgpr_workgroup_id_x 1
		.amdhsa_system_sgpr_workgroup_id_y 0
		.amdhsa_system_sgpr_workgroup_id_z 0
		.amdhsa_system_sgpr_workgroup_info 0
		.amdhsa_system_vgpr_workitem_id 0
		.amdhsa_next_free_vgpr 39
		.amdhsa_next_free_sgpr 17
		.amdhsa_reserve_vcc 1
		.amdhsa_float_round_mode_32 0
		.amdhsa_float_round_mode_16_64 0
		.amdhsa_float_denorm_mode_32 3
		.amdhsa_float_denorm_mode_16_64 3
		.amdhsa_dx10_clamp 1
		.amdhsa_ieee_mode 1
		.amdhsa_fp16_overflow 0
		.amdhsa_workgroup_processor_mode 1
		.amdhsa_memory_ordered 1
		.amdhsa_forward_progress 0
		.amdhsa_shared_vgpr_count 0
		.amdhsa_exception_fp_ieee_invalid_op 0
		.amdhsa_exception_fp_denorm_src 0
		.amdhsa_exception_fp_ieee_div_zero 0
		.amdhsa_exception_fp_ieee_overflow 0
		.amdhsa_exception_fp_ieee_underflow 0
		.amdhsa_exception_fp_ieee_inexact 0
		.amdhsa_exception_int_div_zero 0
	.end_amdhsa_kernel
	.section	.text._Z33per_token_group_quant_8bit_kernelIN3c104HalfENS0_13Float8_e4m3fnELb1ELb1EfEvPKT_PvPT3_iiifffii,"axG",@progbits,_Z33per_token_group_quant_8bit_kernelIN3c104HalfENS0_13Float8_e4m3fnELb1ELb1EfEvPKT_PvPT3_iiifffii,comdat
.Lfunc_end16:
	.size	_Z33per_token_group_quant_8bit_kernelIN3c104HalfENS0_13Float8_e4m3fnELb1ELb1EfEvPKT_PvPT3_iiifffii, .Lfunc_end16-_Z33per_token_group_quant_8bit_kernelIN3c104HalfENS0_13Float8_e4m3fnELb1ELb1EfEvPKT_PvPT3_iiifffii
                                        ; -- End function
	.section	.AMDGPU.csdata,"",@progbits
; Kernel info:
; codeLenInByte = 8696
; NumSgprs: 19
; NumVgprs: 39
; ScratchSize: 0
; MemoryBound: 0
; FloatMode: 240
; IeeeMode: 1
; LDSByteSize: 0 bytes/workgroup (compile time only)
; SGPRBlocks: 2
; VGPRBlocks: 4
; NumSGPRsForWavesPerEU: 19
; NumVGPRsForWavesPerEU: 39
; Occupancy: 16
; WaveLimiterHint : 0
; COMPUTE_PGM_RSRC2:SCRATCH_EN: 0
; COMPUTE_PGM_RSRC2:USER_SGPR: 15
; COMPUTE_PGM_RSRC2:TRAP_HANDLER: 0
; COMPUTE_PGM_RSRC2:TGID_X_EN: 1
; COMPUTE_PGM_RSRC2:TGID_Y_EN: 0
; COMPUTE_PGM_RSRC2:TGID_Z_EN: 0
; COMPUTE_PGM_RSRC2:TIDIG_COMP_CNT: 0
	.section	.text._Z33per_token_group_quant_8bit_kernelIN3c104HalfENS0_13Float8_e4m3fnELb1ELb0EfEvPKT_PvPT3_iiifffii,"axG",@progbits,_Z33per_token_group_quant_8bit_kernelIN3c104HalfENS0_13Float8_e4m3fnELb1ELb0EfEvPKT_PvPT3_iiifffii,comdat
	.protected	_Z33per_token_group_quant_8bit_kernelIN3c104HalfENS0_13Float8_e4m3fnELb1ELb0EfEvPKT_PvPT3_iiifffii ; -- Begin function _Z33per_token_group_quant_8bit_kernelIN3c104HalfENS0_13Float8_e4m3fnELb1ELb0EfEvPKT_PvPT3_iiifffii
	.globl	_Z33per_token_group_quant_8bit_kernelIN3c104HalfENS0_13Float8_e4m3fnELb1ELb0EfEvPKT_PvPT3_iiifffii
	.p2align	8
	.type	_Z33per_token_group_quant_8bit_kernelIN3c104HalfENS0_13Float8_e4m3fnELb1ELb0EfEvPKT_PvPT3_iiifffii,@function
_Z33per_token_group_quant_8bit_kernelIN3c104HalfENS0_13Float8_e4m3fnELb1ELb0EfEvPKT_PvPT3_iiifffii: ; @_Z33per_token_group_quant_8bit_kernelIN3c104HalfENS0_13Float8_e4m3fnELb1ELb0EfEvPKT_PvPT3_iiifffii
; %bb.0:
	s_clause 0x1
	s_load_b128 s[4:7], s[0:1], 0x20
	s_load_b32 s14, s[0:1], 0x18
	v_lshrrev_b32_e32 v3, 4, v0
	s_load_b64 s[8:9], s[0:1], 0x30
	v_and_b32_e32 v10, 15, v0
                                        ; implicit-def: $vgpr14
	s_waitcnt lgkmcnt(0)
	s_mul_i32 s15, s15, s4
	s_ashr_i32 s4, s14, 31
	v_add_co_u32 v12, s2, s15, v3
	s_delay_alu instid0(VALU_DEP_1) | instskip(SKIP_1) | instid1(VALU_DEP_2)
	v_add_co_ci_u32_e64 v13, null, 0, 0, s2
	s_load_b64 s[2:3], s[0:1], 0x0
	v_mul_lo_u32 v2, v12, s4
	v_mad_u64_u32 v[4:5], null, v12, s14, 0
	s_delay_alu instid0(VALU_DEP_3) | instskip(SKIP_2) | instid1(SALU_CYCLE_1)
	v_mul_lo_u32 v1, v13, s14
	v_mul_lo_u32 v11, v3, s14
	s_and_b32 s4, s14, 7
	s_cmp_eq_u32 s4, 0
	s_cselect_b32 s15, -1, 0
	s_cmp_lg_u32 s4, 0
	s_delay_alu instid0(VALU_DEP_2) | instskip(NEXT) | instid1(VALU_DEP_2)
	v_add3_u32 v5, v5, v2, v1
	v_lshl_add_u32 v3, v11, 1, 0
	s_cselect_b32 s4, -1, 0
	s_delay_alu instid0(VALU_DEP_2) | instskip(SKIP_1) | instid1(VALU_DEP_1)
	v_lshlrev_b64 v[1:2], 1, v[4:5]
	s_waitcnt lgkmcnt(0)
	v_add_co_u32 v6, vcc_lo, s2, v1
	v_mov_b32_e32 v9, 0
	s_delay_alu instid0(VALU_DEP_3) | instskip(NEXT) | instid1(VALU_DEP_3)
	v_add_co_ci_u32_e32 v7, vcc_lo, s3, v2, vcc_lo
	v_and_b32_e32 v8, 15, v6
	s_delay_alu instid0(VALU_DEP_1) | instskip(SKIP_1) | instid1(SALU_CYCLE_1)
	v_cmp_ne_u64_e32 vcc_lo, 0, v[8:9]
	s_or_b32 s4, s4, vcc_lo
	s_and_saveexec_b32 s10, s4
	s_delay_alu instid0(SALU_CYCLE_1)
	s_xor_b32 s4, exec_lo, s10
	s_cbranch_execz .LBB17_12
; %bb.1:
	v_sub_nc_u32_e32 v0, 0, v6
	v_mov_b32_e32 v14, s5
	s_mov_b32 s10, exec_lo
	s_delay_alu instid0(VALU_DEP_2) | instskip(NEXT) | instid1(VALU_DEP_1)
	v_bfe_u32 v0, v0, 1, 3
	v_min_i32_e32 v8, s14, v0
	s_delay_alu instid0(VALU_DEP_1)
	v_cmpx_gt_i32_e64 v8, v10
	s_cbranch_execz .LBB17_3
; %bb.2:
	v_lshlrev_b32_e32 v0, 1, v10
	v_max_f32_e64 v9, s5, s5
	s_delay_alu instid0(VALU_DEP_2)
	v_add_co_u32 v6, vcc_lo, v6, v0
	v_add_co_ci_u32_e32 v7, vcc_lo, 0, v7, vcc_lo
	v_add_nc_u32_e32 v0, v3, v0
	global_load_u16 v6, v[6:7], off
	s_waitcnt vmcnt(0)
	v_cvt_f32_f16_e64 v7, |v6|
	ds_store_b16 v0, v6
	v_max_f32_e32 v14, v9, v7
.LBB17_3:
	s_or_b32 exec_lo, exec_lo, s10
	v_sub_nc_u32_e32 v15, s14, v8
	v_ashrrev_i32_e32 v9, 31, v8
	s_mov_b32 s10, exec_lo
	s_delay_alu instid0(VALU_DEP_2) | instskip(NEXT) | instid1(VALU_DEP_2)
	v_ashrrev_i32_e32 v0, 31, v15
	v_lshlrev_b64 v[6:7], 1, v[8:9]
	s_delay_alu instid0(VALU_DEP_2) | instskip(NEXT) | instid1(VALU_DEP_1)
	v_lshrrev_b32_e32 v0, 29, v0
	v_add_nc_u32_e32 v0, v15, v0
	s_delay_alu instid0(VALU_DEP_1) | instskip(SKIP_1) | instid1(VALU_DEP_2)
	v_ashrrev_i32_e32 v16, 3, v0
	v_lshlrev_b32_e32 v0, 1, v8
	v_cmpx_gt_i32_e64 v16, v10
	s_cbranch_execz .LBB17_7
; %bb.4:
	v_lshlrev_b32_e32 v8, 4, v10
	s_mov_b32 s11, 0
	s_delay_alu instid0(VALU_DEP_1) | instskip(SKIP_2) | instid1(VALU_DEP_3)
	v_add_co_u32 v9, vcc_lo, v1, v8
	v_add_co_ci_u32_e32 v17, vcc_lo, 0, v2, vcc_lo
	v_lshl_add_u32 v8, v11, 1, v8
	v_add_co_u32 v9, vcc_lo, v9, v6
	s_delay_alu instid0(VALU_DEP_3) | instskip(NEXT) | instid1(VALU_DEP_2)
	v_add_co_ci_u32_e32 v17, vcc_lo, v17, v7, vcc_lo
	v_add_co_u32 v9, vcc_lo, v9, s2
	s_delay_alu instid0(VALU_DEP_2) | instskip(SKIP_1) | instid1(VALU_DEP_3)
	v_add_co_ci_u32_e32 v18, vcc_lo, s3, v17, vcc_lo
	v_add3_u32 v17, v8, v0, 0
	v_add_co_u32 v8, vcc_lo, v9, 8
	s_delay_alu instid0(VALU_DEP_3)
	v_add_co_ci_u32_e32 v9, vcc_lo, 0, v18, vcc_lo
	v_mov_b32_e32 v18, v10
	s_set_inst_prefetch_distance 0x1
	.p2align	6
.LBB17_5:                               ; =>This Inner Loop Header: Depth=1
	global_load_b128 v[19:22], v[8:9], off offset:-8
	v_add_nc_u32_e32 v18, 16, v18
	v_add_co_u32 v8, vcc_lo, 0x100, v8
	v_add_co_ci_u32_e32 v9, vcc_lo, 0, v9, vcc_lo
	s_delay_alu instid0(VALU_DEP_3)
	v_cmp_ge_i32_e32 vcc_lo, v18, v16
	s_or_b32 s11, vcc_lo, s11
	s_waitcnt vmcnt(0)
	v_lshrrev_b32_e32 v23, 16, v19
	v_cvt_f32_f16_e64 v24, |v19|
	v_lshrrev_b32_e32 v25, 16, v20
	v_cvt_f32_f16_e64 v26, |v20|
	;; [unrolled: 2-line block ×3, first 2 shown]
	ds_store_b128 v17, v[19:22]
	v_cvt_f32_f16_e64 v25, |v25|
	v_add_nc_u32_e32 v17, 0x100, v17
	v_cvt_f32_f16_e64 v27, |v27|
	v_max3_f32 v14, v14, v24, v23
	v_cvt_f32_f16_e64 v23, |v21|
	v_lshrrev_b32_e32 v24, 16, v22
	s_delay_alu instid0(VALU_DEP_3) | instskip(SKIP_1) | instid1(VALU_DEP_3)
	v_max3_f32 v14, v14, v26, v25
	v_cvt_f32_f16_e64 v25, |v22|
	v_cvt_f32_f16_e64 v24, |v24|
	s_delay_alu instid0(VALU_DEP_3) | instskip(NEXT) | instid1(VALU_DEP_1)
	v_max3_f32 v14, v14, v23, v27
	v_max3_f32 v14, v14, v25, v24
	s_and_not1_b32 exec_lo, exec_lo, s11
	s_cbranch_execnz .LBB17_5
; %bb.6:
	s_set_inst_prefetch_distance 0x2
	s_or_b32 exec_lo, exec_lo, s11
.LBB17_7:
	s_delay_alu instid0(SALU_CYCLE_1) | instskip(SKIP_2) | instid1(VALU_DEP_1)
	s_or_b32 exec_lo, exec_lo, s10
	v_lshl_add_u32 v8, v16, 3, v10
	s_mov_b32 s10, exec_lo
	v_cmpx_lt_i32_e64 v8, v15
	s_cbranch_execz .LBB17_11
; %bb.8:
	v_ashrrev_i32_e32 v9, 31, v8
	v_lshlrev_b32_e32 v19, 4, v16
	v_lshlrev_b32_e32 v18, 1, v11
	v_add_co_u32 v1, vcc_lo, v1, v6
	s_delay_alu instid0(VALU_DEP_4) | instskip(SKIP_4) | instid1(VALU_DEP_4)
	v_lshlrev_b64 v[16:17], 1, v[8:9]
	v_add_co_ci_u32_e32 v2, vcc_lo, v2, v7, vcc_lo
	v_lshlrev_b32_e32 v20, 1, v10
	v_add3_u32 v0, v18, v19, v0
	s_mov_b32 s11, 0
	v_add_co_u32 v1, vcc_lo, v1, v16
	v_add_co_ci_u32_e32 v6, vcc_lo, v2, v17, vcc_lo
	s_delay_alu instid0(VALU_DEP_3) | instskip(NEXT) | instid1(VALU_DEP_3)
	v_add3_u32 v2, v0, v20, 0
	v_add_co_u32 v0, vcc_lo, s2, v1
	s_delay_alu instid0(VALU_DEP_3)
	v_add_co_ci_u32_e32 v1, vcc_lo, s3, v6, vcc_lo
	.p2align	6
.LBB17_9:                               ; =>This Inner Loop Header: Depth=1
	global_load_u16 v6, v[0:1], off
	v_dual_max_f32 v7, v14, v14 :: v_dual_add_nc_u32 v8, 16, v8
	v_add_co_u32 v0, vcc_lo, v0, 32
	v_add_co_ci_u32_e32 v1, vcc_lo, 0, v1, vcc_lo
	s_delay_alu instid0(VALU_DEP_3)
	v_cmp_ge_i32_e32 vcc_lo, v8, v15
	s_or_b32 s11, vcc_lo, s11
	s_waitcnt vmcnt(0)
	v_cvt_f32_f16_e64 v9, |v6|
	ds_store_b16 v2, v6
	v_add_nc_u32_e32 v2, 32, v2
	v_max_f32_e32 v14, v7, v9
	s_and_not1_b32 exec_lo, exec_lo, s11
	s_cbranch_execnz .LBB17_9
; %bb.10:
	s_or_b32 exec_lo, exec_lo, s11
.LBB17_11:
	s_delay_alu instid0(SALU_CYCLE_1)
	s_or_b32 exec_lo, exec_lo, s10
                                        ; implicit-def: $vgpr1_vgpr2
.LBB17_12:
	s_and_not1_saveexec_b32 s4, s4
	s_cbranch_execz .LBB17_18
; %bb.13:
	v_mov_b32_e32 v14, s5
	s_ashr_i32 s11, s14, 3
	s_mov_b32 s10, exec_lo
	v_cmpx_gt_i32_e64 s11, v10
	s_cbranch_execz .LBB17_17
; %bb.14:
	v_lshlrev_b32_e32 v0, 4, v10
	v_lshlrev_b32_e32 v6, 1, v11
	v_mov_b32_e32 v14, s5
	s_delay_alu instid0(VALU_DEP_3) | instskip(SKIP_1) | instid1(VALU_DEP_2)
	v_add_co_u32 v1, vcc_lo, v1, v0
	v_add_co_ci_u32_e32 v2, vcc_lo, 0, v2, vcc_lo
	v_add_co_u32 v1, vcc_lo, v1, s2
	s_delay_alu instid0(VALU_DEP_2) | instskip(SKIP_1) | instid1(VALU_DEP_3)
	v_add_co_ci_u32_e32 v7, vcc_lo, s3, v2, vcc_lo
	v_add3_u32 v2, v6, v0, 0
	v_add_co_u32 v0, vcc_lo, v1, 8
	s_delay_alu instid0(VALU_DEP_3)
	v_add_co_ci_u32_e32 v1, vcc_lo, 0, v7, vcc_lo
	v_mov_b32_e32 v6, v10
	s_mov_b32 s2, 0
	s_set_inst_prefetch_distance 0x1
	.p2align	6
.LBB17_15:                              ; =>This Inner Loop Header: Depth=1
	global_load_b128 v[15:18], v[0:1], off offset:-8
	v_add_nc_u32_e32 v6, 16, v6
	v_add_co_u32 v0, vcc_lo, 0x100, v0
	v_add_co_ci_u32_e32 v1, vcc_lo, 0, v1, vcc_lo
	s_delay_alu instid0(VALU_DEP_3)
	v_cmp_le_i32_e32 vcc_lo, s11, v6
	s_or_b32 s2, vcc_lo, s2
	s_waitcnt vmcnt(0)
	v_lshrrev_b32_e32 v7, 16, v15
	v_cvt_f32_f16_e64 v8, |v15|
	v_lshrrev_b32_e32 v9, 16, v16
	v_cvt_f32_f16_e64 v19, |v16|
	;; [unrolled: 2-line block ×3, first 2 shown]
	ds_store_b128 v2, v[15:18]
	v_cvt_f32_f16_e64 v9, |v9|
	v_add_nc_u32_e32 v2, 0x100, v2
	v_cvt_f32_f16_e64 v20, |v20|
	v_max3_f32 v7, v14, v8, v7
	v_cvt_f32_f16_e64 v8, |v17|
	v_lshrrev_b32_e32 v14, 16, v18
	s_delay_alu instid0(VALU_DEP_3) | instskip(SKIP_1) | instid1(VALU_DEP_3)
	v_max3_f32 v7, v7, v19, v9
	v_cvt_f32_f16_e64 v9, |v18|
	v_cvt_f32_f16_e64 v14, |v14|
	s_delay_alu instid0(VALU_DEP_3) | instskip(NEXT) | instid1(VALU_DEP_1)
	v_max3_f32 v7, v7, v8, v20
	v_max3_f32 v14, v7, v9, v14
	s_and_not1_b32 exec_lo, exec_lo, s2
	s_cbranch_execnz .LBB17_15
; %bb.16:
	s_set_inst_prefetch_distance 0x2
	s_or_b32 exec_lo, exec_lo, s2
.LBB17_17:
	s_delay_alu instid0(SALU_CYCLE_1)
	s_or_b32 exec_lo, exec_lo, s10
.LBB17_18:
	s_delay_alu instid0(SALU_CYCLE_1) | instskip(SKIP_4) | instid1(VALU_DEP_2)
	s_or_b32 exec_lo, exec_lo, s4
	v_mbcnt_lo_u32_b32 v0, -1, 0
	v_max_f32_e32 v7, v14, v14
	s_load_b64 s[2:3], s[0:1], 0x8
	s_mov_b32 s16, exec_lo
	v_xor_b32_e32 v2, 8, v0
	v_and_b32_e32 v1, 16, v0
	v_xor_b32_e32 v6, 4, v0
	s_delay_alu instid0(VALU_DEP_2) | instskip(NEXT) | instid1(VALU_DEP_1)
	v_add_nc_u32_e32 v1, 16, v1
	v_cmp_lt_i32_e32 vcc_lo, v2, v1
	v_cndmask_b32_e32 v2, v0, v2, vcc_lo
	s_delay_alu instid0(VALU_DEP_4) | instskip(NEXT) | instid1(VALU_DEP_2)
	v_cmp_lt_i32_e32 vcc_lo, v6, v1
	v_lshlrev_b32_e32 v2, 2, v2
	v_cndmask_b32_e32 v6, v0, v6, vcc_lo
	ds_bpermute_b32 v2, v2, v14
	v_lshlrev_b32_e32 v6, 2, v6
	s_waitcnt lgkmcnt(0)
	v_max_f32_e32 v2, v2, v2
	s_delay_alu instid0(VALU_DEP_1)
	v_max_f32_e32 v2, v7, v2
	v_xor_b32_e32 v7, 2, v0
	ds_bpermute_b32 v6, v6, v2
	v_cmp_lt_i32_e32 vcc_lo, v7, v1
	v_cndmask_b32_e32 v7, v0, v7, vcc_lo
	s_waitcnt lgkmcnt(0)
	s_delay_alu instid0(VALU_DEP_1) | instskip(NEXT) | instid1(VALU_DEP_1)
	v_dual_max_f32 v6, v6, v6 :: v_dual_lshlrev_b32 v7, 2, v7
	v_max_f32_e32 v2, v2, v6
	ds_bpermute_b32 v6, v7, v2
	v_xor_b32_e32 v7, 1, v0
	s_delay_alu instid0(VALU_DEP_1) | instskip(SKIP_2) | instid1(VALU_DEP_1)
	v_cmp_lt_i32_e32 vcc_lo, v7, v1
	s_waitcnt lgkmcnt(0)
	v_dual_cndmask_b32 v0, v0, v7 :: v_dual_max_f32 v1, v6, v6
	v_dual_max_f32 v1, v2, v1 :: v_dual_lshlrev_b32 v0, 2, v0
	ds_bpermute_b32 v0, v0, v1
	s_waitcnt lgkmcnt(0)
	v_max_f32_e32 v0, v0, v0
	s_delay_alu instid0(VALU_DEP_1) | instskip(NEXT) | instid1(VALU_DEP_1)
	v_max_f32_e32 v0, v1, v0
	v_div_scale_f32 v1, null, s7, s7, v0
	v_div_scale_f32 v7, vcc_lo, v0, s7, v0
	s_delay_alu instid0(VALU_DEP_2) | instskip(SKIP_2) | instid1(VALU_DEP_1)
	v_rcp_f32_e32 v2, v1
	s_waitcnt_depctr 0xfff
	v_fma_f32 v6, -v1, v2, 1.0
	v_fmac_f32_e32 v2, v6, v2
	s_delay_alu instid0(VALU_DEP_1) | instskip(NEXT) | instid1(VALU_DEP_1)
	v_mul_f32_e32 v6, v7, v2
	v_fma_f32 v8, -v1, v6, v7
	s_delay_alu instid0(VALU_DEP_1) | instskip(NEXT) | instid1(VALU_DEP_1)
	v_fmac_f32_e32 v6, v8, v2
	v_fma_f32 v1, -v1, v6, v7
	s_delay_alu instid0(VALU_DEP_1) | instskip(NEXT) | instid1(VALU_DEP_1)
	v_div_fmas_f32 v1, v1, v2, v6
	v_div_fixup_f32 v8, v1, s7, v0
	v_cmpx_eq_u32_e32 0, v10
	s_cbranch_execz .LBB17_24
; %bb.19:
	s_load_b64 s[4:5], s[0:1], 0x10
	s_ashr_i32 s0, s8, 31
	v_mov_b32_e32 v0, 0
	v_or_b32_e32 v1, s0, v13
	s_mov_b32 s1, s8
	s_delay_alu instid0(VALU_DEP_1) | instskip(SKIP_1) | instid1(SALU_CYCLE_1)
	v_cmp_ne_u64_e32 vcc_lo, 0, v[0:1]
                                        ; implicit-def: $vgpr0_vgpr1
	s_and_saveexec_b32 s8, vcc_lo
	s_xor_b32 s8, exec_lo, s8
	s_cbranch_execz .LBB17_21
; %bb.20:
	s_add_u32 s12, s1, s0
	s_mov_b32 s10, s0
	s_mov_b32 s11, s0
	s_addc_u32 s13, s0, s0
	s_delay_alu instid0(SALU_CYCLE_1) | instskip(NEXT) | instid1(SALU_CYCLE_1)
	s_xor_b64 s[12:13], s[12:13], s[10:11]
	v_cvt_f32_u32_e32 v0, s12
	v_cvt_f32_u32_e32 v1, s13
	s_sub_u32 s0, 0, s12
	s_subb_u32 s11, 0, s13
	s_delay_alu instid0(VALU_DEP_1) | instskip(NEXT) | instid1(VALU_DEP_1)
	v_fmamk_f32 v0, v1, 0x4f800000, v0
	v_rcp_f32_e32 v0, v0
	s_waitcnt_depctr 0xfff
	v_mul_f32_e32 v0, 0x5f7ffffc, v0
	s_delay_alu instid0(VALU_DEP_1) | instskip(NEXT) | instid1(VALU_DEP_1)
	v_mul_f32_e32 v1, 0x2f800000, v0
	v_trunc_f32_e32 v1, v1
	s_delay_alu instid0(VALU_DEP_1) | instskip(SKIP_1) | instid1(VALU_DEP_2)
	v_fmamk_f32 v0, v1, 0xcf800000, v0
	v_cvt_u32_f32_e32 v1, v1
	v_cvt_u32_f32_e32 v0, v0
	s_delay_alu instid0(VALU_DEP_2) | instskip(NEXT) | instid1(VALU_DEP_2)
	v_mul_lo_u32 v2, s0, v1
	v_mul_hi_u32 v6, s0, v0
	v_mul_lo_u32 v7, s11, v0
	s_delay_alu instid0(VALU_DEP_2) | instskip(SKIP_1) | instid1(VALU_DEP_2)
	v_add_nc_u32_e32 v2, v6, v2
	v_mul_lo_u32 v6, s0, v0
	v_add_nc_u32_e32 v2, v2, v7
	s_delay_alu instid0(VALU_DEP_2) | instskip(NEXT) | instid1(VALU_DEP_2)
	v_mul_hi_u32 v7, v0, v6
	v_mul_lo_u32 v9, v0, v2
	v_mul_hi_u32 v14, v0, v2
	v_mul_hi_u32 v15, v1, v6
	v_mul_lo_u32 v6, v1, v6
	v_mul_hi_u32 v16, v1, v2
	v_mul_lo_u32 v2, v1, v2
	v_add_co_u32 v7, vcc_lo, v7, v9
	v_add_co_ci_u32_e32 v9, vcc_lo, 0, v14, vcc_lo
	s_delay_alu instid0(VALU_DEP_2) | instskip(NEXT) | instid1(VALU_DEP_2)
	v_add_co_u32 v6, vcc_lo, v7, v6
	v_add_co_ci_u32_e32 v6, vcc_lo, v9, v15, vcc_lo
	v_add_co_ci_u32_e32 v7, vcc_lo, 0, v16, vcc_lo
	s_delay_alu instid0(VALU_DEP_2) | instskip(NEXT) | instid1(VALU_DEP_2)
	v_add_co_u32 v2, vcc_lo, v6, v2
	v_add_co_ci_u32_e32 v6, vcc_lo, 0, v7, vcc_lo
	s_delay_alu instid0(VALU_DEP_2) | instskip(NEXT) | instid1(VALU_DEP_2)
	v_add_co_u32 v0, vcc_lo, v0, v2
	v_add_co_ci_u32_e32 v1, vcc_lo, v1, v6, vcc_lo
	s_delay_alu instid0(VALU_DEP_2) | instskip(SKIP_1) | instid1(VALU_DEP_3)
	v_mul_hi_u32 v2, s0, v0
	v_mul_lo_u32 v7, s11, v0
	v_mul_lo_u32 v6, s0, v1
	s_delay_alu instid0(VALU_DEP_1) | instskip(SKIP_1) | instid1(VALU_DEP_2)
	v_add_nc_u32_e32 v2, v2, v6
	v_mul_lo_u32 v6, s0, v0
	v_add_nc_u32_e32 v2, v2, v7
	s_delay_alu instid0(VALU_DEP_2) | instskip(NEXT) | instid1(VALU_DEP_2)
	v_mul_hi_u32 v7, v0, v6
	v_mul_lo_u32 v9, v0, v2
	v_mul_hi_u32 v14, v0, v2
	v_mul_hi_u32 v15, v1, v6
	v_mul_lo_u32 v6, v1, v6
	v_mul_hi_u32 v16, v1, v2
	v_mul_lo_u32 v2, v1, v2
	v_add_co_u32 v7, vcc_lo, v7, v9
	v_add_co_ci_u32_e32 v9, vcc_lo, 0, v14, vcc_lo
	s_delay_alu instid0(VALU_DEP_2) | instskip(NEXT) | instid1(VALU_DEP_2)
	v_add_co_u32 v6, vcc_lo, v7, v6
	v_add_co_ci_u32_e32 v6, vcc_lo, v9, v15, vcc_lo
	v_add_co_ci_u32_e32 v7, vcc_lo, 0, v16, vcc_lo
	s_delay_alu instid0(VALU_DEP_2) | instskip(NEXT) | instid1(VALU_DEP_2)
	v_add_co_u32 v2, vcc_lo, v6, v2
	v_add_co_ci_u32_e32 v6, vcc_lo, 0, v7, vcc_lo
	s_delay_alu instid0(VALU_DEP_2) | instskip(NEXT) | instid1(VALU_DEP_2)
	v_add_co_u32 v2, vcc_lo, v0, v2
	v_add_co_ci_u32_e32 v9, vcc_lo, v1, v6, vcc_lo
	s_delay_alu instid0(VALU_DEP_2) | instskip(SKIP_1) | instid1(VALU_DEP_3)
	v_mul_hi_u32 v16, v12, v2
	v_mad_u64_u32 v[6:7], null, v13, v2, 0
	v_mad_u64_u32 v[0:1], null, v12, v9, 0
	;; [unrolled: 1-line block ×3, first 2 shown]
	s_delay_alu instid0(VALU_DEP_2) | instskip(NEXT) | instid1(VALU_DEP_3)
	v_add_co_u32 v0, vcc_lo, v16, v0
	v_add_co_ci_u32_e32 v1, vcc_lo, 0, v1, vcc_lo
	s_delay_alu instid0(VALU_DEP_2) | instskip(NEXT) | instid1(VALU_DEP_2)
	v_add_co_u32 v0, vcc_lo, v0, v6
	v_add_co_ci_u32_e32 v0, vcc_lo, v1, v7, vcc_lo
	v_add_co_ci_u32_e32 v1, vcc_lo, 0, v15, vcc_lo
	s_delay_alu instid0(VALU_DEP_2) | instskip(NEXT) | instid1(VALU_DEP_2)
	v_add_co_u32 v2, vcc_lo, v0, v14
	v_add_co_ci_u32_e32 v6, vcc_lo, 0, v1, vcc_lo
	s_delay_alu instid0(VALU_DEP_2) | instskip(SKIP_1) | instid1(VALU_DEP_3)
	v_mul_lo_u32 v7, s13, v2
	v_mad_u64_u32 v[0:1], null, s12, v2, 0
	v_mul_lo_u32 v6, s12, v6
	s_delay_alu instid0(VALU_DEP_2) | instskip(NEXT) | instid1(VALU_DEP_2)
	v_sub_co_u32 v0, vcc_lo, v12, v0
	v_add3_u32 v1, v1, v6, v7
	v_add_co_u32 v7, s0, v2, 2
	s_delay_alu instid0(VALU_DEP_2) | instskip(NEXT) | instid1(VALU_DEP_1)
	v_sub_nc_u32_e32 v6, v13, v1
	v_subrev_co_ci_u32_e64 v6, s0, s13, v6, vcc_lo
	v_sub_co_u32 v9, s0, v0, s12
	v_sub_co_ci_u32_e32 v1, vcc_lo, v13, v1, vcc_lo
	s_delay_alu instid0(VALU_DEP_3) | instskip(NEXT) | instid1(VALU_DEP_3)
	v_subrev_co_ci_u32_e64 v6, s0, 0, v6, s0
	v_cmp_le_u32_e32 vcc_lo, s12, v9
	v_cndmask_b32_e64 v9, 0, -1, vcc_lo
	s_delay_alu instid0(VALU_DEP_3)
	v_cmp_le_u32_e32 vcc_lo, s13, v6
	v_cndmask_b32_e64 v13, 0, -1, vcc_lo
	v_cmp_le_u32_e32 vcc_lo, s12, v0
	v_cndmask_b32_e64 v0, 0, -1, vcc_lo
	;; [unrolled: 2-line block ×3, first 2 shown]
	v_cmp_eq_u32_e32 vcc_lo, s13, v6
	v_cndmask_b32_e32 v6, v13, v9, vcc_lo
	v_add_co_u32 v9, vcc_lo, v2, 1
	v_cmp_eq_u32_e32 vcc_lo, s13, v1
	v_cndmask_b32_e32 v0, v14, v0, vcc_lo
	s_delay_alu instid0(VALU_DEP_4) | instskip(NEXT) | instid1(VALU_DEP_4)
	v_cmp_ne_u32_e32 vcc_lo, 0, v6
	v_cndmask_b32_e32 v1, v9, v7, vcc_lo
	s_delay_alu instid0(VALU_DEP_3) | instskip(NEXT) | instid1(VALU_DEP_2)
	v_cmp_ne_u32_e32 vcc_lo, 0, v0
	v_cndmask_b32_e32 v0, v2, v1, vcc_lo
	s_delay_alu instid0(VALU_DEP_1) | instskip(NEXT) | instid1(VALU_DEP_1)
	v_xor_b32_e32 v0, s10, v0
	v_sub_co_u32 v0, vcc_lo, v0, s10
.LBB17_21:
	s_and_not1_saveexec_b32 s0, s8
	s_cbranch_execz .LBB17_23
; %bb.22:
	v_cvt_f32_u32_e32 v0, s1
	s_sub_i32 s8, 0, s1
	s_delay_alu instid0(VALU_DEP_1) | instskip(SKIP_2) | instid1(VALU_DEP_1)
	v_rcp_iflag_f32_e32 v0, v0
	s_waitcnt_depctr 0xfff
	v_mul_f32_e32 v0, 0x4f7ffffe, v0
	v_cvt_u32_f32_e32 v0, v0
	s_delay_alu instid0(VALU_DEP_1) | instskip(NEXT) | instid1(VALU_DEP_1)
	v_mul_lo_u32 v1, s8, v0
	v_mul_hi_u32 v1, v0, v1
	s_delay_alu instid0(VALU_DEP_1) | instskip(NEXT) | instid1(VALU_DEP_1)
	v_add_nc_u32_e32 v0, v0, v1
	v_mul_hi_u32 v0, v12, v0
	s_delay_alu instid0(VALU_DEP_1) | instskip(SKIP_1) | instid1(VALU_DEP_2)
	v_mul_lo_u32 v1, v0, s1
	v_add_nc_u32_e32 v2, 1, v0
	v_sub_nc_u32_e32 v1, v12, v1
	s_delay_alu instid0(VALU_DEP_1) | instskip(SKIP_1) | instid1(VALU_DEP_2)
	v_subrev_nc_u32_e32 v6, s1, v1
	v_cmp_le_u32_e32 vcc_lo, s1, v1
	v_cndmask_b32_e32 v1, v1, v6, vcc_lo
	v_cndmask_b32_e32 v0, v0, v2, vcc_lo
	s_delay_alu instid0(VALU_DEP_2) | instskip(NEXT) | instid1(VALU_DEP_2)
	v_cmp_le_u32_e32 vcc_lo, s1, v1
	v_add_nc_u32_e32 v2, 1, v0
	s_delay_alu instid0(VALU_DEP_1)
	v_cndmask_b32_e32 v0, v0, v2, vcc_lo
.LBB17_23:
	s_or_b32 exec_lo, exec_lo, s0
	s_delay_alu instid0(VALU_DEP_1) | instskip(NEXT) | instid1(VALU_DEP_1)
	v_mul_lo_u32 v1, v0, s1
	v_sub_nc_u32_e32 v6, v12, v1
	s_delay_alu instid0(VALU_DEP_1) | instskip(NEXT) | instid1(VALU_DEP_1)
	v_mad_u64_u32 v[1:2], null, v6, s9, v[0:1]
	v_ashrrev_i32_e32 v2, 31, v1
	s_delay_alu instid0(VALU_DEP_1) | instskip(SKIP_1) | instid1(VALU_DEP_1)
	v_lshlrev_b64 v[0:1], 2, v[1:2]
	s_waitcnt lgkmcnt(0)
	v_add_co_u32 v0, vcc_lo, s4, v0
	s_delay_alu instid0(VALU_DEP_2)
	v_add_co_ci_u32_e32 v1, vcc_lo, s5, v1, vcc_lo
	global_store_b32 v[0:1], v8, off
.LBB17_24:
	s_or_b32 exec_lo, exec_lo, s16
	v_dual_mov_b32 v1, 0 :: v_dual_and_b32 v0, 15, v3
	s_xor_b32 s0, s15, -1
	s_waitcnt_vscnt null, 0x0
	s_barrier
	buffer_gl0_inv
	v_cmp_ne_u64_e32 vcc_lo, 0, v[0:1]
	s_or_b32 s0, s0, vcc_lo
	s_delay_alu instid0(SALU_CYCLE_1) | instskip(NEXT) | instid1(SALU_CYCLE_1)
	s_and_saveexec_b32 s1, s0
	s_xor_b32 s4, exec_lo, s1
	s_cbranch_execz .LBB17_101
; %bb.25:
	v_sub_nc_u32_e32 v0, 0, v3
	v_add_co_u32 v15, vcc_lo, s2, v4
	v_add_co_ci_u32_e32 v16, vcc_lo, s3, v5, vcc_lo
	s_delay_alu instid0(VALU_DEP_3) | instskip(SKIP_1) | instid1(VALU_DEP_1)
	v_bfe_u32 v0, v0, 1, 3
	s_mov_b32 s0, exec_lo
	v_min_i32_e32 v12, s14, v0
	s_delay_alu instid0(VALU_DEP_1)
	v_cmpx_gt_i32_e64 v12, v10
	s_cbranch_execz .LBB17_33
; %bb.26:
	v_lshl_add_u32 v0, v10, 1, v3
	s_mov_b32 s1, exec_lo
	ds_load_u16 v0, v0
	s_waitcnt lgkmcnt(0)
	v_cvt_f32_f16_e32 v0, v0
	s_delay_alu instid0(VALU_DEP_1) | instskip(SKIP_1) | instid1(VALU_DEP_2)
	v_div_scale_f32 v1, null, v8, v8, v0
	v_div_scale_f32 v6, vcc_lo, v0, v8, v0
	v_rcp_f32_e32 v2, v1
	s_waitcnt_depctr 0xfff
	v_fma_f32 v3, -v1, v2, 1.0
	s_delay_alu instid0(VALU_DEP_1) | instskip(NEXT) | instid1(VALU_DEP_1)
	v_fmac_f32_e32 v2, v3, v2
	v_mul_f32_e32 v3, v6, v2
	s_delay_alu instid0(VALU_DEP_1) | instskip(NEXT) | instid1(VALU_DEP_1)
	v_fma_f32 v7, -v1, v3, v6
	v_fmac_f32_e32 v3, v7, v2
	s_delay_alu instid0(VALU_DEP_1) | instskip(NEXT) | instid1(VALU_DEP_1)
	v_fma_f32 v1, -v1, v3, v6
	v_div_fmas_f32 v1, v1, v2, v3
	v_max_f32_e64 v2, s6, s6
	v_max_f32_e64 v3, s7, s7
	s_delay_alu instid0(VALU_DEP_3) | instskip(SKIP_1) | instid1(VALU_DEP_2)
	v_div_fixup_f32 v0, v1, v8, v0
	v_mov_b32_e32 v1, 0x7f
	v_maxmin_f32 v0, v0, v2, v3
	s_delay_alu instid0(VALU_DEP_1) | instskip(NEXT) | instid1(VALU_DEP_1)
	v_and_b32_e32 v2, 0x7fffffff, v0
	v_cmpx_gt_u32_e32 0x43f00000, v2
	s_cbranch_execz .LBB17_32
; %bb.27:
	s_mov_b32 s5, exec_lo
                                        ; implicit-def: $vgpr1
	v_cmpx_lt_u32_e32 0x3c7fffff, v2
	s_xor_b32 s5, exec_lo, s5
; %bb.28:
	v_bfe_u32 v1, v0, 20, 1
	s_delay_alu instid0(VALU_DEP_1) | instskip(NEXT) | instid1(VALU_DEP_1)
	v_add3_u32 v1, v0, v1, 0x407ffff
	v_lshrrev_b32_e32 v1, 20, v1
; %bb.29:
	s_and_not1_saveexec_b32 s5, s5
; %bb.30:
	v_add_f32_e64 v1, 0x46800000, |v0|
; %bb.31:
	s_or_b32 exec_lo, exec_lo, s5
.LBB17_32:
	s_delay_alu instid0(SALU_CYCLE_1) | instskip(SKIP_3) | instid1(VALU_DEP_3)
	s_or_b32 exec_lo, exec_lo, s1
	v_lshrrev_b32_e32 v0, 24, v0
	v_add_co_u32 v2, vcc_lo, v15, v10
	v_add_co_ci_u32_e32 v3, vcc_lo, 0, v16, vcc_lo
	v_and_or_b32 v0, 0x80, v0, v1
	global_store_b8 v[2:3], v0, off
.LBB17_33:
	s_or_b32 exec_lo, exec_lo, s0
	v_sub_nc_u32_e32 v9, s14, v12
	v_ashrrev_i32_e32 v13, 31, v12
	v_lshlrev_b32_e32 v14, 1, v12
	s_mov_b32 s1, exec_lo
	s_delay_alu instid0(VALU_DEP_3) | instskip(NEXT) | instid1(VALU_DEP_1)
	v_ashrrev_i32_e32 v0, 31, v9
	v_lshrrev_b32_e32 v0, 29, v0
	s_delay_alu instid0(VALU_DEP_1) | instskip(NEXT) | instid1(VALU_DEP_1)
	v_add_nc_u32_e32 v0, v9, v0
	v_ashrrev_i32_e32 v17, 3, v0
	s_delay_alu instid0(VALU_DEP_1)
	v_cmpx_gt_i32_e64 v17, v10
	s_cbranch_execz .LBB17_84
; %bb.34:
	v_dual_mov_b32 v21, v10 :: v_dual_lshlrev_b32 v0, 4, v10
	v_lshlrev_b32_e32 v1, 3, v10
	v_add_co_u32 v2, vcc_lo, v12, v4
	v_add_co_ci_u32_e32 v3, vcc_lo, v13, v5, vcc_lo
	s_delay_alu instid0(VALU_DEP_4) | instskip(SKIP_1) | instid1(VALU_DEP_4)
	v_lshl_add_u32 v0, v11, 1, v0
	v_lshlrev_b32_e32 v6, 1, v12
	v_add_co_u32 v1, vcc_lo, v2, v1
	s_delay_alu instid0(VALU_DEP_4) | instskip(NEXT) | instid1(VALU_DEP_3)
	v_add_co_ci_u32_e32 v2, vcc_lo, 0, v3, vcc_lo
	v_add3_u32 v18, v0, v6, 0
	s_delay_alu instid0(VALU_DEP_3) | instskip(NEXT) | instid1(VALU_DEP_3)
	v_add_co_u32 v6, vcc_lo, s2, v1
	v_add_co_ci_u32_e32 v7, vcc_lo, s3, v2, vcc_lo
	v_max_f32_e64 v19, s6, s6
	v_max_f32_e64 v20, s7, s7
	s_mov_b32 s5, 0
	s_branch .LBB17_37
.LBB17_35:                              ;   in Loop: Header=BB17_37 Depth=1
	s_or_b32 exec_lo, exec_lo, s8
.LBB17_36:                              ;   in Loop: Header=BB17_37 Depth=1
	s_delay_alu instid0(SALU_CYCLE_1)
	s_or_b32 exec_lo, exec_lo, s0
	v_lshrrev_b32_e32 v33, 24, v33
	v_lshrrev_b32_e32 v27, 24, v27
	;; [unrolled: 1-line block ×5, first 2 shown]
	v_and_b32_e32 v33, 0x80, v33
	v_and_b32_e32 v27, 0x80, v27
	v_lshrrev_b32_e32 v30, 24, v30
	v_and_b32_e32 v2, 0x80, v2
	v_lshrrev_b32_e32 v24, 24, v24
	v_and_or_b32 v3, 0x80, v3, v32
	v_and_or_b32 v31, 0xff, v31, v33
	v_and_b32_e32 v0, 0x80, v0
	v_and_or_b32 v26, 0xff, v26, v27
	v_and_b32_e32 v30, 0x80, v30
	v_and_b32_e32 v24, 0x80, v24
	v_lshlrev_b32_e32 v3, 24, v3
	v_lshlrev_b32_e32 v31, 16, v31
	v_and_or_b32 v2, 0xff, v29, v2
	v_lshlrev_b32_e32 v25, 24, v25
	v_and_b32_e32 v1, 0x80000000, v1
	v_and_or_b32 v0, 0xff, v23, v0
	v_lshlrev_b32_e32 v23, 16, v26
	v_or_b32_e32 v3, v3, v31
	v_lshlrev_b32_e32 v2, 8, v2
	v_and_or_b32 v26, 0xff, v28, v30
	v_lshlrev_b32_e32 v0, 8, v0
	v_or3_b32 v23, v25, v1, v23
	v_and_or_b32 v22, 0xff, v22, v24
	v_add_nc_u32_e32 v21, 16, v21
	v_or3_b32 v1, v3, v2, v26
	v_add_nc_u32_e32 v18, 0x100, v18
	s_delay_alu instid0(VALU_DEP_4) | instskip(NEXT) | instid1(VALU_DEP_4)
	v_or3_b32 v0, v23, v0, v22
	v_cmp_ge_i32_e32 vcc_lo, v21, v17
	global_store_b64 v[6:7], v[0:1], off
	v_add_co_u32 v6, s0, 0x80, v6
	s_delay_alu instid0(VALU_DEP_1) | instskip(SKIP_1) | instid1(SALU_CYCLE_1)
	v_add_co_ci_u32_e64 v7, s0, 0, v7, s0
	s_or_b32 s5, vcc_lo, s5
	s_and_not1_b32 exec_lo, exec_lo, s5
	s_cbranch_execz .LBB17_84
.LBB17_37:                              ; =>This Inner Loop Header: Depth=1
	ds_load_b128 v[0:3], v18
	s_mov_b32 s0, exec_lo
	s_waitcnt lgkmcnt(0)
	v_cvt_f32_f16_e32 v22, v0
	s_delay_alu instid0(VALU_DEP_1) | instskip(SKIP_1) | instid1(VALU_DEP_2)
	v_div_scale_f32 v23, null, v8, v8, v22
	v_div_scale_f32 v26, vcc_lo, v22, v8, v22
	v_rcp_f32_e32 v24, v23
	s_waitcnt_depctr 0xfff
	v_fma_f32 v25, -v23, v24, 1.0
	s_delay_alu instid0(VALU_DEP_1) | instskip(NEXT) | instid1(VALU_DEP_1)
	v_fmac_f32_e32 v24, v25, v24
	v_mul_f32_e32 v25, v26, v24
	s_delay_alu instid0(VALU_DEP_1) | instskip(NEXT) | instid1(VALU_DEP_1)
	v_fma_f32 v27, -v23, v25, v26
	v_fmac_f32_e32 v25, v27, v24
	s_delay_alu instid0(VALU_DEP_1) | instskip(NEXT) | instid1(VALU_DEP_1)
	v_fma_f32 v23, -v23, v25, v26
	v_div_fmas_f32 v23, v23, v24, v25
	s_delay_alu instid0(VALU_DEP_1) | instskip(SKIP_1) | instid1(VALU_DEP_2)
	v_div_fixup_f32 v22, v23, v8, v22
	v_mov_b32_e32 v23, 0x7f
	v_maxmin_f32 v24, v22, v19, v20
	v_mov_b32_e32 v22, 0x7f
	s_delay_alu instid0(VALU_DEP_2) | instskip(NEXT) | instid1(VALU_DEP_1)
	v_and_b32_e32 v25, 0x7fffffff, v24
	v_cmpx_gt_u32_e32 0x43f00000, v25
	s_cbranch_execz .LBB17_43
; %bb.38:                               ;   in Loop: Header=BB17_37 Depth=1
	s_mov_b32 s8, exec_lo
                                        ; implicit-def: $vgpr22
	v_cmpx_lt_u32_e32 0x3c7fffff, v25
	s_xor_b32 s8, exec_lo, s8
; %bb.39:                               ;   in Loop: Header=BB17_37 Depth=1
	v_bfe_u32 v22, v24, 20, 1
	s_delay_alu instid0(VALU_DEP_1) | instskip(NEXT) | instid1(VALU_DEP_1)
	v_add3_u32 v22, v24, v22, 0x407ffff
	v_lshrrev_b32_e32 v22, 20, v22
; %bb.40:                               ;   in Loop: Header=BB17_37 Depth=1
	s_and_not1_saveexec_b32 s8, s8
; %bb.41:                               ;   in Loop: Header=BB17_37 Depth=1
	v_add_f32_e64 v22, 0x46800000, |v24|
; %bb.42:                               ;   in Loop: Header=BB17_37 Depth=1
	s_or_b32 exec_lo, exec_lo, s8
.LBB17_43:                              ;   in Loop: Header=BB17_37 Depth=1
	s_delay_alu instid0(SALU_CYCLE_1) | instskip(SKIP_2) | instid1(VALU_DEP_1)
	s_or_b32 exec_lo, exec_lo, s0
	v_lshrrev_b32_e32 v0, 16, v0
	s_mov_b32 s0, exec_lo
	v_cvt_f32_f16_e32 v0, v0
	s_delay_alu instid0(VALU_DEP_1) | instskip(NEXT) | instid1(VALU_DEP_1)
	v_div_scale_f32 v25, null, v8, v8, v0
	v_rcp_f32_e32 v26, v25
	s_waitcnt_depctr 0xfff
	v_fma_f32 v27, -v25, v26, 1.0
	s_delay_alu instid0(VALU_DEP_1) | instskip(SKIP_1) | instid1(VALU_DEP_1)
	v_fmac_f32_e32 v26, v27, v26
	v_div_scale_f32 v27, vcc_lo, v0, v8, v0
	v_mul_f32_e32 v28, v27, v26
	s_delay_alu instid0(VALU_DEP_1) | instskip(NEXT) | instid1(VALU_DEP_1)
	v_fma_f32 v29, -v25, v28, v27
	v_fmac_f32_e32 v28, v29, v26
	s_delay_alu instid0(VALU_DEP_1) | instskip(NEXT) | instid1(VALU_DEP_1)
	v_fma_f32 v25, -v25, v28, v27
	v_div_fmas_f32 v25, v25, v26, v28
	s_delay_alu instid0(VALU_DEP_1) | instskip(NEXT) | instid1(VALU_DEP_1)
	v_div_fixup_f32 v0, v25, v8, v0
	v_maxmin_f32 v0, v0, v19, v20
	s_delay_alu instid0(VALU_DEP_1) | instskip(NEXT) | instid1(VALU_DEP_1)
	v_and_b32_e32 v25, 0x7fffffff, v0
	v_cmpx_gt_u32_e32 0x43f00000, v25
	s_cbranch_execz .LBB17_49
; %bb.44:                               ;   in Loop: Header=BB17_37 Depth=1
	s_mov_b32 s8, exec_lo
                                        ; implicit-def: $vgpr23
	v_cmpx_lt_u32_e32 0x3c7fffff, v25
	s_xor_b32 s8, exec_lo, s8
; %bb.45:                               ;   in Loop: Header=BB17_37 Depth=1
	v_bfe_u32 v23, v0, 20, 1
	s_delay_alu instid0(VALU_DEP_1) | instskip(NEXT) | instid1(VALU_DEP_1)
	v_add3_u32 v23, v0, v23, 0x407ffff
	v_lshrrev_b32_e32 v23, 20, v23
; %bb.46:                               ;   in Loop: Header=BB17_37 Depth=1
	s_and_not1_saveexec_b32 s8, s8
; %bb.47:                               ;   in Loop: Header=BB17_37 Depth=1
	v_add_f32_e64 v23, 0x46800000, |v0|
; %bb.48:                               ;   in Loop: Header=BB17_37 Depth=1
	s_or_b32 exec_lo, exec_lo, s8
.LBB17_49:                              ;   in Loop: Header=BB17_37 Depth=1
	s_delay_alu instid0(SALU_CYCLE_1) | instskip(SKIP_2) | instid1(VALU_DEP_1)
	s_or_b32 exec_lo, exec_lo, s0
	v_cvt_f32_f16_e32 v25, v1
	s_mov_b32 s0, exec_lo
	v_div_scale_f32 v26, null, v8, v8, v25
	v_div_scale_f32 v29, vcc_lo, v25, v8, v25
	s_delay_alu instid0(VALU_DEP_2) | instskip(SKIP_2) | instid1(VALU_DEP_1)
	v_rcp_f32_e32 v27, v26
	s_waitcnt_depctr 0xfff
	v_fma_f32 v28, -v26, v27, 1.0
	v_fmac_f32_e32 v27, v28, v27
	s_delay_alu instid0(VALU_DEP_1) | instskip(NEXT) | instid1(VALU_DEP_1)
	v_mul_f32_e32 v28, v29, v27
	v_fma_f32 v30, -v26, v28, v29
	s_delay_alu instid0(VALU_DEP_1) | instskip(NEXT) | instid1(VALU_DEP_1)
	v_fmac_f32_e32 v28, v30, v27
	v_fma_f32 v26, -v26, v28, v29
	s_delay_alu instid0(VALU_DEP_1) | instskip(NEXT) | instid1(VALU_DEP_1)
	v_div_fmas_f32 v26, v26, v27, v28
	v_div_fixup_f32 v25, v26, v8, v25
	v_mov_b32_e32 v26, 0x7f
	s_delay_alu instid0(VALU_DEP_2) | instskip(SKIP_1) | instid1(VALU_DEP_2)
	v_maxmin_f32 v27, v25, v19, v20
	v_mov_b32_e32 v25, 0x7f
	v_and_b32_e32 v28, 0x7fffffff, v27
	s_delay_alu instid0(VALU_DEP_1)
	v_cmpx_gt_u32_e32 0x43f00000, v28
	s_cbranch_execz .LBB17_55
; %bb.50:                               ;   in Loop: Header=BB17_37 Depth=1
	s_mov_b32 s8, exec_lo
                                        ; implicit-def: $vgpr26
	v_cmpx_lt_u32_e32 0x3c7fffff, v28
	s_xor_b32 s8, exec_lo, s8
; %bb.51:                               ;   in Loop: Header=BB17_37 Depth=1
	v_bfe_u32 v26, v27, 20, 1
	s_delay_alu instid0(VALU_DEP_1) | instskip(NEXT) | instid1(VALU_DEP_1)
	v_add3_u32 v26, v27, v26, 0x407ffff
	v_lshrrev_b32_e32 v26, 20, v26
; %bb.52:                               ;   in Loop: Header=BB17_37 Depth=1
	s_and_not1_saveexec_b32 s8, s8
; %bb.53:                               ;   in Loop: Header=BB17_37 Depth=1
	v_add_f32_e64 v26, 0x46800000, |v27|
; %bb.54:                               ;   in Loop: Header=BB17_37 Depth=1
	s_or_b32 exec_lo, exec_lo, s8
.LBB17_55:                              ;   in Loop: Header=BB17_37 Depth=1
	s_delay_alu instid0(SALU_CYCLE_1) | instskip(SKIP_2) | instid1(VALU_DEP_1)
	s_or_b32 exec_lo, exec_lo, s0
	v_lshrrev_b32_e32 v1, 16, v1
	s_mov_b32 s0, exec_lo
	v_cvt_f32_f16_e32 v1, v1
	s_delay_alu instid0(VALU_DEP_1) | instskip(NEXT) | instid1(VALU_DEP_1)
	v_div_scale_f32 v28, null, v8, v8, v1
	v_rcp_f32_e32 v29, v28
	s_waitcnt_depctr 0xfff
	v_fma_f32 v30, -v28, v29, 1.0
	s_delay_alu instid0(VALU_DEP_1) | instskip(SKIP_1) | instid1(VALU_DEP_1)
	v_fmac_f32_e32 v29, v30, v29
	v_div_scale_f32 v30, vcc_lo, v1, v8, v1
	v_mul_f32_e32 v31, v30, v29
	s_delay_alu instid0(VALU_DEP_1) | instskip(NEXT) | instid1(VALU_DEP_1)
	v_fma_f32 v32, -v28, v31, v30
	v_fmac_f32_e32 v31, v32, v29
	s_delay_alu instid0(VALU_DEP_1) | instskip(NEXT) | instid1(VALU_DEP_1)
	v_fma_f32 v28, -v28, v31, v30
	v_div_fmas_f32 v28, v28, v29, v31
	s_delay_alu instid0(VALU_DEP_1) | instskip(NEXT) | instid1(VALU_DEP_1)
	v_div_fixup_f32 v1, v28, v8, v1
	v_maxmin_f32 v1, v1, v19, v20
	s_delay_alu instid0(VALU_DEP_1) | instskip(NEXT) | instid1(VALU_DEP_1)
	v_and_b32_e32 v28, 0x7fffffff, v1
	v_cmpx_gt_u32_e32 0x43f00000, v28
	s_cbranch_execz .LBB17_61
; %bb.56:                               ;   in Loop: Header=BB17_37 Depth=1
	s_mov_b32 s8, exec_lo
                                        ; implicit-def: $vgpr25
	v_cmpx_lt_u32_e32 0x3c7fffff, v28
	s_xor_b32 s8, exec_lo, s8
; %bb.57:                               ;   in Loop: Header=BB17_37 Depth=1
	v_bfe_u32 v25, v1, 20, 1
	s_delay_alu instid0(VALU_DEP_1) | instskip(NEXT) | instid1(VALU_DEP_1)
	v_add3_u32 v25, v1, v25, 0x407ffff
	v_lshrrev_b32_e32 v25, 20, v25
; %bb.58:                               ;   in Loop: Header=BB17_37 Depth=1
	s_and_not1_saveexec_b32 s8, s8
; %bb.59:                               ;   in Loop: Header=BB17_37 Depth=1
	v_add_f32_e64 v25, 0x46800000, |v1|
; %bb.60:                               ;   in Loop: Header=BB17_37 Depth=1
	s_or_b32 exec_lo, exec_lo, s8
.LBB17_61:                              ;   in Loop: Header=BB17_37 Depth=1
	s_delay_alu instid0(SALU_CYCLE_1) | instskip(SKIP_2) | instid1(VALU_DEP_1)
	s_or_b32 exec_lo, exec_lo, s0
	v_cvt_f32_f16_e32 v28, v2
	s_mov_b32 s0, exec_lo
	v_div_scale_f32 v29, null, v8, v8, v28
	v_div_scale_f32 v32, vcc_lo, v28, v8, v28
	s_delay_alu instid0(VALU_DEP_2) | instskip(SKIP_2) | instid1(VALU_DEP_1)
	v_rcp_f32_e32 v30, v29
	s_waitcnt_depctr 0xfff
	v_fma_f32 v31, -v29, v30, 1.0
	v_fmac_f32_e32 v30, v31, v30
	s_delay_alu instid0(VALU_DEP_1) | instskip(NEXT) | instid1(VALU_DEP_1)
	v_mul_f32_e32 v31, v32, v30
	v_fma_f32 v33, -v29, v31, v32
	s_delay_alu instid0(VALU_DEP_1) | instskip(NEXT) | instid1(VALU_DEP_1)
	v_fmac_f32_e32 v31, v33, v30
	v_fma_f32 v29, -v29, v31, v32
	s_delay_alu instid0(VALU_DEP_1) | instskip(NEXT) | instid1(VALU_DEP_1)
	v_div_fmas_f32 v29, v29, v30, v31
	v_div_fixup_f32 v28, v29, v8, v28
	v_mov_b32_e32 v29, 0x7f
	s_delay_alu instid0(VALU_DEP_2) | instskip(SKIP_1) | instid1(VALU_DEP_2)
	v_maxmin_f32 v30, v28, v19, v20
	v_mov_b32_e32 v28, 0x7f
	v_and_b32_e32 v31, 0x7fffffff, v30
	s_delay_alu instid0(VALU_DEP_1)
	v_cmpx_gt_u32_e32 0x43f00000, v31
	s_cbranch_execz .LBB17_67
; %bb.62:                               ;   in Loop: Header=BB17_37 Depth=1
	s_mov_b32 s8, exec_lo
                                        ; implicit-def: $vgpr28
	v_cmpx_lt_u32_e32 0x3c7fffff, v31
	s_xor_b32 s8, exec_lo, s8
; %bb.63:                               ;   in Loop: Header=BB17_37 Depth=1
	v_bfe_u32 v28, v30, 20, 1
	s_delay_alu instid0(VALU_DEP_1) | instskip(NEXT) | instid1(VALU_DEP_1)
	v_add3_u32 v28, v30, v28, 0x407ffff
	v_lshrrev_b32_e32 v28, 20, v28
; %bb.64:                               ;   in Loop: Header=BB17_37 Depth=1
	s_and_not1_saveexec_b32 s8, s8
; %bb.65:                               ;   in Loop: Header=BB17_37 Depth=1
	v_add_f32_e64 v28, 0x46800000, |v30|
; %bb.66:                               ;   in Loop: Header=BB17_37 Depth=1
	s_or_b32 exec_lo, exec_lo, s8
.LBB17_67:                              ;   in Loop: Header=BB17_37 Depth=1
	s_delay_alu instid0(SALU_CYCLE_1) | instskip(SKIP_2) | instid1(VALU_DEP_1)
	s_or_b32 exec_lo, exec_lo, s0
	v_lshrrev_b32_e32 v2, 16, v2
	s_mov_b32 s0, exec_lo
	v_cvt_f32_f16_e32 v2, v2
	s_delay_alu instid0(VALU_DEP_1) | instskip(NEXT) | instid1(VALU_DEP_1)
	v_div_scale_f32 v31, null, v8, v8, v2
	v_rcp_f32_e32 v32, v31
	s_waitcnt_depctr 0xfff
	v_fma_f32 v33, -v31, v32, 1.0
	s_delay_alu instid0(VALU_DEP_1) | instskip(SKIP_1) | instid1(VALU_DEP_1)
	v_fmac_f32_e32 v32, v33, v32
	v_div_scale_f32 v33, vcc_lo, v2, v8, v2
	v_mul_f32_e32 v34, v33, v32
	s_delay_alu instid0(VALU_DEP_1) | instskip(NEXT) | instid1(VALU_DEP_1)
	v_fma_f32 v35, -v31, v34, v33
	v_fmac_f32_e32 v34, v35, v32
	s_delay_alu instid0(VALU_DEP_1) | instskip(NEXT) | instid1(VALU_DEP_1)
	v_fma_f32 v31, -v31, v34, v33
	v_div_fmas_f32 v31, v31, v32, v34
	s_delay_alu instid0(VALU_DEP_1) | instskip(NEXT) | instid1(VALU_DEP_1)
	v_div_fixup_f32 v2, v31, v8, v2
	v_maxmin_f32 v2, v2, v19, v20
	s_delay_alu instid0(VALU_DEP_1) | instskip(NEXT) | instid1(VALU_DEP_1)
	v_and_b32_e32 v31, 0x7fffffff, v2
	v_cmpx_gt_u32_e32 0x43f00000, v31
	s_cbranch_execz .LBB17_73
; %bb.68:                               ;   in Loop: Header=BB17_37 Depth=1
	s_mov_b32 s8, exec_lo
                                        ; implicit-def: $vgpr29
	v_cmpx_lt_u32_e32 0x3c7fffff, v31
	s_xor_b32 s8, exec_lo, s8
; %bb.69:                               ;   in Loop: Header=BB17_37 Depth=1
	v_bfe_u32 v29, v2, 20, 1
	s_delay_alu instid0(VALU_DEP_1) | instskip(NEXT) | instid1(VALU_DEP_1)
	v_add3_u32 v29, v2, v29, 0x407ffff
	v_lshrrev_b32_e32 v29, 20, v29
; %bb.70:                               ;   in Loop: Header=BB17_37 Depth=1
	s_and_not1_saveexec_b32 s8, s8
; %bb.71:                               ;   in Loop: Header=BB17_37 Depth=1
	v_add_f32_e64 v29, 0x46800000, |v2|
; %bb.72:                               ;   in Loop: Header=BB17_37 Depth=1
	s_or_b32 exec_lo, exec_lo, s8
.LBB17_73:                              ;   in Loop: Header=BB17_37 Depth=1
	s_delay_alu instid0(SALU_CYCLE_1) | instskip(SKIP_2) | instid1(VALU_DEP_1)
	s_or_b32 exec_lo, exec_lo, s0
	v_cvt_f32_f16_e32 v31, v3
	s_mov_b32 s0, exec_lo
	v_div_scale_f32 v32, null, v8, v8, v31
	v_div_scale_f32 v35, vcc_lo, v31, v8, v31
	s_delay_alu instid0(VALU_DEP_2) | instskip(SKIP_2) | instid1(VALU_DEP_1)
	v_rcp_f32_e32 v33, v32
	s_waitcnt_depctr 0xfff
	v_fma_f32 v34, -v32, v33, 1.0
	v_fmac_f32_e32 v33, v34, v33
	s_delay_alu instid0(VALU_DEP_1) | instskip(NEXT) | instid1(VALU_DEP_1)
	v_mul_f32_e32 v34, v35, v33
	v_fma_f32 v36, -v32, v34, v35
	s_delay_alu instid0(VALU_DEP_1) | instskip(NEXT) | instid1(VALU_DEP_1)
	v_fmac_f32_e32 v34, v36, v33
	v_fma_f32 v32, -v32, v34, v35
	s_delay_alu instid0(VALU_DEP_1) | instskip(NEXT) | instid1(VALU_DEP_1)
	v_div_fmas_f32 v32, v32, v33, v34
	v_div_fixup_f32 v31, v32, v8, v31
	v_mov_b32_e32 v32, 0x7f
	s_delay_alu instid0(VALU_DEP_2) | instskip(SKIP_1) | instid1(VALU_DEP_2)
	v_maxmin_f32 v33, v31, v19, v20
	v_mov_b32_e32 v31, 0x7f
	v_and_b32_e32 v34, 0x7fffffff, v33
	s_delay_alu instid0(VALU_DEP_1)
	v_cmpx_gt_u32_e32 0x43f00000, v34
	s_cbranch_execz .LBB17_79
; %bb.74:                               ;   in Loop: Header=BB17_37 Depth=1
	s_mov_b32 s8, exec_lo
                                        ; implicit-def: $vgpr31
	v_cmpx_lt_u32_e32 0x3c7fffff, v34
	s_xor_b32 s8, exec_lo, s8
; %bb.75:                               ;   in Loop: Header=BB17_37 Depth=1
	v_bfe_u32 v31, v33, 20, 1
	s_delay_alu instid0(VALU_DEP_1) | instskip(NEXT) | instid1(VALU_DEP_1)
	v_add3_u32 v31, v33, v31, 0x407ffff
	v_lshrrev_b32_e32 v31, 20, v31
; %bb.76:                               ;   in Loop: Header=BB17_37 Depth=1
	s_and_not1_saveexec_b32 s8, s8
; %bb.77:                               ;   in Loop: Header=BB17_37 Depth=1
	v_add_f32_e64 v31, 0x46800000, |v33|
; %bb.78:                               ;   in Loop: Header=BB17_37 Depth=1
	s_or_b32 exec_lo, exec_lo, s8
.LBB17_79:                              ;   in Loop: Header=BB17_37 Depth=1
	s_delay_alu instid0(SALU_CYCLE_1) | instskip(SKIP_2) | instid1(VALU_DEP_1)
	s_or_b32 exec_lo, exec_lo, s0
	v_lshrrev_b32_e32 v3, 16, v3
	s_mov_b32 s0, exec_lo
	v_cvt_f32_f16_e32 v3, v3
	s_delay_alu instid0(VALU_DEP_1) | instskip(NEXT) | instid1(VALU_DEP_1)
	v_div_scale_f32 v34, null, v8, v8, v3
	v_rcp_f32_e32 v35, v34
	s_waitcnt_depctr 0xfff
	v_fma_f32 v36, -v34, v35, 1.0
	s_delay_alu instid0(VALU_DEP_1) | instskip(SKIP_1) | instid1(VALU_DEP_1)
	v_fmac_f32_e32 v35, v36, v35
	v_div_scale_f32 v36, vcc_lo, v3, v8, v3
	v_mul_f32_e32 v37, v36, v35
	s_delay_alu instid0(VALU_DEP_1) | instskip(NEXT) | instid1(VALU_DEP_1)
	v_fma_f32 v38, -v34, v37, v36
	v_fmac_f32_e32 v37, v38, v35
	s_delay_alu instid0(VALU_DEP_1) | instskip(NEXT) | instid1(VALU_DEP_1)
	v_fma_f32 v34, -v34, v37, v36
	v_div_fmas_f32 v34, v34, v35, v37
	s_delay_alu instid0(VALU_DEP_1) | instskip(NEXT) | instid1(VALU_DEP_1)
	v_div_fixup_f32 v3, v34, v8, v3
	v_maxmin_f32 v3, v3, v19, v20
	s_delay_alu instid0(VALU_DEP_1) | instskip(NEXT) | instid1(VALU_DEP_1)
	v_and_b32_e32 v34, 0x7fffffff, v3
	v_cmpx_gt_u32_e32 0x43f00000, v34
	s_cbranch_execz .LBB17_36
; %bb.80:                               ;   in Loop: Header=BB17_37 Depth=1
	s_mov_b32 s8, exec_lo
                                        ; implicit-def: $vgpr32
	v_cmpx_lt_u32_e32 0x3c7fffff, v34
	s_xor_b32 s8, exec_lo, s8
; %bb.81:                               ;   in Loop: Header=BB17_37 Depth=1
	v_bfe_u32 v32, v3, 20, 1
	s_delay_alu instid0(VALU_DEP_1) | instskip(NEXT) | instid1(VALU_DEP_1)
	v_add3_u32 v32, v3, v32, 0x407ffff
	v_lshrrev_b32_e32 v32, 20, v32
; %bb.82:                               ;   in Loop: Header=BB17_37 Depth=1
	s_and_not1_saveexec_b32 s8, s8
	s_cbranch_execz .LBB17_35
; %bb.83:                               ;   in Loop: Header=BB17_37 Depth=1
	v_add_f32_e64 v32, 0x46800000, |v3|
	s_branch .LBB17_35
.LBB17_84:
	s_or_b32 exec_lo, exec_lo, s1
	v_lshlrev_b32_e32 v2, 3, v17
	s_mov_b32 s5, exec_lo
	s_delay_alu instid0(VALU_DEP_1) | instskip(NEXT) | instid1(VALU_DEP_1)
	v_add_nc_u32_e32 v0, v2, v10
	v_cmpx_lt_i32_e64 v0, v9
	s_cbranch_execz .LBB17_100
; %bb.85:
	v_add_nc_u32_e32 v1, 16, v0
	s_mov_b32 s0, 0
	s_mov_b32 s1, exec_lo
	s_delay_alu instid0(VALU_DEP_1) | instskip(NEXT) | instid1(VALU_DEP_1)
	v_max_i32_e32 v3, v1, v9
	v_xad_u32 v3, v10, -1, v3
	s_delay_alu instid0(VALU_DEP_1) | instskip(NEXT) | instid1(VALU_DEP_1)
	v_sub_nc_u32_e32 v2, v3, v2
                                        ; implicit-def: $vgpr3
	v_cmpx_lt_u32_e32 15, v2
	s_xor_b32 s8, exec_lo, s1
	s_cbranch_execnz .LBB17_88
; %bb.86:
	s_and_not1_saveexec_b32 s1, s8
	s_cbranch_execnz .LBB17_91
.LBB17_87:
	s_or_b32 exec_lo, exec_lo, s1
	s_delay_alu instid0(SALU_CYCLE_1)
	s_and_b32 exec_lo, exec_lo, s0
	s_cbranch_execnz .LBB17_92
	s_branch .LBB17_100
.LBB17_88:
	v_lshrrev_b32_e32 v2, 4, v2
	v_lshlrev_b32_e32 v3, 1, v11
	v_lshlrev_b32_e32 v17, 4, v17
	v_add_co_u32 v11, vcc_lo, v15, v12
	s_delay_alu instid0(VALU_DEP_4) | instskip(SKIP_3) | instid1(VALU_DEP_4)
	v_add_nc_u32_e32 v6, 1, v2
	v_add_co_ci_u32_e32 v15, vcc_lo, v16, v13, vcc_lo
	v_mov_b32_e32 v16, v8
	v_lshlrev_b32_e32 v10, 1, v10
	v_and_b32_e32 v7, 0x1ffffffe, v6
	v_lshlrev_b32_e32 v14, 1, v12
	s_mov_b32 s0, s6
	s_mov_b32 s1, s6
	;; [unrolled: 1-line block ×3, first 2 shown]
	v_mov_b32_e32 v21, v7
	v_add3_u32 v2, v3, v17, v14
	s_mov_b32 s10, s7
	v_max_f32_e64 v17, s0, s0
	v_max_f32_e64 v18, s1, s1
	;; [unrolled: 1-line block ×3, first 2 shown]
	v_add3_u32 v10, v2, v10, 0
	v_mov_b32_e32 v2, v1
	v_max_f32_e64 v20, s9, s9
	v_mov_b32_e32 v1, v0
	s_mov_b32 s9, 0
.LBB17_89:                              ; =>This Inner Loop Header: Depth=1
	ds_load_u16 v22, v10
	ds_load_u16 v23, v10 offset:32
	v_ashrrev_i32_e32 v25, 31, v2
	v_ashrrev_i32_e32 v26, 31, v1
	v_add_nc_u32_e32 v10, 64, v10
	v_add_nc_u32_e32 v21, -2, v21
	s_waitcnt lgkmcnt(1)
	v_cvt_f32_f16_e32 v27, v22
	s_waitcnt lgkmcnt(0)
	v_cvt_f32_f16_e32 v23, v23
	s_delay_alu instid0(VALU_DEP_2) | instskip(NEXT) | instid1(VALU_DEP_2)
	v_div_scale_f32 v22, null, v8, v8, v27
	v_div_scale_f32 v28, null, v16, v16, v23
	v_div_scale_f32 v31, vcc_lo, v27, v8, v27
	s_delay_alu instid0(VALU_DEP_3) | instskip(NEXT) | instid1(VALU_DEP_2)
	v_rcp_f32_e32 v29, v22
	v_rcp_f32_e32 v30, v28
	v_div_scale_f32 v32, s0, v23, v16, v23
	s_waitcnt_depctr 0xfff
	v_fma_f32 v33, -v22, v29, 1.0
	v_mov_b32_e32 v24, v2
	v_fma_f32 v34, -v28, v30, 1.0
	s_delay_alu instid0(VALU_DEP_3) | instskip(NEXT) | instid1(VALU_DEP_1)
	v_dual_fmac_f32 v29, v33, v29 :: v_dual_add_nc_u32 v2, 32, v2
	v_mul_f32_e32 v33, v31, v29
	s_delay_alu instid0(VALU_DEP_1) | instskip(NEXT) | instid1(VALU_DEP_1)
	v_fma_f32 v35, -v22, v33, v31
	v_dual_fmac_f32 v30, v34, v30 :: v_dual_fmac_f32 v33, v35, v29
	s_delay_alu instid0(VALU_DEP_1) | instskip(NEXT) | instid1(VALU_DEP_2)
	v_mul_f32_e32 v34, v32, v30
	v_fma_f32 v22, -v22, v33, v31
	s_delay_alu instid0(VALU_DEP_2) | instskip(NEXT) | instid1(VALU_DEP_2)
	v_fma_f32 v36, -v28, v34, v32
	v_div_fmas_f32 v29, v22, v29, v33
	s_delay_alu instid0(VALU_DEP_2) | instskip(SKIP_1) | instid1(VALU_DEP_2)
	v_fmac_f32_e32 v34, v36, v30
	s_mov_b32 vcc_lo, s0
	v_div_fixup_f32 v27, v29, v8, v27
	s_delay_alu instid0(VALU_DEP_2) | instskip(NEXT) | instid1(VALU_DEP_2)
	v_fma_f32 v28, -v28, v34, v32
	v_maxmin_f32 v27, v27, v17, v20
	s_delay_alu instid0(VALU_DEP_2) | instskip(SKIP_2) | instid1(VALU_DEP_4)
	v_div_fmas_f32 v28, v28, v30, v34
	v_add_co_u32 v22, vcc_lo, v11, v1
	v_add_nc_u32_e32 v1, 32, v1
	v_and_b32_e32 v30, 0x7fffffff, v27
	s_delay_alu instid0(VALU_DEP_4) | instskip(SKIP_1) | instid1(VALU_DEP_3)
	v_div_fixup_f32 v23, v28, v16, v23
	v_add_f32_e64 v31, 0x46800000, |v27|
	v_add_nc_u32_e32 v34, 0xc3800000, v30
	s_delay_alu instid0(VALU_DEP_3) | instskip(SKIP_2) | instid1(VALU_DEP_4)
	v_maxmin_f32 v28, v23, v18, v19
	v_add_co_ci_u32_e32 v23, vcc_lo, v15, v26, vcc_lo
	v_bfe_u32 v26, v27, 20, 1
	v_cmp_gt_u32_e64 s0, 0x7700000, v34
	s_delay_alu instid0(VALU_DEP_4)
	v_bfe_u32 v29, v28, 20, 1
	v_and_b32_e32 v32, 0x7fffffff, v28
	v_add_f32_e64 v33, 0x46800000, |v28|
	v_add3_u32 v26, v27, v26, 0x407ffff
	v_add_co_u32 v24, vcc_lo, v11, v24
	v_add3_u32 v29, v28, v29, 0x407ffff
	v_add_nc_u32_e32 v35, 0xc3800000, v32
	s_delay_alu instid0(VALU_DEP_4)
	v_lshrrev_b32_e32 v26, 20, v26
	v_lshrrev_b32_e32 v27, 24, v27
	;; [unrolled: 1-line block ×4, first 2 shown]
	v_cmp_gt_u32_e64 s1, 0x7700000, v35
	v_cndmask_b32_e64 v26, v31, v26, s0
	v_cmp_gt_u32_e64 s0, 0x43f00000, v30
	v_add_co_ci_u32_e32 v25, vcc_lo, v15, v25, vcc_lo
	s_delay_alu instid0(VALU_DEP_4) | instskip(SKIP_1) | instid1(VALU_DEP_4)
	v_cndmask_b32_e64 v29, v33, v29, s1
	v_cmp_gt_u32_e64 s1, 0x43f00000, v32
	v_cndmask_b32_e64 v26, 0x7f, v26, s0
	v_cmp_eq_u32_e32 vcc_lo, 0, v21
	s_delay_alu instid0(VALU_DEP_3) | instskip(NEXT) | instid1(VALU_DEP_3)
	v_cndmask_b32_e64 v29, 0x7f, v29, s1
	v_and_or_b32 v26, 0x80, v27, v26
	s_or_b32 s9, vcc_lo, s9
	s_delay_alu instid0(VALU_DEP_2)
	v_and_or_b32 v27, 0x80, v28, v29
	s_clause 0x1
	global_store_b8 v[22:23], v26, off
	global_store_b8 v[24:25], v27, off
	s_and_not1_b32 exec_lo, exec_lo, s9
	s_cbranch_execnz .LBB17_89
; %bb.90:
	s_or_b32 exec_lo, exec_lo, s9
	v_cmp_ne_u32_e32 vcc_lo, v6, v7
	v_lshl_add_u32 v0, v7, 4, v0
                                        ; implicit-def: $vgpr11
	s_and_b32 s0, vcc_lo, exec_lo
	s_and_not1_saveexec_b32 s1, s8
	s_cbranch_execz .LBB17_87
.LBB17_91:
	v_lshlrev_b32_e32 v3, 1, v11
	s_or_b32 s0, s0, exec_lo
	s_or_b32 exec_lo, exec_lo, s1
	s_delay_alu instid0(SALU_CYCLE_1)
	s_and_b32 exec_lo, exec_lo, s0
	s_cbranch_execz .LBB17_100
.LBB17_92:
	v_add_co_u32 v1, vcc_lo, v12, v4
	v_add_co_ci_u32_e32 v2, vcc_lo, v13, v5, vcc_lo
	v_ashrrev_i32_e32 v4, 31, v0
	s_delay_alu instid0(VALU_DEP_3) | instskip(SKIP_2) | instid1(VALU_DEP_4)
	v_add_co_u32 v1, vcc_lo, v1, v0
	v_lshl_add_u32 v3, v0, 1, v3
	v_max_f32_e64 v5, s7, s7
	v_add_co_ci_u32_e32 v2, vcc_lo, v2, v4, vcc_lo
	s_delay_alu instid0(VALU_DEP_4) | instskip(NEXT) | instid1(VALU_DEP_4)
	v_add_co_u32 v1, vcc_lo, s2, v1
	v_add3_u32 v3, v3, v14, 0
	s_delay_alu instid0(VALU_DEP_3)
	v_add_co_ci_u32_e32 v2, vcc_lo, s3, v2, vcc_lo
	v_max_f32_e64 v4, s6, s6
	s_mov_b32 s1, 0
	s_branch .LBB17_95
.LBB17_93:                              ;   in Loop: Header=BB17_95 Depth=1
	s_or_b32 exec_lo, exec_lo, s8
.LBB17_94:                              ;   in Loop: Header=BB17_95 Depth=1
	s_delay_alu instid0(SALU_CYCLE_1) | instskip(SKIP_3) | instid1(VALU_DEP_3)
	s_or_b32 exec_lo, exec_lo, s0
	v_lshrrev_b32_e32 v6, 24, v6
	v_add_nc_u32_e32 v0, 16, v0
	v_add_nc_u32_e32 v3, 32, v3
	v_and_or_b32 v6, 0x80, v6, v7
	s_delay_alu instid0(VALU_DEP_3) | instskip(SKIP_2) | instid1(VALU_DEP_1)
	v_cmp_ge_i32_e32 vcc_lo, v0, v9
	global_store_b8 v[1:2], v6, off
	v_add_co_u32 v1, s0, v1, 16
	v_add_co_ci_u32_e64 v2, s0, 0, v2, s0
	s_or_b32 s1, vcc_lo, s1
	s_delay_alu instid0(SALU_CYCLE_1)
	s_and_not1_b32 exec_lo, exec_lo, s1
	s_cbranch_execz .LBB17_100
.LBB17_95:                              ; =>This Inner Loop Header: Depth=1
	ds_load_u16 v6, v3
	s_mov_b32 s0, exec_lo
	s_waitcnt lgkmcnt(0)
	v_cvt_f32_f16_e32 v6, v6
	s_delay_alu instid0(VALU_DEP_1) | instskip(SKIP_1) | instid1(VALU_DEP_2)
	v_div_scale_f32 v7, null, v8, v8, v6
	v_div_scale_f32 v12, vcc_lo, v6, v8, v6
	v_rcp_f32_e32 v10, v7
	s_waitcnt_depctr 0xfff
	v_fma_f32 v11, -v7, v10, 1.0
	s_delay_alu instid0(VALU_DEP_1) | instskip(NEXT) | instid1(VALU_DEP_1)
	v_fmac_f32_e32 v10, v11, v10
	v_mul_f32_e32 v11, v12, v10
	s_delay_alu instid0(VALU_DEP_1) | instskip(NEXT) | instid1(VALU_DEP_1)
	v_fma_f32 v13, -v7, v11, v12
	v_fmac_f32_e32 v11, v13, v10
	s_delay_alu instid0(VALU_DEP_1) | instskip(NEXT) | instid1(VALU_DEP_1)
	v_fma_f32 v7, -v7, v11, v12
	v_div_fmas_f32 v7, v7, v10, v11
	s_delay_alu instid0(VALU_DEP_1) | instskip(SKIP_1) | instid1(VALU_DEP_2)
	v_div_fixup_f32 v6, v7, v8, v6
	v_mov_b32_e32 v7, 0x7f
	v_maxmin_f32 v6, v6, v4, v5
	s_delay_alu instid0(VALU_DEP_1) | instskip(NEXT) | instid1(VALU_DEP_1)
	v_and_b32_e32 v10, 0x7fffffff, v6
	v_cmpx_gt_u32_e32 0x43f00000, v10
	s_cbranch_execz .LBB17_94
; %bb.96:                               ;   in Loop: Header=BB17_95 Depth=1
	s_mov_b32 s8, exec_lo
                                        ; implicit-def: $vgpr7
	v_cmpx_lt_u32_e32 0x3c7fffff, v10
	s_xor_b32 s8, exec_lo, s8
; %bb.97:                               ;   in Loop: Header=BB17_95 Depth=1
	v_bfe_u32 v7, v6, 20, 1
	s_delay_alu instid0(VALU_DEP_1) | instskip(NEXT) | instid1(VALU_DEP_1)
	v_add3_u32 v7, v6, v7, 0x407ffff
	v_lshrrev_b32_e32 v7, 20, v7
; %bb.98:                               ;   in Loop: Header=BB17_95 Depth=1
	s_and_not1_saveexec_b32 s8, s8
	s_cbranch_execz .LBB17_93
; %bb.99:                               ;   in Loop: Header=BB17_95 Depth=1
	v_add_f32_e64 v7, 0x46800000, |v6|
	s_branch .LBB17_93
.LBB17_100:
	s_or_b32 exec_lo, exec_lo, s5
                                        ; implicit-def: $vgpr10
                                        ; implicit-def: $vgpr8
                                        ; implicit-def: $vgpr11
                                        ; implicit-def: $vgpr4_vgpr5
.LBB17_101:
	s_and_not1_saveexec_b32 s0, s4
	s_cbranch_execz .LBB17_153
; %bb.102:
	s_ashr_i32 s1, s14, 3
	s_mov_b32 s0, exec_lo
	v_cmpx_gt_i32_e64 s1, v10
	s_cbranch_execz .LBB17_153
; %bb.103:
	v_lshlrev_b32_e32 v0, 3, v10
	v_lshlrev_b32_e32 v1, 1, v11
	;; [unrolled: 1-line block ×3, first 2 shown]
	v_max_f32_e64 v7, s6, s6
	v_max_f32_e64 v9, s7, s7
	v_add_co_u32 v0, vcc_lo, v4, v0
	v_add_co_ci_u32_e32 v3, vcc_lo, 0, v5, vcc_lo
	v_add3_u32 v6, v1, v2, 0
	s_delay_alu instid0(VALU_DEP_3) | instskip(NEXT) | instid1(VALU_DEP_3)
	v_add_co_u32 v4, vcc_lo, s2, v0
	v_add_co_ci_u32_e32 v5, vcc_lo, s3, v3, vcc_lo
	s_mov_b32 s2, 0
	s_branch .LBB17_106
.LBB17_104:                             ;   in Loop: Header=BB17_106 Depth=1
	s_or_b32 exec_lo, exec_lo, s3
.LBB17_105:                             ;   in Loop: Header=BB17_106 Depth=1
	s_delay_alu instid0(SALU_CYCLE_1)
	s_or_b32 exec_lo, exec_lo, s0
	v_lshrrev_b32_e32 v22, 24, v22
	v_lshrrev_b32_e32 v16, 24, v16
	;; [unrolled: 1-line block ×5, first 2 shown]
	v_and_b32_e32 v22, 0x80, v22
	v_and_b32_e32 v16, 0x80, v16
	v_lshrrev_b32_e32 v19, 24, v19
	v_and_b32_e32 v2, 0x80, v2
	v_lshrrev_b32_e32 v13, 24, v13
	v_and_or_b32 v3, 0x80, v3, v21
	v_and_or_b32 v20, 0xff, v20, v22
	v_and_b32_e32 v0, 0x80, v0
	v_and_or_b32 v15, 0xff, v15, v16
	v_and_b32_e32 v19, 0x80, v19
	v_and_b32_e32 v13, 0x80, v13
	v_lshlrev_b32_e32 v3, 24, v3
	v_lshlrev_b32_e32 v20, 16, v20
	v_and_or_b32 v2, 0xff, v18, v2
	v_lshlrev_b32_e32 v14, 24, v14
	v_and_b32_e32 v1, 0x80000000, v1
	v_and_or_b32 v0, 0xff, v12, v0
	v_lshlrev_b32_e32 v12, 16, v15
	v_or_b32_e32 v3, v3, v20
	v_lshlrev_b32_e32 v2, 8, v2
	v_and_or_b32 v15, 0xff, v17, v19
	v_lshlrev_b32_e32 v0, 8, v0
	v_or3_b32 v12, v14, v1, v12
	v_and_or_b32 v11, 0xff, v11, v13
	v_add_nc_u32_e32 v10, 16, v10
	v_or3_b32 v1, v3, v2, v15
	v_add_nc_u32_e32 v6, 0x100, v6
	s_delay_alu instid0(VALU_DEP_4) | instskip(NEXT) | instid1(VALU_DEP_4)
	v_or3_b32 v0, v12, v0, v11
	v_cmp_le_i32_e32 vcc_lo, s1, v10
	global_store_b64 v[4:5], v[0:1], off
	v_add_co_u32 v4, s0, 0x80, v4
	s_delay_alu instid0(VALU_DEP_1) | instskip(SKIP_1) | instid1(SALU_CYCLE_1)
	v_add_co_ci_u32_e64 v5, s0, 0, v5, s0
	s_or_b32 s2, vcc_lo, s2
	s_and_not1_b32 exec_lo, exec_lo, s2
	s_cbranch_execz .LBB17_153
.LBB17_106:                             ; =>This Inner Loop Header: Depth=1
	ds_load_b128 v[0:3], v6
	s_mov_b32 s0, exec_lo
	s_waitcnt lgkmcnt(0)
	v_cvt_f32_f16_e32 v11, v0
	s_delay_alu instid0(VALU_DEP_1) | instskip(SKIP_1) | instid1(VALU_DEP_2)
	v_div_scale_f32 v12, null, v8, v8, v11
	v_div_scale_f32 v15, vcc_lo, v11, v8, v11
	v_rcp_f32_e32 v13, v12
	s_waitcnt_depctr 0xfff
	v_fma_f32 v14, -v12, v13, 1.0
	s_delay_alu instid0(VALU_DEP_1) | instskip(NEXT) | instid1(VALU_DEP_1)
	v_fmac_f32_e32 v13, v14, v13
	v_mul_f32_e32 v14, v15, v13
	s_delay_alu instid0(VALU_DEP_1) | instskip(NEXT) | instid1(VALU_DEP_1)
	v_fma_f32 v16, -v12, v14, v15
	v_fmac_f32_e32 v14, v16, v13
	s_delay_alu instid0(VALU_DEP_1) | instskip(NEXT) | instid1(VALU_DEP_1)
	v_fma_f32 v12, -v12, v14, v15
	v_div_fmas_f32 v12, v12, v13, v14
	s_delay_alu instid0(VALU_DEP_1) | instskip(SKIP_1) | instid1(VALU_DEP_2)
	v_div_fixup_f32 v11, v12, v8, v11
	v_mov_b32_e32 v12, 0x7f
	v_maxmin_f32 v13, v11, v7, v9
	v_mov_b32_e32 v11, 0x7f
	s_delay_alu instid0(VALU_DEP_2) | instskip(NEXT) | instid1(VALU_DEP_1)
	v_and_b32_e32 v14, 0x7fffffff, v13
	v_cmpx_gt_u32_e32 0x43f00000, v14
	s_cbranch_execz .LBB17_112
; %bb.107:                              ;   in Loop: Header=BB17_106 Depth=1
	s_mov_b32 s3, exec_lo
                                        ; implicit-def: $vgpr11
	v_cmpx_lt_u32_e32 0x3c7fffff, v14
	s_xor_b32 s3, exec_lo, s3
; %bb.108:                              ;   in Loop: Header=BB17_106 Depth=1
	v_bfe_u32 v11, v13, 20, 1
	s_delay_alu instid0(VALU_DEP_1) | instskip(NEXT) | instid1(VALU_DEP_1)
	v_add3_u32 v11, v13, v11, 0x407ffff
	v_lshrrev_b32_e32 v11, 20, v11
; %bb.109:                              ;   in Loop: Header=BB17_106 Depth=1
	s_and_not1_saveexec_b32 s3, s3
; %bb.110:                              ;   in Loop: Header=BB17_106 Depth=1
	v_add_f32_e64 v11, 0x46800000, |v13|
; %bb.111:                              ;   in Loop: Header=BB17_106 Depth=1
	s_or_b32 exec_lo, exec_lo, s3
.LBB17_112:                             ;   in Loop: Header=BB17_106 Depth=1
	s_delay_alu instid0(SALU_CYCLE_1) | instskip(SKIP_2) | instid1(VALU_DEP_1)
	s_or_b32 exec_lo, exec_lo, s0
	v_lshrrev_b32_e32 v0, 16, v0
	s_mov_b32 s0, exec_lo
	v_cvt_f32_f16_e32 v0, v0
	s_delay_alu instid0(VALU_DEP_1) | instskip(NEXT) | instid1(VALU_DEP_1)
	v_div_scale_f32 v14, null, v8, v8, v0
	v_rcp_f32_e32 v15, v14
	s_waitcnt_depctr 0xfff
	v_fma_f32 v16, -v14, v15, 1.0
	s_delay_alu instid0(VALU_DEP_1) | instskip(SKIP_1) | instid1(VALU_DEP_1)
	v_fmac_f32_e32 v15, v16, v15
	v_div_scale_f32 v16, vcc_lo, v0, v8, v0
	v_mul_f32_e32 v17, v16, v15
	s_delay_alu instid0(VALU_DEP_1) | instskip(NEXT) | instid1(VALU_DEP_1)
	v_fma_f32 v18, -v14, v17, v16
	v_fmac_f32_e32 v17, v18, v15
	s_delay_alu instid0(VALU_DEP_1) | instskip(NEXT) | instid1(VALU_DEP_1)
	v_fma_f32 v14, -v14, v17, v16
	v_div_fmas_f32 v14, v14, v15, v17
	s_delay_alu instid0(VALU_DEP_1) | instskip(NEXT) | instid1(VALU_DEP_1)
	v_div_fixup_f32 v0, v14, v8, v0
	v_maxmin_f32 v0, v0, v7, v9
	s_delay_alu instid0(VALU_DEP_1) | instskip(NEXT) | instid1(VALU_DEP_1)
	v_and_b32_e32 v14, 0x7fffffff, v0
	v_cmpx_gt_u32_e32 0x43f00000, v14
	s_cbranch_execz .LBB17_118
; %bb.113:                              ;   in Loop: Header=BB17_106 Depth=1
	s_mov_b32 s3, exec_lo
                                        ; implicit-def: $vgpr12
	v_cmpx_lt_u32_e32 0x3c7fffff, v14
	s_xor_b32 s3, exec_lo, s3
; %bb.114:                              ;   in Loop: Header=BB17_106 Depth=1
	v_bfe_u32 v12, v0, 20, 1
	s_delay_alu instid0(VALU_DEP_1) | instskip(NEXT) | instid1(VALU_DEP_1)
	v_add3_u32 v12, v0, v12, 0x407ffff
	v_lshrrev_b32_e32 v12, 20, v12
; %bb.115:                              ;   in Loop: Header=BB17_106 Depth=1
	s_and_not1_saveexec_b32 s3, s3
; %bb.116:                              ;   in Loop: Header=BB17_106 Depth=1
	v_add_f32_e64 v12, 0x46800000, |v0|
; %bb.117:                              ;   in Loop: Header=BB17_106 Depth=1
	s_or_b32 exec_lo, exec_lo, s3
.LBB17_118:                             ;   in Loop: Header=BB17_106 Depth=1
	s_delay_alu instid0(SALU_CYCLE_1) | instskip(SKIP_2) | instid1(VALU_DEP_1)
	s_or_b32 exec_lo, exec_lo, s0
	v_cvt_f32_f16_e32 v14, v1
	s_mov_b32 s0, exec_lo
	v_div_scale_f32 v15, null, v8, v8, v14
	v_div_scale_f32 v18, vcc_lo, v14, v8, v14
	s_delay_alu instid0(VALU_DEP_2) | instskip(SKIP_2) | instid1(VALU_DEP_1)
	v_rcp_f32_e32 v16, v15
	s_waitcnt_depctr 0xfff
	v_fma_f32 v17, -v15, v16, 1.0
	v_fmac_f32_e32 v16, v17, v16
	s_delay_alu instid0(VALU_DEP_1) | instskip(NEXT) | instid1(VALU_DEP_1)
	v_mul_f32_e32 v17, v18, v16
	v_fma_f32 v19, -v15, v17, v18
	s_delay_alu instid0(VALU_DEP_1) | instskip(NEXT) | instid1(VALU_DEP_1)
	v_fmac_f32_e32 v17, v19, v16
	v_fma_f32 v15, -v15, v17, v18
	s_delay_alu instid0(VALU_DEP_1) | instskip(NEXT) | instid1(VALU_DEP_1)
	v_div_fmas_f32 v15, v15, v16, v17
	v_div_fixup_f32 v14, v15, v8, v14
	v_mov_b32_e32 v15, 0x7f
	s_delay_alu instid0(VALU_DEP_2) | instskip(SKIP_1) | instid1(VALU_DEP_2)
	v_maxmin_f32 v16, v14, v7, v9
	v_mov_b32_e32 v14, 0x7f
	v_and_b32_e32 v17, 0x7fffffff, v16
	s_delay_alu instid0(VALU_DEP_1)
	v_cmpx_gt_u32_e32 0x43f00000, v17
	s_cbranch_execz .LBB17_124
; %bb.119:                              ;   in Loop: Header=BB17_106 Depth=1
	s_mov_b32 s3, exec_lo
                                        ; implicit-def: $vgpr15
	v_cmpx_lt_u32_e32 0x3c7fffff, v17
	s_xor_b32 s3, exec_lo, s3
; %bb.120:                              ;   in Loop: Header=BB17_106 Depth=1
	v_bfe_u32 v15, v16, 20, 1
	s_delay_alu instid0(VALU_DEP_1) | instskip(NEXT) | instid1(VALU_DEP_1)
	v_add3_u32 v15, v16, v15, 0x407ffff
	v_lshrrev_b32_e32 v15, 20, v15
; %bb.121:                              ;   in Loop: Header=BB17_106 Depth=1
	s_and_not1_saveexec_b32 s3, s3
; %bb.122:                              ;   in Loop: Header=BB17_106 Depth=1
	v_add_f32_e64 v15, 0x46800000, |v16|
; %bb.123:                              ;   in Loop: Header=BB17_106 Depth=1
	s_or_b32 exec_lo, exec_lo, s3
.LBB17_124:                             ;   in Loop: Header=BB17_106 Depth=1
	s_delay_alu instid0(SALU_CYCLE_1) | instskip(SKIP_2) | instid1(VALU_DEP_1)
	s_or_b32 exec_lo, exec_lo, s0
	v_lshrrev_b32_e32 v1, 16, v1
	s_mov_b32 s0, exec_lo
	v_cvt_f32_f16_e32 v1, v1
	s_delay_alu instid0(VALU_DEP_1) | instskip(NEXT) | instid1(VALU_DEP_1)
	v_div_scale_f32 v17, null, v8, v8, v1
	v_rcp_f32_e32 v18, v17
	s_waitcnt_depctr 0xfff
	v_fma_f32 v19, -v17, v18, 1.0
	s_delay_alu instid0(VALU_DEP_1) | instskip(SKIP_1) | instid1(VALU_DEP_1)
	v_fmac_f32_e32 v18, v19, v18
	v_div_scale_f32 v19, vcc_lo, v1, v8, v1
	v_mul_f32_e32 v20, v19, v18
	s_delay_alu instid0(VALU_DEP_1) | instskip(NEXT) | instid1(VALU_DEP_1)
	v_fma_f32 v21, -v17, v20, v19
	v_fmac_f32_e32 v20, v21, v18
	s_delay_alu instid0(VALU_DEP_1) | instskip(NEXT) | instid1(VALU_DEP_1)
	v_fma_f32 v17, -v17, v20, v19
	v_div_fmas_f32 v17, v17, v18, v20
	s_delay_alu instid0(VALU_DEP_1) | instskip(NEXT) | instid1(VALU_DEP_1)
	v_div_fixup_f32 v1, v17, v8, v1
	v_maxmin_f32 v1, v1, v7, v9
	s_delay_alu instid0(VALU_DEP_1) | instskip(NEXT) | instid1(VALU_DEP_1)
	v_and_b32_e32 v17, 0x7fffffff, v1
	v_cmpx_gt_u32_e32 0x43f00000, v17
	s_cbranch_execz .LBB17_130
; %bb.125:                              ;   in Loop: Header=BB17_106 Depth=1
	s_mov_b32 s3, exec_lo
                                        ; implicit-def: $vgpr14
	v_cmpx_lt_u32_e32 0x3c7fffff, v17
	s_xor_b32 s3, exec_lo, s3
; %bb.126:                              ;   in Loop: Header=BB17_106 Depth=1
	v_bfe_u32 v14, v1, 20, 1
	s_delay_alu instid0(VALU_DEP_1) | instskip(NEXT) | instid1(VALU_DEP_1)
	v_add3_u32 v14, v1, v14, 0x407ffff
	v_lshrrev_b32_e32 v14, 20, v14
; %bb.127:                              ;   in Loop: Header=BB17_106 Depth=1
	s_and_not1_saveexec_b32 s3, s3
; %bb.128:                              ;   in Loop: Header=BB17_106 Depth=1
	v_add_f32_e64 v14, 0x46800000, |v1|
; %bb.129:                              ;   in Loop: Header=BB17_106 Depth=1
	s_or_b32 exec_lo, exec_lo, s3
.LBB17_130:                             ;   in Loop: Header=BB17_106 Depth=1
	s_delay_alu instid0(SALU_CYCLE_1) | instskip(SKIP_2) | instid1(VALU_DEP_1)
	s_or_b32 exec_lo, exec_lo, s0
	v_cvt_f32_f16_e32 v17, v2
	s_mov_b32 s0, exec_lo
	v_div_scale_f32 v18, null, v8, v8, v17
	v_div_scale_f32 v21, vcc_lo, v17, v8, v17
	s_delay_alu instid0(VALU_DEP_2) | instskip(SKIP_2) | instid1(VALU_DEP_1)
	v_rcp_f32_e32 v19, v18
	s_waitcnt_depctr 0xfff
	v_fma_f32 v20, -v18, v19, 1.0
	v_fmac_f32_e32 v19, v20, v19
	s_delay_alu instid0(VALU_DEP_1) | instskip(NEXT) | instid1(VALU_DEP_1)
	v_mul_f32_e32 v20, v21, v19
	v_fma_f32 v22, -v18, v20, v21
	s_delay_alu instid0(VALU_DEP_1) | instskip(NEXT) | instid1(VALU_DEP_1)
	v_fmac_f32_e32 v20, v22, v19
	v_fma_f32 v18, -v18, v20, v21
	s_delay_alu instid0(VALU_DEP_1) | instskip(NEXT) | instid1(VALU_DEP_1)
	v_div_fmas_f32 v18, v18, v19, v20
	v_div_fixup_f32 v17, v18, v8, v17
	v_mov_b32_e32 v18, 0x7f
	s_delay_alu instid0(VALU_DEP_2) | instskip(SKIP_1) | instid1(VALU_DEP_2)
	v_maxmin_f32 v19, v17, v7, v9
	v_mov_b32_e32 v17, 0x7f
	v_and_b32_e32 v20, 0x7fffffff, v19
	s_delay_alu instid0(VALU_DEP_1)
	v_cmpx_gt_u32_e32 0x43f00000, v20
	s_cbranch_execz .LBB17_136
; %bb.131:                              ;   in Loop: Header=BB17_106 Depth=1
	s_mov_b32 s3, exec_lo
                                        ; implicit-def: $vgpr17
	v_cmpx_lt_u32_e32 0x3c7fffff, v20
	s_xor_b32 s3, exec_lo, s3
; %bb.132:                              ;   in Loop: Header=BB17_106 Depth=1
	v_bfe_u32 v17, v19, 20, 1
	s_delay_alu instid0(VALU_DEP_1) | instskip(NEXT) | instid1(VALU_DEP_1)
	v_add3_u32 v17, v19, v17, 0x407ffff
	v_lshrrev_b32_e32 v17, 20, v17
; %bb.133:                              ;   in Loop: Header=BB17_106 Depth=1
	s_and_not1_saveexec_b32 s3, s3
; %bb.134:                              ;   in Loop: Header=BB17_106 Depth=1
	v_add_f32_e64 v17, 0x46800000, |v19|
; %bb.135:                              ;   in Loop: Header=BB17_106 Depth=1
	s_or_b32 exec_lo, exec_lo, s3
.LBB17_136:                             ;   in Loop: Header=BB17_106 Depth=1
	s_delay_alu instid0(SALU_CYCLE_1) | instskip(SKIP_2) | instid1(VALU_DEP_1)
	s_or_b32 exec_lo, exec_lo, s0
	v_lshrrev_b32_e32 v2, 16, v2
	s_mov_b32 s0, exec_lo
	v_cvt_f32_f16_e32 v2, v2
	s_delay_alu instid0(VALU_DEP_1) | instskip(NEXT) | instid1(VALU_DEP_1)
	v_div_scale_f32 v20, null, v8, v8, v2
	v_rcp_f32_e32 v21, v20
	s_waitcnt_depctr 0xfff
	v_fma_f32 v22, -v20, v21, 1.0
	s_delay_alu instid0(VALU_DEP_1) | instskip(SKIP_1) | instid1(VALU_DEP_1)
	v_fmac_f32_e32 v21, v22, v21
	v_div_scale_f32 v22, vcc_lo, v2, v8, v2
	v_mul_f32_e32 v23, v22, v21
	s_delay_alu instid0(VALU_DEP_1) | instskip(NEXT) | instid1(VALU_DEP_1)
	v_fma_f32 v24, -v20, v23, v22
	v_fmac_f32_e32 v23, v24, v21
	s_delay_alu instid0(VALU_DEP_1) | instskip(NEXT) | instid1(VALU_DEP_1)
	v_fma_f32 v20, -v20, v23, v22
	v_div_fmas_f32 v20, v20, v21, v23
	s_delay_alu instid0(VALU_DEP_1) | instskip(NEXT) | instid1(VALU_DEP_1)
	v_div_fixup_f32 v2, v20, v8, v2
	v_maxmin_f32 v2, v2, v7, v9
	s_delay_alu instid0(VALU_DEP_1) | instskip(NEXT) | instid1(VALU_DEP_1)
	v_and_b32_e32 v20, 0x7fffffff, v2
	v_cmpx_gt_u32_e32 0x43f00000, v20
	s_cbranch_execz .LBB17_142
; %bb.137:                              ;   in Loop: Header=BB17_106 Depth=1
	s_mov_b32 s3, exec_lo
                                        ; implicit-def: $vgpr18
	v_cmpx_lt_u32_e32 0x3c7fffff, v20
	s_xor_b32 s3, exec_lo, s3
; %bb.138:                              ;   in Loop: Header=BB17_106 Depth=1
	v_bfe_u32 v18, v2, 20, 1
	s_delay_alu instid0(VALU_DEP_1) | instskip(NEXT) | instid1(VALU_DEP_1)
	v_add3_u32 v18, v2, v18, 0x407ffff
	v_lshrrev_b32_e32 v18, 20, v18
; %bb.139:                              ;   in Loop: Header=BB17_106 Depth=1
	s_and_not1_saveexec_b32 s3, s3
; %bb.140:                              ;   in Loop: Header=BB17_106 Depth=1
	v_add_f32_e64 v18, 0x46800000, |v2|
; %bb.141:                              ;   in Loop: Header=BB17_106 Depth=1
	s_or_b32 exec_lo, exec_lo, s3
.LBB17_142:                             ;   in Loop: Header=BB17_106 Depth=1
	s_delay_alu instid0(SALU_CYCLE_1) | instskip(SKIP_2) | instid1(VALU_DEP_1)
	s_or_b32 exec_lo, exec_lo, s0
	v_cvt_f32_f16_e32 v20, v3
	s_mov_b32 s0, exec_lo
	v_div_scale_f32 v21, null, v8, v8, v20
	v_div_scale_f32 v24, vcc_lo, v20, v8, v20
	s_delay_alu instid0(VALU_DEP_2) | instskip(SKIP_2) | instid1(VALU_DEP_1)
	v_rcp_f32_e32 v22, v21
	s_waitcnt_depctr 0xfff
	v_fma_f32 v23, -v21, v22, 1.0
	v_fmac_f32_e32 v22, v23, v22
	s_delay_alu instid0(VALU_DEP_1) | instskip(NEXT) | instid1(VALU_DEP_1)
	v_mul_f32_e32 v23, v24, v22
	v_fma_f32 v25, -v21, v23, v24
	s_delay_alu instid0(VALU_DEP_1) | instskip(NEXT) | instid1(VALU_DEP_1)
	v_fmac_f32_e32 v23, v25, v22
	v_fma_f32 v21, -v21, v23, v24
	s_delay_alu instid0(VALU_DEP_1) | instskip(NEXT) | instid1(VALU_DEP_1)
	v_div_fmas_f32 v21, v21, v22, v23
	v_div_fixup_f32 v20, v21, v8, v20
	v_mov_b32_e32 v21, 0x7f
	s_delay_alu instid0(VALU_DEP_2) | instskip(SKIP_1) | instid1(VALU_DEP_2)
	v_maxmin_f32 v22, v20, v7, v9
	v_mov_b32_e32 v20, 0x7f
	v_and_b32_e32 v23, 0x7fffffff, v22
	s_delay_alu instid0(VALU_DEP_1)
	v_cmpx_gt_u32_e32 0x43f00000, v23
	s_cbranch_execz .LBB17_148
; %bb.143:                              ;   in Loop: Header=BB17_106 Depth=1
	s_mov_b32 s3, exec_lo
                                        ; implicit-def: $vgpr20
	v_cmpx_lt_u32_e32 0x3c7fffff, v23
	s_xor_b32 s3, exec_lo, s3
; %bb.144:                              ;   in Loop: Header=BB17_106 Depth=1
	v_bfe_u32 v20, v22, 20, 1
	s_delay_alu instid0(VALU_DEP_1) | instskip(NEXT) | instid1(VALU_DEP_1)
	v_add3_u32 v20, v22, v20, 0x407ffff
	v_lshrrev_b32_e32 v20, 20, v20
; %bb.145:                              ;   in Loop: Header=BB17_106 Depth=1
	s_and_not1_saveexec_b32 s3, s3
; %bb.146:                              ;   in Loop: Header=BB17_106 Depth=1
	v_add_f32_e64 v20, 0x46800000, |v22|
; %bb.147:                              ;   in Loop: Header=BB17_106 Depth=1
	s_or_b32 exec_lo, exec_lo, s3
.LBB17_148:                             ;   in Loop: Header=BB17_106 Depth=1
	s_delay_alu instid0(SALU_CYCLE_1) | instskip(SKIP_2) | instid1(VALU_DEP_1)
	s_or_b32 exec_lo, exec_lo, s0
	v_lshrrev_b32_e32 v3, 16, v3
	s_mov_b32 s0, exec_lo
	v_cvt_f32_f16_e32 v3, v3
	s_delay_alu instid0(VALU_DEP_1) | instskip(NEXT) | instid1(VALU_DEP_1)
	v_div_scale_f32 v23, null, v8, v8, v3
	v_rcp_f32_e32 v24, v23
	s_waitcnt_depctr 0xfff
	v_fma_f32 v25, -v23, v24, 1.0
	s_delay_alu instid0(VALU_DEP_1) | instskip(SKIP_1) | instid1(VALU_DEP_1)
	v_fmac_f32_e32 v24, v25, v24
	v_div_scale_f32 v25, vcc_lo, v3, v8, v3
	v_mul_f32_e32 v26, v25, v24
	s_delay_alu instid0(VALU_DEP_1) | instskip(NEXT) | instid1(VALU_DEP_1)
	v_fma_f32 v27, -v23, v26, v25
	v_fmac_f32_e32 v26, v27, v24
	s_delay_alu instid0(VALU_DEP_1) | instskip(NEXT) | instid1(VALU_DEP_1)
	v_fma_f32 v23, -v23, v26, v25
	v_div_fmas_f32 v23, v23, v24, v26
	s_delay_alu instid0(VALU_DEP_1) | instskip(NEXT) | instid1(VALU_DEP_1)
	v_div_fixup_f32 v3, v23, v8, v3
	v_maxmin_f32 v3, v3, v7, v9
	s_delay_alu instid0(VALU_DEP_1) | instskip(NEXT) | instid1(VALU_DEP_1)
	v_and_b32_e32 v23, 0x7fffffff, v3
	v_cmpx_gt_u32_e32 0x43f00000, v23
	s_cbranch_execz .LBB17_105
; %bb.149:                              ;   in Loop: Header=BB17_106 Depth=1
	s_mov_b32 s3, exec_lo
                                        ; implicit-def: $vgpr21
	v_cmpx_lt_u32_e32 0x3c7fffff, v23
	s_xor_b32 s3, exec_lo, s3
; %bb.150:                              ;   in Loop: Header=BB17_106 Depth=1
	v_bfe_u32 v21, v3, 20, 1
	s_delay_alu instid0(VALU_DEP_1) | instskip(NEXT) | instid1(VALU_DEP_1)
	v_add3_u32 v21, v3, v21, 0x407ffff
	v_lshrrev_b32_e32 v21, 20, v21
; %bb.151:                              ;   in Loop: Header=BB17_106 Depth=1
	s_and_not1_saveexec_b32 s3, s3
	s_cbranch_execz .LBB17_104
; %bb.152:                              ;   in Loop: Header=BB17_106 Depth=1
	v_add_f32_e64 v21, 0x46800000, |v3|
	s_branch .LBB17_104
.LBB17_153:
	s_nop 0
	s_sendmsg sendmsg(MSG_DEALLOC_VGPRS)
	s_endpgm
	.section	.rodata,"a",@progbits
	.p2align	6, 0x0
	.amdhsa_kernel _Z33per_token_group_quant_8bit_kernelIN3c104HalfENS0_13Float8_e4m3fnELb1ELb0EfEvPKT_PvPT3_iiifffii
		.amdhsa_group_segment_fixed_size 0
		.amdhsa_private_segment_fixed_size 0
		.amdhsa_kernarg_size 56
		.amdhsa_user_sgpr_count 15
		.amdhsa_user_sgpr_dispatch_ptr 0
		.amdhsa_user_sgpr_queue_ptr 0
		.amdhsa_user_sgpr_kernarg_segment_ptr 1
		.amdhsa_user_sgpr_dispatch_id 0
		.amdhsa_user_sgpr_private_segment_size 0
		.amdhsa_wavefront_size32 1
		.amdhsa_uses_dynamic_stack 0
		.amdhsa_enable_private_segment 0
		.amdhsa_system_sgpr_workgroup_id_x 1
		.amdhsa_system_sgpr_workgroup_id_y 0
		.amdhsa_system_sgpr_workgroup_id_z 0
		.amdhsa_system_sgpr_workgroup_info 0
		.amdhsa_system_vgpr_workitem_id 0
		.amdhsa_next_free_vgpr 39
		.amdhsa_next_free_sgpr 17
		.amdhsa_reserve_vcc 1
		.amdhsa_float_round_mode_32 0
		.amdhsa_float_round_mode_16_64 0
		.amdhsa_float_denorm_mode_32 3
		.amdhsa_float_denorm_mode_16_64 3
		.amdhsa_dx10_clamp 1
		.amdhsa_ieee_mode 1
		.amdhsa_fp16_overflow 0
		.amdhsa_workgroup_processor_mode 1
		.amdhsa_memory_ordered 1
		.amdhsa_forward_progress 0
		.amdhsa_shared_vgpr_count 0
		.amdhsa_exception_fp_ieee_invalid_op 0
		.amdhsa_exception_fp_denorm_src 0
		.amdhsa_exception_fp_ieee_div_zero 0
		.amdhsa_exception_fp_ieee_overflow 0
		.amdhsa_exception_fp_ieee_underflow 0
		.amdhsa_exception_fp_ieee_inexact 0
		.amdhsa_exception_int_div_zero 0
	.end_amdhsa_kernel
	.section	.text._Z33per_token_group_quant_8bit_kernelIN3c104HalfENS0_13Float8_e4m3fnELb1ELb0EfEvPKT_PvPT3_iiifffii,"axG",@progbits,_Z33per_token_group_quant_8bit_kernelIN3c104HalfENS0_13Float8_e4m3fnELb1ELb0EfEvPKT_PvPT3_iiifffii,comdat
.Lfunc_end17:
	.size	_Z33per_token_group_quant_8bit_kernelIN3c104HalfENS0_13Float8_e4m3fnELb1ELb0EfEvPKT_PvPT3_iiifffii, .Lfunc_end17-_Z33per_token_group_quant_8bit_kernelIN3c104HalfENS0_13Float8_e4m3fnELb1ELb0EfEvPKT_PvPT3_iiifffii
                                        ; -- End function
	.section	.AMDGPU.csdata,"",@progbits
; Kernel info:
; codeLenInByte = 8568
; NumSgprs: 19
; NumVgprs: 39
; ScratchSize: 0
; MemoryBound: 0
; FloatMode: 240
; IeeeMode: 1
; LDSByteSize: 0 bytes/workgroup (compile time only)
; SGPRBlocks: 2
; VGPRBlocks: 4
; NumSGPRsForWavesPerEU: 19
; NumVGPRsForWavesPerEU: 39
; Occupancy: 16
; WaveLimiterHint : 0
; COMPUTE_PGM_RSRC2:SCRATCH_EN: 0
; COMPUTE_PGM_RSRC2:USER_SGPR: 15
; COMPUTE_PGM_RSRC2:TRAP_HANDLER: 0
; COMPUTE_PGM_RSRC2:TGID_X_EN: 1
; COMPUTE_PGM_RSRC2:TGID_Y_EN: 0
; COMPUTE_PGM_RSRC2:TGID_Z_EN: 0
; COMPUTE_PGM_RSRC2:TIDIG_COMP_CNT: 0
	.section	.text._Z33per_token_group_quant_8bit_kernelIN3c104HalfENS0_13Float8_e4m3fnELb0ELb1EfEvPKT_PvPT3_iiifffii,"axG",@progbits,_Z33per_token_group_quant_8bit_kernelIN3c104HalfENS0_13Float8_e4m3fnELb0ELb1EfEvPKT_PvPT3_iiifffii,comdat
	.protected	_Z33per_token_group_quant_8bit_kernelIN3c104HalfENS0_13Float8_e4m3fnELb0ELb1EfEvPKT_PvPT3_iiifffii ; -- Begin function _Z33per_token_group_quant_8bit_kernelIN3c104HalfENS0_13Float8_e4m3fnELb0ELb1EfEvPKT_PvPT3_iiifffii
	.globl	_Z33per_token_group_quant_8bit_kernelIN3c104HalfENS0_13Float8_e4m3fnELb0ELb1EfEvPKT_PvPT3_iiifffii
	.p2align	8
	.type	_Z33per_token_group_quant_8bit_kernelIN3c104HalfENS0_13Float8_e4m3fnELb0ELb1EfEvPKT_PvPT3_iiifffii,@function
_Z33per_token_group_quant_8bit_kernelIN3c104HalfENS0_13Float8_e4m3fnELb0ELb1EfEvPKT_PvPT3_iiifffii: ; @_Z33per_token_group_quant_8bit_kernelIN3c104HalfENS0_13Float8_e4m3fnELb0ELb1EfEvPKT_PvPT3_iiifffii
; %bb.0:
	s_clause 0x1
	s_load_b128 s[4:7], s[0:1], 0x20
	s_load_b32 s8, s[0:1], 0x18
	v_lshrrev_b32_e32 v3, 4, v0
	v_and_b32_e32 v12, 15, v0
	s_waitcnt lgkmcnt(0)
	s_mul_i32 s15, s15, s4
	s_ashr_i32 s4, s8, 31
	v_add_co_u32 v1, s2, s15, v3
	s_delay_alu instid0(VALU_DEP_1) | instskip(SKIP_1) | instid1(VALU_DEP_2)
	v_add_co_ci_u32_e64 v2, null, 0, 0, s2
	s_load_b64 s[2:3], s[0:1], 0x0
	v_mul_lo_u32 v7, v1, s4
	v_mad_u64_u32 v[4:5], null, v1, s8, 0
	s_delay_alu instid0(VALU_DEP_3) | instskip(SKIP_2) | instid1(SALU_CYCLE_1)
	v_mul_lo_u32 v6, v2, s8
	v_mul_lo_u32 v13, v3, s8
	s_and_b32 s9, s8, 7
                                        ; implicit-def: $vgpr3
	s_cmp_eq_u32 s9, 0
	s_cselect_b32 s4, -1, 0
	s_cmp_lg_u32 s9, 0
	s_delay_alu instid0(VALU_DEP_2) | instskip(NEXT) | instid1(VALU_DEP_2)
	v_add3_u32 v5, v5, v7, v6
	v_lshl_add_u32 v0, v13, 1, 0
	s_cselect_b32 s9, -1, 0
	s_delay_alu instid0(VALU_DEP_2) | instskip(SKIP_1) | instid1(VALU_DEP_1)
	v_lshlrev_b64 v[6:7], 1, v[4:5]
	s_waitcnt lgkmcnt(0)
	v_add_co_u32 v8, vcc_lo, s2, v6
	v_mov_b32_e32 v11, 0
	s_delay_alu instid0(VALU_DEP_3) | instskip(NEXT) | instid1(VALU_DEP_3)
	v_add_co_ci_u32_e32 v9, vcc_lo, s3, v7, vcc_lo
	v_and_b32_e32 v10, 15, v8
	s_delay_alu instid0(VALU_DEP_1) | instskip(SKIP_1) | instid1(SALU_CYCLE_1)
	v_cmp_ne_u64_e32 vcc_lo, 0, v[10:11]
	s_or_b32 s9, s9, vcc_lo
	s_and_saveexec_b32 s10, s9
	s_delay_alu instid0(SALU_CYCLE_1)
	s_xor_b32 s9, exec_lo, s10
	s_cbranch_execz .LBB18_12
; %bb.1:
	v_sub_nc_u32_e32 v3, 0, v8
	s_mov_b32 s10, exec_lo
	s_delay_alu instid0(VALU_DEP_1) | instskip(NEXT) | instid1(VALU_DEP_1)
	v_bfe_u32 v3, v3, 1, 3
	v_min_i32_e32 v10, s8, v3
	v_mov_b32_e32 v3, s5
	s_delay_alu instid0(VALU_DEP_2)
	v_cmpx_gt_i32_e64 v10, v12
	s_cbranch_execz .LBB18_3
; %bb.2:
	v_lshlrev_b32_e32 v3, 1, v12
	v_max_f32_e64 v11, s5, s5
	s_delay_alu instid0(VALU_DEP_2) | instskip(SKIP_4) | instid1(VALU_DEP_1)
	v_add_co_u32 v8, vcc_lo, v8, v3
	v_add_co_ci_u32_e32 v9, vcc_lo, 0, v9, vcc_lo
	global_load_u16 v8, v[8:9], off
	s_waitcnt vmcnt(0)
	v_cvt_f32_f16_e64 v9, |v8|
	v_dual_max_f32 v3, v11, v9 :: v_dual_add_nc_u32 v14, v0, v3
	ds_store_b16 v14, v8
.LBB18_3:
	s_or_b32 exec_lo, exec_lo, s10
	v_sub_nc_u32_e32 v14, s8, v10
	v_ashrrev_i32_e32 v11, 31, v10
	v_lshlrev_b32_e32 v15, 1, v10
	s_mov_b32 s10, exec_lo
	s_delay_alu instid0(VALU_DEP_3) | instskip(NEXT) | instid1(VALU_DEP_1)
	v_ashrrev_i32_e32 v8, 31, v14
	v_lshrrev_b32_e32 v8, 29, v8
	s_delay_alu instid0(VALU_DEP_1) | instskip(NEXT) | instid1(VALU_DEP_1)
	v_add_nc_u32_e32 v8, v14, v8
	v_ashrrev_i32_e32 v16, 3, v8
	v_lshlrev_b64 v[8:9], 1, v[10:11]
	s_delay_alu instid0(VALU_DEP_2)
	v_cmpx_gt_i32_e64 v16, v12
	s_cbranch_execz .LBB18_7
; %bb.4:
	v_lshlrev_b32_e32 v10, 4, v12
	s_mov_b32 s11, 0
	s_delay_alu instid0(VALU_DEP_1) | instskip(SKIP_2) | instid1(VALU_DEP_3)
	v_add_co_u32 v11, vcc_lo, v6, v10
	v_add_co_ci_u32_e32 v17, vcc_lo, 0, v7, vcc_lo
	v_lshl_add_u32 v10, v13, 1, v10
	v_add_co_u32 v11, vcc_lo, v11, v8
	s_delay_alu instid0(VALU_DEP_3) | instskip(NEXT) | instid1(VALU_DEP_2)
	v_add_co_ci_u32_e32 v17, vcc_lo, v17, v9, vcc_lo
	v_add_co_u32 v11, vcc_lo, v11, s2
	s_delay_alu instid0(VALU_DEP_2) | instskip(SKIP_1) | instid1(VALU_DEP_3)
	v_add_co_ci_u32_e32 v18, vcc_lo, s3, v17, vcc_lo
	v_add3_u32 v17, v10, v15, 0
	v_add_co_u32 v10, vcc_lo, v11, 8
	s_delay_alu instid0(VALU_DEP_3)
	v_add_co_ci_u32_e32 v11, vcc_lo, 0, v18, vcc_lo
	v_mov_b32_e32 v18, v12
	s_set_inst_prefetch_distance 0x1
	.p2align	6
.LBB18_5:                               ; =>This Inner Loop Header: Depth=1
	global_load_b128 v[19:22], v[10:11], off offset:-8
	v_add_nc_u32_e32 v18, 16, v18
	v_add_co_u32 v10, vcc_lo, 0x100, v10
	v_add_co_ci_u32_e32 v11, vcc_lo, 0, v11, vcc_lo
	s_delay_alu instid0(VALU_DEP_3)
	v_cmp_ge_i32_e32 vcc_lo, v18, v16
	s_or_b32 s11, vcc_lo, s11
	s_waitcnt vmcnt(0)
	v_lshrrev_b32_e32 v23, 16, v19
	v_cvt_f32_f16_e64 v24, |v19|
	v_lshrrev_b32_e32 v25, 16, v20
	v_cvt_f32_f16_e64 v26, |v20|
	;; [unrolled: 2-line block ×3, first 2 shown]
	ds_store_b128 v17, v[19:22]
	v_cvt_f32_f16_e64 v25, |v25|
	v_add_nc_u32_e32 v17, 0x100, v17
	v_cvt_f32_f16_e64 v27, |v27|
	v_max3_f32 v3, v3, v24, v23
	v_cvt_f32_f16_e64 v23, |v21|
	v_lshrrev_b32_e32 v24, 16, v22
	s_delay_alu instid0(VALU_DEP_3) | instskip(SKIP_1) | instid1(VALU_DEP_3)
	v_max3_f32 v3, v3, v26, v25
	v_cvt_f32_f16_e64 v25, |v22|
	v_cvt_f32_f16_e64 v24, |v24|
	s_delay_alu instid0(VALU_DEP_3) | instskip(NEXT) | instid1(VALU_DEP_1)
	v_max3_f32 v3, v3, v23, v27
	v_max3_f32 v3, v3, v25, v24
	s_and_not1_b32 exec_lo, exec_lo, s11
	s_cbranch_execnz .LBB18_5
; %bb.6:
	s_set_inst_prefetch_distance 0x2
	s_or_b32 exec_lo, exec_lo, s11
.LBB18_7:
	s_delay_alu instid0(SALU_CYCLE_1) | instskip(SKIP_2) | instid1(VALU_DEP_1)
	s_or_b32 exec_lo, exec_lo, s10
	v_lshl_add_u32 v10, v16, 3, v12
	s_mov_b32 s10, exec_lo
	v_cmpx_lt_i32_e64 v10, v14
	s_cbranch_execz .LBB18_11
; %bb.8:
	v_ashrrev_i32_e32 v11, 31, v10
	v_lshlrev_b32_e32 v19, 4, v16
	v_add_co_u32 v6, vcc_lo, v6, v8
	v_lshlrev_b32_e32 v18, 1, v13
	s_delay_alu instid0(VALU_DEP_4) | instskip(SKIP_2) | instid1(VALU_DEP_4)
	v_lshlrev_b64 v[16:17], 1, v[10:11]
	v_add_co_ci_u32_e32 v7, vcc_lo, v7, v9, vcc_lo
	v_lshlrev_b32_e32 v20, 1, v12
	v_add3_u32 v8, v18, v19, v15
	s_mov_b32 s11, 0
	s_delay_alu instid0(VALU_DEP_4) | instskip(SKIP_1) | instid1(VALU_DEP_3)
	v_add_co_u32 v6, vcc_lo, v6, v16
	v_add_co_ci_u32_e32 v7, vcc_lo, v7, v17, vcc_lo
	v_add3_u32 v8, v8, v20, 0
	s_delay_alu instid0(VALU_DEP_3) | instskip(NEXT) | instid1(VALU_DEP_3)
	v_add_co_u32 v6, vcc_lo, s2, v6
	v_add_co_ci_u32_e32 v7, vcc_lo, s3, v7, vcc_lo
	.p2align	6
.LBB18_9:                               ; =>This Inner Loop Header: Depth=1
	global_load_u16 v9, v[6:7], off
	v_dual_max_f32 v3, v3, v3 :: v_dual_add_nc_u32 v10, 16, v10
	v_add_co_u32 v6, vcc_lo, v6, 32
	v_add_co_ci_u32_e32 v7, vcc_lo, 0, v7, vcc_lo
	s_delay_alu instid0(VALU_DEP_3)
	v_cmp_ge_i32_e32 vcc_lo, v10, v14
	s_or_b32 s11, vcc_lo, s11
	s_waitcnt vmcnt(0)
	v_cvt_f32_f16_e64 v11, |v9|
	ds_store_b16 v8, v9
	v_dual_max_f32 v3, v3, v11 :: v_dual_add_nc_u32 v8, 32, v8
	s_and_not1_b32 exec_lo, exec_lo, s11
	s_cbranch_execnz .LBB18_9
; %bb.10:
	s_or_b32 exec_lo, exec_lo, s11
.LBB18_11:
	s_delay_alu instid0(SALU_CYCLE_1)
	s_or_b32 exec_lo, exec_lo, s10
                                        ; implicit-def: $vgpr6_vgpr7
.LBB18_12:
	s_and_not1_saveexec_b32 s9, s9
	s_cbranch_execz .LBB18_18
; %bb.13:
	v_mov_b32_e32 v3, s5
	s_ashr_i32 s11, s8, 3
	s_mov_b32 s10, exec_lo
	v_cmpx_gt_i32_e64 s11, v12
	s_cbranch_execz .LBB18_17
; %bb.14:
	v_dual_mov_b32 v3, s5 :: v_dual_lshlrev_b32 v8, 4, v12
	v_lshlrev_b32_e32 v9, 1, v13
	s_delay_alu instid0(VALU_DEP_2) | instskip(SKIP_1) | instid1(VALU_DEP_3)
	v_add_co_u32 v6, vcc_lo, v6, v8
	v_add_co_ci_u32_e32 v7, vcc_lo, 0, v7, vcc_lo
	v_add3_u32 v8, v9, v8, 0
	s_delay_alu instid0(VALU_DEP_3) | instskip(NEXT) | instid1(VALU_DEP_3)
	v_add_co_u32 v6, vcc_lo, v6, s2
	v_add_co_ci_u32_e32 v7, vcc_lo, s3, v7, vcc_lo
	v_mov_b32_e32 v9, v12
	s_delay_alu instid0(VALU_DEP_3) | instskip(NEXT) | instid1(VALU_DEP_3)
	v_add_co_u32 v6, vcc_lo, v6, 8
	v_add_co_ci_u32_e32 v7, vcc_lo, 0, v7, vcc_lo
	s_mov_b32 s2, 0
	s_set_inst_prefetch_distance 0x1
	.p2align	6
.LBB18_15:                              ; =>This Inner Loop Header: Depth=1
	global_load_b128 v[14:17], v[6:7], off offset:-8
	v_add_nc_u32_e32 v9, 16, v9
	v_add_co_u32 v6, vcc_lo, 0x100, v6
	v_add_co_ci_u32_e32 v7, vcc_lo, 0, v7, vcc_lo
	s_delay_alu instid0(VALU_DEP_3)
	v_cmp_le_i32_e32 vcc_lo, s11, v9
	s_or_b32 s2, vcc_lo, s2
	s_waitcnt vmcnt(0)
	v_lshrrev_b32_e32 v10, 16, v14
	v_cvt_f32_f16_e64 v11, |v14|
	v_lshrrev_b32_e32 v18, 16, v15
	v_cvt_f32_f16_e64 v19, |v15|
	v_lshrrev_b32_e32 v20, 16, v16
	v_cvt_f32_f16_e64 v10, |v10|
	ds_store_b128 v8, v[14:17]
	v_cvt_f32_f16_e64 v18, |v18|
	v_add_nc_u32_e32 v8, 0x100, v8
	v_cvt_f32_f16_e64 v20, |v20|
	v_max3_f32 v3, v3, v11, v10
	v_cvt_f32_f16_e64 v10, |v16|
	v_lshrrev_b32_e32 v11, 16, v17
	s_delay_alu instid0(VALU_DEP_3) | instskip(SKIP_1) | instid1(VALU_DEP_3)
	v_max3_f32 v3, v3, v19, v18
	v_cvt_f32_f16_e64 v18, |v17|
	v_cvt_f32_f16_e64 v11, |v11|
	s_delay_alu instid0(VALU_DEP_3) | instskip(NEXT) | instid1(VALU_DEP_1)
	v_max3_f32 v3, v3, v10, v20
	v_max3_f32 v3, v3, v18, v11
	s_and_not1_b32 exec_lo, exec_lo, s2
	s_cbranch_execnz .LBB18_15
; %bb.16:
	s_set_inst_prefetch_distance 0x2
	s_or_b32 exec_lo, exec_lo, s2
.LBB18_17:
	s_delay_alu instid0(SALU_CYCLE_1)
	s_or_b32 exec_lo, exec_lo, s10
.LBB18_18:
	s_delay_alu instid0(SALU_CYCLE_1) | instskip(SKIP_3) | instid1(VALU_DEP_1)
	s_or_b32 exec_lo, exec_lo, s9
	v_mbcnt_lo_u32_b32 v6, -1, 0
	s_load_b64 s[2:3], s[0:1], 0x8
	s_mov_b32 s5, exec_lo
	v_xor_b32_e32 v8, 8, v6
	v_and_b32_e32 v7, 16, v6
	v_xor_b32_e32 v9, 4, v6
	s_delay_alu instid0(VALU_DEP_2) | instskip(NEXT) | instid1(VALU_DEP_1)
	v_add_nc_u32_e32 v7, 16, v7
	v_cmp_lt_i32_e32 vcc_lo, v8, v7
	v_cndmask_b32_e32 v8, v6, v8, vcc_lo
	s_delay_alu instid0(VALU_DEP_1) | instskip(SKIP_4) | instid1(VALU_DEP_2)
	v_lshlrev_b32_e32 v8, 2, v8
	ds_bpermute_b32 v8, v8, v3
	s_waitcnt lgkmcnt(0)
	v_dual_max_f32 v3, v3, v3 :: v_dual_max_f32 v8, v8, v8
	v_cmp_lt_i32_e32 vcc_lo, v9, v7
	v_max_f32_e32 v3, v3, v8
	v_cndmask_b32_e32 v9, v6, v9, vcc_lo
	s_delay_alu instid0(VALU_DEP_1) | instskip(SKIP_2) | instid1(VALU_DEP_1)
	v_lshlrev_b32_e32 v9, 2, v9
	ds_bpermute_b32 v8, v9, v3
	v_xor_b32_e32 v9, 2, v6
	v_cmp_lt_i32_e32 vcc_lo, v9, v7
	v_cndmask_b32_e32 v9, v6, v9, vcc_lo
	s_waitcnt lgkmcnt(0)
	s_delay_alu instid0(VALU_DEP_1) | instskip(NEXT) | instid1(VALU_DEP_1)
	v_dual_max_f32 v8, v8, v8 :: v_dual_lshlrev_b32 v9, 2, v9
	v_max_f32_e32 v3, v3, v8
	ds_bpermute_b32 v8, v9, v3
	v_xor_b32_e32 v9, 1, v6
	s_delay_alu instid0(VALU_DEP_1) | instskip(SKIP_2) | instid1(VALU_DEP_1)
	v_cmp_lt_i32_e32 vcc_lo, v9, v7
	v_cndmask_b32_e32 v6, v6, v9, vcc_lo
	s_waitcnt lgkmcnt(0)
	v_dual_max_f32 v7, v8, v8 :: v_dual_lshlrev_b32 v6, 2, v6
	s_delay_alu instid0(VALU_DEP_1) | instskip(SKIP_3) | instid1(VALU_DEP_1)
	v_max_f32_e32 v3, v3, v7
	ds_bpermute_b32 v6, v6, v3
	s_waitcnt lgkmcnt(0)
	v_max_f32_e32 v6, v6, v6
	v_max_f32_e32 v3, v3, v6
	s_delay_alu instid0(VALU_DEP_1) | instskip(SKIP_1) | instid1(VALU_DEP_2)
	v_div_scale_f32 v6, null, s7, s7, v3
	v_div_scale_f32 v9, vcc_lo, v3, s7, v3
	v_rcp_f32_e32 v7, v6
	s_waitcnt_depctr 0xfff
	v_fma_f32 v8, -v6, v7, 1.0
	s_delay_alu instid0(VALU_DEP_1) | instskip(NEXT) | instid1(VALU_DEP_1)
	v_fmac_f32_e32 v7, v8, v7
	v_mul_f32_e32 v8, v9, v7
	s_delay_alu instid0(VALU_DEP_1) | instskip(NEXT) | instid1(VALU_DEP_1)
	v_fma_f32 v10, -v6, v8, v9
	v_fmac_f32_e32 v8, v10, v7
	s_delay_alu instid0(VALU_DEP_1) | instskip(NEXT) | instid1(VALU_DEP_1)
	v_fma_f32 v6, -v6, v8, v9
	v_div_fmas_f32 v6, v6, v7, v8
	s_delay_alu instid0(VALU_DEP_1) | instskip(NEXT) | instid1(VALU_DEP_1)
	v_div_fixup_f32 v3, v6, s7, v3
	v_max_f32_e64 v3, 0x2edbe6ff, |v3|
	s_delay_alu instid0(VALU_DEP_1) | instskip(SKIP_1) | instid1(VALU_DEP_1)
	v_cmp_gt_f32_e32 vcc_lo, 0x800000, v3
	v_cndmask_b32_e64 v6, 1.0, 0x4f800000, vcc_lo
	v_mul_f32_e32 v3, v3, v6
	v_cndmask_b32_e64 v6, 0, 0x42000000, vcc_lo
	s_delay_alu instid0(VALU_DEP_2) | instskip(SKIP_2) | instid1(VALU_DEP_1)
	v_log_f32_e32 v3, v3
	s_waitcnt_depctr 0xfff
	v_sub_f32_e32 v3, v3, v6
	v_ceil_f32_e32 v3, v3
	s_delay_alu instid0(VALU_DEP_1) | instskip(SKIP_1) | instid1(VALU_DEP_1)
	v_cmp_gt_f32_e32 vcc_lo, 0xc2fc0000, v3
	v_cndmask_b32_e64 v6, 0, 0x42800000, vcc_lo
	v_add_f32_e32 v3, v3, v6
	v_cndmask_b32_e64 v6, 1.0, 0x1f800000, vcc_lo
	s_delay_alu instid0(VALU_DEP_2)
	v_exp_f32_e32 v3, v3
	s_waitcnt_depctr 0xfff
	v_mul_f32_e32 v8, v3, v6
	v_cmpx_eq_u32_e32 0, v12
	s_cbranch_execz .LBB18_20
; %bb.19:
	s_load_b64 s[0:1], s[0:1], 0x10
	v_lshlrev_b64 v[1:2], 2, v[1:2]
	s_waitcnt lgkmcnt(0)
	s_delay_alu instid0(VALU_DEP_1) | instskip(NEXT) | instid1(VALU_DEP_2)
	v_add_co_u32 v1, vcc_lo, s0, v1
	v_add_co_ci_u32_e32 v2, vcc_lo, s1, v2, vcc_lo
	global_store_b32 v[1:2], v8, off
.LBB18_20:
	s_or_b32 exec_lo, exec_lo, s5
	v_dual_mov_b32 v2, 0 :: v_dual_and_b32 v1, 15, v0
	s_xor_b32 s0, s4, -1
	s_waitcnt_vscnt null, 0x0
	s_barrier
	buffer_gl0_inv
	v_cmp_ne_u64_e32 vcc_lo, 0, v[1:2]
	s_or_b32 s0, s0, vcc_lo
	s_delay_alu instid0(SALU_CYCLE_1) | instskip(NEXT) | instid1(SALU_CYCLE_1)
	s_and_saveexec_b32 s1, s0
	s_xor_b32 s4, exec_lo, s1
	s_cbranch_execz .LBB18_97
; %bb.21:
	v_sub_nc_u32_e32 v1, 0, v0
	v_add_co_u32 v15, vcc_lo, s2, v4
	v_add_co_ci_u32_e32 v16, vcc_lo, s3, v5, vcc_lo
	s_delay_alu instid0(VALU_DEP_3) | instskip(SKIP_1) | instid1(VALU_DEP_1)
	v_bfe_u32 v1, v1, 1, 3
	s_mov_b32 s0, exec_lo
	v_min_i32_e32 v10, s8, v1
	s_delay_alu instid0(VALU_DEP_1)
	v_cmpx_gt_i32_e64 v10, v12
	s_cbranch_execz .LBB18_29
; %bb.22:
	v_lshl_add_u32 v0, v12, 1, v0
	s_mov_b32 s1, exec_lo
	ds_load_u16 v0, v0
	s_waitcnt lgkmcnt(0)
	v_cvt_f32_f16_e32 v0, v0
	s_delay_alu instid0(VALU_DEP_1) | instskip(SKIP_1) | instid1(VALU_DEP_2)
	v_div_scale_f32 v1, null, v8, v8, v0
	v_div_scale_f32 v6, vcc_lo, v0, v8, v0
	v_rcp_f32_e32 v2, v1
	s_waitcnt_depctr 0xfff
	v_fma_f32 v3, -v1, v2, 1.0
	s_delay_alu instid0(VALU_DEP_1) | instskip(NEXT) | instid1(VALU_DEP_1)
	v_fmac_f32_e32 v2, v3, v2
	v_mul_f32_e32 v3, v6, v2
	s_delay_alu instid0(VALU_DEP_1) | instskip(NEXT) | instid1(VALU_DEP_1)
	v_fma_f32 v7, -v1, v3, v6
	v_fmac_f32_e32 v3, v7, v2
	s_delay_alu instid0(VALU_DEP_1) | instskip(NEXT) | instid1(VALU_DEP_1)
	v_fma_f32 v1, -v1, v3, v6
	v_div_fmas_f32 v1, v1, v2, v3
	v_max_f32_e64 v2, s6, s6
	v_max_f32_e64 v3, s7, s7
	s_delay_alu instid0(VALU_DEP_3) | instskip(SKIP_1) | instid1(VALU_DEP_2)
	v_div_fixup_f32 v0, v1, v8, v0
	v_mov_b32_e32 v1, 0x7f
	v_maxmin_f32 v0, v0, v2, v3
	s_delay_alu instid0(VALU_DEP_1) | instskip(NEXT) | instid1(VALU_DEP_1)
	v_and_b32_e32 v2, 0x7fffffff, v0
	v_cmpx_gt_u32_e32 0x43f00000, v2
	s_cbranch_execz .LBB18_28
; %bb.23:
	s_mov_b32 s5, exec_lo
                                        ; implicit-def: $vgpr1
	v_cmpx_lt_u32_e32 0x3c7fffff, v2
	s_xor_b32 s5, exec_lo, s5
; %bb.24:
	v_bfe_u32 v1, v0, 20, 1
	s_delay_alu instid0(VALU_DEP_1) | instskip(NEXT) | instid1(VALU_DEP_1)
	v_add3_u32 v1, v0, v1, 0x407ffff
	v_lshrrev_b32_e32 v1, 20, v1
; %bb.25:
	s_and_not1_saveexec_b32 s5, s5
; %bb.26:
	v_add_f32_e64 v1, 0x46800000, |v0|
; %bb.27:
	s_or_b32 exec_lo, exec_lo, s5
.LBB18_28:
	s_delay_alu instid0(SALU_CYCLE_1) | instskip(SKIP_3) | instid1(VALU_DEP_3)
	s_or_b32 exec_lo, exec_lo, s1
	v_lshrrev_b32_e32 v0, 24, v0
	v_add_co_u32 v2, vcc_lo, v15, v12
	v_add_co_ci_u32_e32 v3, vcc_lo, 0, v16, vcc_lo
	v_and_or_b32 v0, 0x80, v0, v1
	global_store_b8 v[2:3], v0, off
.LBB18_29:
	s_or_b32 exec_lo, exec_lo, s0
	v_sub_nc_u32_e32 v9, s8, v10
	v_ashrrev_i32_e32 v11, 31, v10
	v_lshlrev_b32_e32 v14, 1, v10
	s_mov_b32 s1, exec_lo
	s_delay_alu instid0(VALU_DEP_3) | instskip(NEXT) | instid1(VALU_DEP_1)
	v_ashrrev_i32_e32 v0, 31, v9
	v_lshrrev_b32_e32 v0, 29, v0
	s_delay_alu instid0(VALU_DEP_1) | instskip(NEXT) | instid1(VALU_DEP_1)
	v_add_nc_u32_e32 v0, v9, v0
	v_ashrrev_i32_e32 v17, 3, v0
	s_delay_alu instid0(VALU_DEP_1)
	v_cmpx_gt_i32_e64 v17, v12
	s_cbranch_execz .LBB18_80
; %bb.30:
	v_dual_mov_b32 v21, v12 :: v_dual_lshlrev_b32 v0, 4, v12
	v_lshlrev_b32_e32 v1, 3, v12
	v_add_co_u32 v2, vcc_lo, v10, v4
	v_add_co_ci_u32_e32 v3, vcc_lo, v11, v5, vcc_lo
	s_delay_alu instid0(VALU_DEP_4) | instskip(SKIP_1) | instid1(VALU_DEP_4)
	v_lshl_add_u32 v0, v13, 1, v0
	v_lshlrev_b32_e32 v6, 1, v10
	v_add_co_u32 v1, vcc_lo, v2, v1
	s_delay_alu instid0(VALU_DEP_4) | instskip(NEXT) | instid1(VALU_DEP_3)
	v_add_co_ci_u32_e32 v2, vcc_lo, 0, v3, vcc_lo
	v_add3_u32 v18, v0, v6, 0
	s_delay_alu instid0(VALU_DEP_3) | instskip(NEXT) | instid1(VALU_DEP_3)
	v_add_co_u32 v6, vcc_lo, s2, v1
	v_add_co_ci_u32_e32 v7, vcc_lo, s3, v2, vcc_lo
	v_max_f32_e64 v19, s6, s6
	v_max_f32_e64 v20, s7, s7
	s_mov_b32 s5, 0
	s_branch .LBB18_33
.LBB18_31:                              ;   in Loop: Header=BB18_33 Depth=1
	s_or_b32 exec_lo, exec_lo, s9
.LBB18_32:                              ;   in Loop: Header=BB18_33 Depth=1
	s_delay_alu instid0(SALU_CYCLE_1)
	s_or_b32 exec_lo, exec_lo, s0
	v_lshrrev_b32_e32 v33, 24, v33
	v_lshrrev_b32_e32 v27, 24, v27
	;; [unrolled: 1-line block ×5, first 2 shown]
	v_and_b32_e32 v33, 0x80, v33
	v_and_b32_e32 v27, 0x80, v27
	v_lshrrev_b32_e32 v30, 24, v30
	v_and_b32_e32 v2, 0x80, v2
	v_lshrrev_b32_e32 v24, 24, v24
	v_and_or_b32 v3, 0x80, v3, v32
	v_and_or_b32 v31, 0xff, v31, v33
	v_and_b32_e32 v0, 0x80, v0
	v_and_or_b32 v26, 0xff, v26, v27
	v_and_b32_e32 v30, 0x80, v30
	v_and_b32_e32 v24, 0x80, v24
	v_lshlrev_b32_e32 v3, 24, v3
	v_lshlrev_b32_e32 v31, 16, v31
	v_and_or_b32 v2, 0xff, v29, v2
	v_lshlrev_b32_e32 v25, 24, v25
	v_and_b32_e32 v1, 0x80000000, v1
	v_and_or_b32 v0, 0xff, v23, v0
	v_lshlrev_b32_e32 v23, 16, v26
	v_or_b32_e32 v3, v3, v31
	v_lshlrev_b32_e32 v2, 8, v2
	v_and_or_b32 v26, 0xff, v28, v30
	v_lshlrev_b32_e32 v0, 8, v0
	v_or3_b32 v23, v25, v1, v23
	v_and_or_b32 v22, 0xff, v22, v24
	v_add_nc_u32_e32 v21, 16, v21
	v_or3_b32 v1, v3, v2, v26
	v_add_nc_u32_e32 v18, 0x100, v18
	s_delay_alu instid0(VALU_DEP_4) | instskip(NEXT) | instid1(VALU_DEP_4)
	v_or3_b32 v0, v23, v0, v22
	v_cmp_ge_i32_e32 vcc_lo, v21, v17
	global_store_b64 v[6:7], v[0:1], off
	v_add_co_u32 v6, s0, 0x80, v6
	s_delay_alu instid0(VALU_DEP_1) | instskip(SKIP_1) | instid1(SALU_CYCLE_1)
	v_add_co_ci_u32_e64 v7, s0, 0, v7, s0
	s_or_b32 s5, vcc_lo, s5
	s_and_not1_b32 exec_lo, exec_lo, s5
	s_cbranch_execz .LBB18_80
.LBB18_33:                              ; =>This Inner Loop Header: Depth=1
	ds_load_b128 v[0:3], v18
	s_mov_b32 s0, exec_lo
	s_waitcnt lgkmcnt(0)
	v_cvt_f32_f16_e32 v22, v0
	s_delay_alu instid0(VALU_DEP_1) | instskip(SKIP_1) | instid1(VALU_DEP_2)
	v_div_scale_f32 v23, null, v8, v8, v22
	v_div_scale_f32 v26, vcc_lo, v22, v8, v22
	v_rcp_f32_e32 v24, v23
	s_waitcnt_depctr 0xfff
	v_fma_f32 v25, -v23, v24, 1.0
	s_delay_alu instid0(VALU_DEP_1) | instskip(NEXT) | instid1(VALU_DEP_1)
	v_fmac_f32_e32 v24, v25, v24
	v_mul_f32_e32 v25, v26, v24
	s_delay_alu instid0(VALU_DEP_1) | instskip(NEXT) | instid1(VALU_DEP_1)
	v_fma_f32 v27, -v23, v25, v26
	v_fmac_f32_e32 v25, v27, v24
	s_delay_alu instid0(VALU_DEP_1) | instskip(NEXT) | instid1(VALU_DEP_1)
	v_fma_f32 v23, -v23, v25, v26
	v_div_fmas_f32 v23, v23, v24, v25
	s_delay_alu instid0(VALU_DEP_1) | instskip(SKIP_1) | instid1(VALU_DEP_2)
	v_div_fixup_f32 v22, v23, v8, v22
	v_mov_b32_e32 v23, 0x7f
	v_maxmin_f32 v24, v22, v19, v20
	v_mov_b32_e32 v22, 0x7f
	s_delay_alu instid0(VALU_DEP_2) | instskip(NEXT) | instid1(VALU_DEP_1)
	v_and_b32_e32 v25, 0x7fffffff, v24
	v_cmpx_gt_u32_e32 0x43f00000, v25
	s_cbranch_execz .LBB18_39
; %bb.34:                               ;   in Loop: Header=BB18_33 Depth=1
	s_mov_b32 s9, exec_lo
                                        ; implicit-def: $vgpr22
	v_cmpx_lt_u32_e32 0x3c7fffff, v25
	s_xor_b32 s9, exec_lo, s9
; %bb.35:                               ;   in Loop: Header=BB18_33 Depth=1
	v_bfe_u32 v22, v24, 20, 1
	s_delay_alu instid0(VALU_DEP_1) | instskip(NEXT) | instid1(VALU_DEP_1)
	v_add3_u32 v22, v24, v22, 0x407ffff
	v_lshrrev_b32_e32 v22, 20, v22
; %bb.36:                               ;   in Loop: Header=BB18_33 Depth=1
	s_and_not1_saveexec_b32 s9, s9
; %bb.37:                               ;   in Loop: Header=BB18_33 Depth=1
	v_add_f32_e64 v22, 0x46800000, |v24|
; %bb.38:                               ;   in Loop: Header=BB18_33 Depth=1
	s_or_b32 exec_lo, exec_lo, s9
.LBB18_39:                              ;   in Loop: Header=BB18_33 Depth=1
	s_delay_alu instid0(SALU_CYCLE_1) | instskip(SKIP_2) | instid1(VALU_DEP_1)
	s_or_b32 exec_lo, exec_lo, s0
	v_lshrrev_b32_e32 v0, 16, v0
	s_mov_b32 s0, exec_lo
	v_cvt_f32_f16_e32 v0, v0
	s_delay_alu instid0(VALU_DEP_1) | instskip(NEXT) | instid1(VALU_DEP_1)
	v_div_scale_f32 v25, null, v8, v8, v0
	v_rcp_f32_e32 v26, v25
	s_waitcnt_depctr 0xfff
	v_fma_f32 v27, -v25, v26, 1.0
	s_delay_alu instid0(VALU_DEP_1) | instskip(SKIP_1) | instid1(VALU_DEP_1)
	v_fmac_f32_e32 v26, v27, v26
	v_div_scale_f32 v27, vcc_lo, v0, v8, v0
	v_mul_f32_e32 v28, v27, v26
	s_delay_alu instid0(VALU_DEP_1) | instskip(NEXT) | instid1(VALU_DEP_1)
	v_fma_f32 v29, -v25, v28, v27
	v_fmac_f32_e32 v28, v29, v26
	s_delay_alu instid0(VALU_DEP_1) | instskip(NEXT) | instid1(VALU_DEP_1)
	v_fma_f32 v25, -v25, v28, v27
	v_div_fmas_f32 v25, v25, v26, v28
	s_delay_alu instid0(VALU_DEP_1) | instskip(NEXT) | instid1(VALU_DEP_1)
	v_div_fixup_f32 v0, v25, v8, v0
	v_maxmin_f32 v0, v0, v19, v20
	s_delay_alu instid0(VALU_DEP_1) | instskip(NEXT) | instid1(VALU_DEP_1)
	v_and_b32_e32 v25, 0x7fffffff, v0
	v_cmpx_gt_u32_e32 0x43f00000, v25
	s_cbranch_execz .LBB18_45
; %bb.40:                               ;   in Loop: Header=BB18_33 Depth=1
	s_mov_b32 s9, exec_lo
                                        ; implicit-def: $vgpr23
	v_cmpx_lt_u32_e32 0x3c7fffff, v25
	s_xor_b32 s9, exec_lo, s9
; %bb.41:                               ;   in Loop: Header=BB18_33 Depth=1
	v_bfe_u32 v23, v0, 20, 1
	s_delay_alu instid0(VALU_DEP_1) | instskip(NEXT) | instid1(VALU_DEP_1)
	v_add3_u32 v23, v0, v23, 0x407ffff
	v_lshrrev_b32_e32 v23, 20, v23
; %bb.42:                               ;   in Loop: Header=BB18_33 Depth=1
	s_and_not1_saveexec_b32 s9, s9
; %bb.43:                               ;   in Loop: Header=BB18_33 Depth=1
	v_add_f32_e64 v23, 0x46800000, |v0|
; %bb.44:                               ;   in Loop: Header=BB18_33 Depth=1
	s_or_b32 exec_lo, exec_lo, s9
.LBB18_45:                              ;   in Loop: Header=BB18_33 Depth=1
	s_delay_alu instid0(SALU_CYCLE_1) | instskip(SKIP_2) | instid1(VALU_DEP_1)
	s_or_b32 exec_lo, exec_lo, s0
	v_cvt_f32_f16_e32 v25, v1
	s_mov_b32 s0, exec_lo
	v_div_scale_f32 v26, null, v8, v8, v25
	v_div_scale_f32 v29, vcc_lo, v25, v8, v25
	s_delay_alu instid0(VALU_DEP_2) | instskip(SKIP_2) | instid1(VALU_DEP_1)
	v_rcp_f32_e32 v27, v26
	s_waitcnt_depctr 0xfff
	v_fma_f32 v28, -v26, v27, 1.0
	v_fmac_f32_e32 v27, v28, v27
	s_delay_alu instid0(VALU_DEP_1) | instskip(NEXT) | instid1(VALU_DEP_1)
	v_mul_f32_e32 v28, v29, v27
	v_fma_f32 v30, -v26, v28, v29
	s_delay_alu instid0(VALU_DEP_1) | instskip(NEXT) | instid1(VALU_DEP_1)
	v_fmac_f32_e32 v28, v30, v27
	v_fma_f32 v26, -v26, v28, v29
	s_delay_alu instid0(VALU_DEP_1) | instskip(NEXT) | instid1(VALU_DEP_1)
	v_div_fmas_f32 v26, v26, v27, v28
	v_div_fixup_f32 v25, v26, v8, v25
	v_mov_b32_e32 v26, 0x7f
	s_delay_alu instid0(VALU_DEP_2) | instskip(SKIP_1) | instid1(VALU_DEP_2)
	v_maxmin_f32 v27, v25, v19, v20
	v_mov_b32_e32 v25, 0x7f
	v_and_b32_e32 v28, 0x7fffffff, v27
	s_delay_alu instid0(VALU_DEP_1)
	v_cmpx_gt_u32_e32 0x43f00000, v28
	s_cbranch_execz .LBB18_51
; %bb.46:                               ;   in Loop: Header=BB18_33 Depth=1
	s_mov_b32 s9, exec_lo
                                        ; implicit-def: $vgpr26
	v_cmpx_lt_u32_e32 0x3c7fffff, v28
	s_xor_b32 s9, exec_lo, s9
; %bb.47:                               ;   in Loop: Header=BB18_33 Depth=1
	v_bfe_u32 v26, v27, 20, 1
	s_delay_alu instid0(VALU_DEP_1) | instskip(NEXT) | instid1(VALU_DEP_1)
	v_add3_u32 v26, v27, v26, 0x407ffff
	v_lshrrev_b32_e32 v26, 20, v26
; %bb.48:                               ;   in Loop: Header=BB18_33 Depth=1
	s_and_not1_saveexec_b32 s9, s9
; %bb.49:                               ;   in Loop: Header=BB18_33 Depth=1
	v_add_f32_e64 v26, 0x46800000, |v27|
; %bb.50:                               ;   in Loop: Header=BB18_33 Depth=1
	s_or_b32 exec_lo, exec_lo, s9
.LBB18_51:                              ;   in Loop: Header=BB18_33 Depth=1
	s_delay_alu instid0(SALU_CYCLE_1) | instskip(SKIP_2) | instid1(VALU_DEP_1)
	s_or_b32 exec_lo, exec_lo, s0
	v_lshrrev_b32_e32 v1, 16, v1
	s_mov_b32 s0, exec_lo
	v_cvt_f32_f16_e32 v1, v1
	s_delay_alu instid0(VALU_DEP_1) | instskip(NEXT) | instid1(VALU_DEP_1)
	v_div_scale_f32 v28, null, v8, v8, v1
	v_rcp_f32_e32 v29, v28
	s_waitcnt_depctr 0xfff
	v_fma_f32 v30, -v28, v29, 1.0
	s_delay_alu instid0(VALU_DEP_1) | instskip(SKIP_1) | instid1(VALU_DEP_1)
	v_fmac_f32_e32 v29, v30, v29
	v_div_scale_f32 v30, vcc_lo, v1, v8, v1
	v_mul_f32_e32 v31, v30, v29
	s_delay_alu instid0(VALU_DEP_1) | instskip(NEXT) | instid1(VALU_DEP_1)
	v_fma_f32 v32, -v28, v31, v30
	v_fmac_f32_e32 v31, v32, v29
	s_delay_alu instid0(VALU_DEP_1) | instskip(NEXT) | instid1(VALU_DEP_1)
	v_fma_f32 v28, -v28, v31, v30
	v_div_fmas_f32 v28, v28, v29, v31
	s_delay_alu instid0(VALU_DEP_1) | instskip(NEXT) | instid1(VALU_DEP_1)
	v_div_fixup_f32 v1, v28, v8, v1
	v_maxmin_f32 v1, v1, v19, v20
	s_delay_alu instid0(VALU_DEP_1) | instskip(NEXT) | instid1(VALU_DEP_1)
	v_and_b32_e32 v28, 0x7fffffff, v1
	v_cmpx_gt_u32_e32 0x43f00000, v28
	s_cbranch_execz .LBB18_57
; %bb.52:                               ;   in Loop: Header=BB18_33 Depth=1
	s_mov_b32 s9, exec_lo
                                        ; implicit-def: $vgpr25
	v_cmpx_lt_u32_e32 0x3c7fffff, v28
	s_xor_b32 s9, exec_lo, s9
; %bb.53:                               ;   in Loop: Header=BB18_33 Depth=1
	v_bfe_u32 v25, v1, 20, 1
	s_delay_alu instid0(VALU_DEP_1) | instskip(NEXT) | instid1(VALU_DEP_1)
	v_add3_u32 v25, v1, v25, 0x407ffff
	v_lshrrev_b32_e32 v25, 20, v25
; %bb.54:                               ;   in Loop: Header=BB18_33 Depth=1
	s_and_not1_saveexec_b32 s9, s9
; %bb.55:                               ;   in Loop: Header=BB18_33 Depth=1
	v_add_f32_e64 v25, 0x46800000, |v1|
; %bb.56:                               ;   in Loop: Header=BB18_33 Depth=1
	s_or_b32 exec_lo, exec_lo, s9
.LBB18_57:                              ;   in Loop: Header=BB18_33 Depth=1
	s_delay_alu instid0(SALU_CYCLE_1) | instskip(SKIP_2) | instid1(VALU_DEP_1)
	s_or_b32 exec_lo, exec_lo, s0
	v_cvt_f32_f16_e32 v28, v2
	s_mov_b32 s0, exec_lo
	v_div_scale_f32 v29, null, v8, v8, v28
	v_div_scale_f32 v32, vcc_lo, v28, v8, v28
	s_delay_alu instid0(VALU_DEP_2) | instskip(SKIP_2) | instid1(VALU_DEP_1)
	v_rcp_f32_e32 v30, v29
	s_waitcnt_depctr 0xfff
	v_fma_f32 v31, -v29, v30, 1.0
	v_fmac_f32_e32 v30, v31, v30
	s_delay_alu instid0(VALU_DEP_1) | instskip(NEXT) | instid1(VALU_DEP_1)
	v_mul_f32_e32 v31, v32, v30
	v_fma_f32 v33, -v29, v31, v32
	s_delay_alu instid0(VALU_DEP_1) | instskip(NEXT) | instid1(VALU_DEP_1)
	v_fmac_f32_e32 v31, v33, v30
	v_fma_f32 v29, -v29, v31, v32
	s_delay_alu instid0(VALU_DEP_1) | instskip(NEXT) | instid1(VALU_DEP_1)
	v_div_fmas_f32 v29, v29, v30, v31
	v_div_fixup_f32 v28, v29, v8, v28
	v_mov_b32_e32 v29, 0x7f
	s_delay_alu instid0(VALU_DEP_2) | instskip(SKIP_1) | instid1(VALU_DEP_2)
	v_maxmin_f32 v30, v28, v19, v20
	v_mov_b32_e32 v28, 0x7f
	v_and_b32_e32 v31, 0x7fffffff, v30
	s_delay_alu instid0(VALU_DEP_1)
	v_cmpx_gt_u32_e32 0x43f00000, v31
	s_cbranch_execz .LBB18_63
; %bb.58:                               ;   in Loop: Header=BB18_33 Depth=1
	s_mov_b32 s9, exec_lo
                                        ; implicit-def: $vgpr28
	v_cmpx_lt_u32_e32 0x3c7fffff, v31
	s_xor_b32 s9, exec_lo, s9
; %bb.59:                               ;   in Loop: Header=BB18_33 Depth=1
	v_bfe_u32 v28, v30, 20, 1
	s_delay_alu instid0(VALU_DEP_1) | instskip(NEXT) | instid1(VALU_DEP_1)
	v_add3_u32 v28, v30, v28, 0x407ffff
	v_lshrrev_b32_e32 v28, 20, v28
; %bb.60:                               ;   in Loop: Header=BB18_33 Depth=1
	s_and_not1_saveexec_b32 s9, s9
; %bb.61:                               ;   in Loop: Header=BB18_33 Depth=1
	v_add_f32_e64 v28, 0x46800000, |v30|
; %bb.62:                               ;   in Loop: Header=BB18_33 Depth=1
	s_or_b32 exec_lo, exec_lo, s9
.LBB18_63:                              ;   in Loop: Header=BB18_33 Depth=1
	s_delay_alu instid0(SALU_CYCLE_1) | instskip(SKIP_2) | instid1(VALU_DEP_1)
	s_or_b32 exec_lo, exec_lo, s0
	v_lshrrev_b32_e32 v2, 16, v2
	s_mov_b32 s0, exec_lo
	v_cvt_f32_f16_e32 v2, v2
	s_delay_alu instid0(VALU_DEP_1) | instskip(NEXT) | instid1(VALU_DEP_1)
	v_div_scale_f32 v31, null, v8, v8, v2
	v_rcp_f32_e32 v32, v31
	s_waitcnt_depctr 0xfff
	v_fma_f32 v33, -v31, v32, 1.0
	s_delay_alu instid0(VALU_DEP_1) | instskip(SKIP_1) | instid1(VALU_DEP_1)
	v_fmac_f32_e32 v32, v33, v32
	v_div_scale_f32 v33, vcc_lo, v2, v8, v2
	v_mul_f32_e32 v34, v33, v32
	s_delay_alu instid0(VALU_DEP_1) | instskip(NEXT) | instid1(VALU_DEP_1)
	v_fma_f32 v35, -v31, v34, v33
	v_fmac_f32_e32 v34, v35, v32
	s_delay_alu instid0(VALU_DEP_1) | instskip(NEXT) | instid1(VALU_DEP_1)
	v_fma_f32 v31, -v31, v34, v33
	v_div_fmas_f32 v31, v31, v32, v34
	s_delay_alu instid0(VALU_DEP_1) | instskip(NEXT) | instid1(VALU_DEP_1)
	v_div_fixup_f32 v2, v31, v8, v2
	v_maxmin_f32 v2, v2, v19, v20
	s_delay_alu instid0(VALU_DEP_1) | instskip(NEXT) | instid1(VALU_DEP_1)
	v_and_b32_e32 v31, 0x7fffffff, v2
	v_cmpx_gt_u32_e32 0x43f00000, v31
	s_cbranch_execz .LBB18_69
; %bb.64:                               ;   in Loop: Header=BB18_33 Depth=1
	s_mov_b32 s9, exec_lo
                                        ; implicit-def: $vgpr29
	v_cmpx_lt_u32_e32 0x3c7fffff, v31
	s_xor_b32 s9, exec_lo, s9
; %bb.65:                               ;   in Loop: Header=BB18_33 Depth=1
	v_bfe_u32 v29, v2, 20, 1
	s_delay_alu instid0(VALU_DEP_1) | instskip(NEXT) | instid1(VALU_DEP_1)
	v_add3_u32 v29, v2, v29, 0x407ffff
	v_lshrrev_b32_e32 v29, 20, v29
; %bb.66:                               ;   in Loop: Header=BB18_33 Depth=1
	s_and_not1_saveexec_b32 s9, s9
; %bb.67:                               ;   in Loop: Header=BB18_33 Depth=1
	v_add_f32_e64 v29, 0x46800000, |v2|
; %bb.68:                               ;   in Loop: Header=BB18_33 Depth=1
	s_or_b32 exec_lo, exec_lo, s9
.LBB18_69:                              ;   in Loop: Header=BB18_33 Depth=1
	s_delay_alu instid0(SALU_CYCLE_1) | instskip(SKIP_2) | instid1(VALU_DEP_1)
	s_or_b32 exec_lo, exec_lo, s0
	v_cvt_f32_f16_e32 v31, v3
	s_mov_b32 s0, exec_lo
	v_div_scale_f32 v32, null, v8, v8, v31
	v_div_scale_f32 v35, vcc_lo, v31, v8, v31
	s_delay_alu instid0(VALU_DEP_2) | instskip(SKIP_2) | instid1(VALU_DEP_1)
	v_rcp_f32_e32 v33, v32
	s_waitcnt_depctr 0xfff
	v_fma_f32 v34, -v32, v33, 1.0
	v_fmac_f32_e32 v33, v34, v33
	s_delay_alu instid0(VALU_DEP_1) | instskip(NEXT) | instid1(VALU_DEP_1)
	v_mul_f32_e32 v34, v35, v33
	v_fma_f32 v36, -v32, v34, v35
	s_delay_alu instid0(VALU_DEP_1) | instskip(NEXT) | instid1(VALU_DEP_1)
	v_fmac_f32_e32 v34, v36, v33
	v_fma_f32 v32, -v32, v34, v35
	s_delay_alu instid0(VALU_DEP_1) | instskip(NEXT) | instid1(VALU_DEP_1)
	v_div_fmas_f32 v32, v32, v33, v34
	v_div_fixup_f32 v31, v32, v8, v31
	v_mov_b32_e32 v32, 0x7f
	s_delay_alu instid0(VALU_DEP_2) | instskip(SKIP_1) | instid1(VALU_DEP_2)
	v_maxmin_f32 v33, v31, v19, v20
	v_mov_b32_e32 v31, 0x7f
	v_and_b32_e32 v34, 0x7fffffff, v33
	s_delay_alu instid0(VALU_DEP_1)
	v_cmpx_gt_u32_e32 0x43f00000, v34
	s_cbranch_execz .LBB18_75
; %bb.70:                               ;   in Loop: Header=BB18_33 Depth=1
	s_mov_b32 s9, exec_lo
                                        ; implicit-def: $vgpr31
	v_cmpx_lt_u32_e32 0x3c7fffff, v34
	s_xor_b32 s9, exec_lo, s9
; %bb.71:                               ;   in Loop: Header=BB18_33 Depth=1
	v_bfe_u32 v31, v33, 20, 1
	s_delay_alu instid0(VALU_DEP_1) | instskip(NEXT) | instid1(VALU_DEP_1)
	v_add3_u32 v31, v33, v31, 0x407ffff
	v_lshrrev_b32_e32 v31, 20, v31
; %bb.72:                               ;   in Loop: Header=BB18_33 Depth=1
	s_and_not1_saveexec_b32 s9, s9
; %bb.73:                               ;   in Loop: Header=BB18_33 Depth=1
	v_add_f32_e64 v31, 0x46800000, |v33|
; %bb.74:                               ;   in Loop: Header=BB18_33 Depth=1
	s_or_b32 exec_lo, exec_lo, s9
.LBB18_75:                              ;   in Loop: Header=BB18_33 Depth=1
	s_delay_alu instid0(SALU_CYCLE_1) | instskip(SKIP_2) | instid1(VALU_DEP_1)
	s_or_b32 exec_lo, exec_lo, s0
	v_lshrrev_b32_e32 v3, 16, v3
	s_mov_b32 s0, exec_lo
	v_cvt_f32_f16_e32 v3, v3
	s_delay_alu instid0(VALU_DEP_1) | instskip(NEXT) | instid1(VALU_DEP_1)
	v_div_scale_f32 v34, null, v8, v8, v3
	v_rcp_f32_e32 v35, v34
	s_waitcnt_depctr 0xfff
	v_fma_f32 v36, -v34, v35, 1.0
	s_delay_alu instid0(VALU_DEP_1) | instskip(SKIP_1) | instid1(VALU_DEP_1)
	v_fmac_f32_e32 v35, v36, v35
	v_div_scale_f32 v36, vcc_lo, v3, v8, v3
	v_mul_f32_e32 v37, v36, v35
	s_delay_alu instid0(VALU_DEP_1) | instskip(NEXT) | instid1(VALU_DEP_1)
	v_fma_f32 v38, -v34, v37, v36
	v_fmac_f32_e32 v37, v38, v35
	s_delay_alu instid0(VALU_DEP_1) | instskip(NEXT) | instid1(VALU_DEP_1)
	v_fma_f32 v34, -v34, v37, v36
	v_div_fmas_f32 v34, v34, v35, v37
	s_delay_alu instid0(VALU_DEP_1) | instskip(NEXT) | instid1(VALU_DEP_1)
	v_div_fixup_f32 v3, v34, v8, v3
	v_maxmin_f32 v3, v3, v19, v20
	s_delay_alu instid0(VALU_DEP_1) | instskip(NEXT) | instid1(VALU_DEP_1)
	v_and_b32_e32 v34, 0x7fffffff, v3
	v_cmpx_gt_u32_e32 0x43f00000, v34
	s_cbranch_execz .LBB18_32
; %bb.76:                               ;   in Loop: Header=BB18_33 Depth=1
	s_mov_b32 s9, exec_lo
                                        ; implicit-def: $vgpr32
	v_cmpx_lt_u32_e32 0x3c7fffff, v34
	s_xor_b32 s9, exec_lo, s9
; %bb.77:                               ;   in Loop: Header=BB18_33 Depth=1
	v_bfe_u32 v32, v3, 20, 1
	s_delay_alu instid0(VALU_DEP_1) | instskip(NEXT) | instid1(VALU_DEP_1)
	v_add3_u32 v32, v3, v32, 0x407ffff
	v_lshrrev_b32_e32 v32, 20, v32
; %bb.78:                               ;   in Loop: Header=BB18_33 Depth=1
	s_and_not1_saveexec_b32 s9, s9
	s_cbranch_execz .LBB18_31
; %bb.79:                               ;   in Loop: Header=BB18_33 Depth=1
	v_add_f32_e64 v32, 0x46800000, |v3|
	s_branch .LBB18_31
.LBB18_80:
	s_or_b32 exec_lo, exec_lo, s1
	v_lshlrev_b32_e32 v2, 3, v17
	s_mov_b32 s5, exec_lo
	s_delay_alu instid0(VALU_DEP_1) | instskip(NEXT) | instid1(VALU_DEP_1)
	v_add_nc_u32_e32 v0, v2, v12
	v_cmpx_lt_i32_e64 v0, v9
	s_cbranch_execz .LBB18_96
; %bb.81:
	v_add_nc_u32_e32 v1, 16, v0
	s_mov_b32 s0, 0
	s_mov_b32 s1, exec_lo
	s_delay_alu instid0(VALU_DEP_1) | instskip(NEXT) | instid1(VALU_DEP_1)
	v_max_i32_e32 v3, v1, v9
	v_xad_u32 v3, v12, -1, v3
	s_delay_alu instid0(VALU_DEP_1) | instskip(NEXT) | instid1(VALU_DEP_1)
	v_sub_nc_u32_e32 v2, v3, v2
                                        ; implicit-def: $vgpr3
	v_cmpx_lt_u32_e32 15, v2
	s_xor_b32 s9, exec_lo, s1
	s_cbranch_execnz .LBB18_84
; %bb.82:
	s_and_not1_saveexec_b32 s1, s9
	s_cbranch_execnz .LBB18_87
.LBB18_83:
	s_or_b32 exec_lo, exec_lo, s1
	s_delay_alu instid0(SALU_CYCLE_1)
	s_and_b32 exec_lo, exec_lo, s0
	s_cbranch_execnz .LBB18_88
	s_branch .LBB18_96
.LBB18_84:
	v_lshrrev_b32_e32 v2, 4, v2
	v_lshlrev_b32_e32 v3, 1, v13
	v_lshlrev_b32_e32 v17, 4, v17
	v_add_co_u32 v13, vcc_lo, v15, v10
	s_delay_alu instid0(VALU_DEP_4) | instskip(SKIP_3) | instid1(VALU_DEP_4)
	v_add_nc_u32_e32 v6, 1, v2
	v_add_co_ci_u32_e32 v15, vcc_lo, v16, v11, vcc_lo
	v_mov_b32_e32 v16, v8
	v_lshlrev_b32_e32 v12, 1, v12
	v_and_b32_e32 v7, 0x1ffffffe, v6
	v_lshlrev_b32_e32 v14, 1, v10
	s_mov_b32 s0, s6
	s_mov_b32 s1, s6
	s_mov_b32 s10, s7
	v_mov_b32_e32 v21, v7
	v_add3_u32 v2, v3, v17, v14
	s_mov_b32 s11, s7
	v_max_f32_e64 v17, s0, s0
	v_max_f32_e64 v18, s1, s1
	;; [unrolled: 1-line block ×3, first 2 shown]
	v_add3_u32 v12, v2, v12, 0
	v_mov_b32_e32 v2, v1
	v_max_f32_e64 v20, s10, s10
	v_mov_b32_e32 v1, v0
	s_mov_b32 s10, 0
.LBB18_85:                              ; =>This Inner Loop Header: Depth=1
	ds_load_u16 v22, v12
	ds_load_u16 v23, v12 offset:32
	v_ashrrev_i32_e32 v25, 31, v2
	v_ashrrev_i32_e32 v26, 31, v1
	v_add_nc_u32_e32 v12, 64, v12
	v_add_nc_u32_e32 v21, -2, v21
	s_waitcnt lgkmcnt(1)
	v_cvt_f32_f16_e32 v27, v22
	s_waitcnt lgkmcnt(0)
	v_cvt_f32_f16_e32 v23, v23
	s_delay_alu instid0(VALU_DEP_2) | instskip(NEXT) | instid1(VALU_DEP_2)
	v_div_scale_f32 v22, null, v8, v8, v27
	v_div_scale_f32 v28, null, v16, v16, v23
	v_div_scale_f32 v31, vcc_lo, v27, v8, v27
	s_delay_alu instid0(VALU_DEP_3) | instskip(NEXT) | instid1(VALU_DEP_2)
	v_rcp_f32_e32 v29, v22
	v_rcp_f32_e32 v30, v28
	v_div_scale_f32 v32, s0, v23, v16, v23
	s_waitcnt_depctr 0xfff
	v_fma_f32 v33, -v22, v29, 1.0
	v_mov_b32_e32 v24, v2
	v_fma_f32 v34, -v28, v30, 1.0
	s_delay_alu instid0(VALU_DEP_3) | instskip(NEXT) | instid1(VALU_DEP_1)
	v_dual_fmac_f32 v29, v33, v29 :: v_dual_add_nc_u32 v2, 32, v2
	v_mul_f32_e32 v33, v31, v29
	s_delay_alu instid0(VALU_DEP_1) | instskip(NEXT) | instid1(VALU_DEP_1)
	v_fma_f32 v35, -v22, v33, v31
	v_dual_fmac_f32 v30, v34, v30 :: v_dual_fmac_f32 v33, v35, v29
	s_delay_alu instid0(VALU_DEP_1) | instskip(NEXT) | instid1(VALU_DEP_2)
	v_mul_f32_e32 v34, v32, v30
	v_fma_f32 v22, -v22, v33, v31
	s_delay_alu instid0(VALU_DEP_2) | instskip(NEXT) | instid1(VALU_DEP_2)
	v_fma_f32 v36, -v28, v34, v32
	v_div_fmas_f32 v29, v22, v29, v33
	s_delay_alu instid0(VALU_DEP_2) | instskip(SKIP_1) | instid1(VALU_DEP_2)
	v_fmac_f32_e32 v34, v36, v30
	s_mov_b32 vcc_lo, s0
	v_div_fixup_f32 v27, v29, v8, v27
	s_delay_alu instid0(VALU_DEP_2) | instskip(NEXT) | instid1(VALU_DEP_2)
	v_fma_f32 v28, -v28, v34, v32
	v_maxmin_f32 v27, v27, v17, v20
	s_delay_alu instid0(VALU_DEP_2) | instskip(SKIP_2) | instid1(VALU_DEP_4)
	v_div_fmas_f32 v28, v28, v30, v34
	v_add_co_u32 v22, vcc_lo, v13, v1
	v_add_nc_u32_e32 v1, 32, v1
	v_and_b32_e32 v30, 0x7fffffff, v27
	s_delay_alu instid0(VALU_DEP_4) | instskip(SKIP_1) | instid1(VALU_DEP_3)
	v_div_fixup_f32 v23, v28, v16, v23
	v_add_f32_e64 v31, 0x46800000, |v27|
	v_add_nc_u32_e32 v34, 0xc3800000, v30
	s_delay_alu instid0(VALU_DEP_3) | instskip(SKIP_2) | instid1(VALU_DEP_4)
	v_maxmin_f32 v28, v23, v18, v19
	v_add_co_ci_u32_e32 v23, vcc_lo, v15, v26, vcc_lo
	v_bfe_u32 v26, v27, 20, 1
	v_cmp_gt_u32_e64 s0, 0x7700000, v34
	s_delay_alu instid0(VALU_DEP_4)
	v_bfe_u32 v29, v28, 20, 1
	v_and_b32_e32 v32, 0x7fffffff, v28
	v_add_f32_e64 v33, 0x46800000, |v28|
	v_add3_u32 v26, v27, v26, 0x407ffff
	v_add_co_u32 v24, vcc_lo, v13, v24
	v_add3_u32 v29, v28, v29, 0x407ffff
	v_add_nc_u32_e32 v35, 0xc3800000, v32
	s_delay_alu instid0(VALU_DEP_4)
	v_lshrrev_b32_e32 v26, 20, v26
	v_lshrrev_b32_e32 v27, 24, v27
	;; [unrolled: 1-line block ×4, first 2 shown]
	v_cmp_gt_u32_e64 s1, 0x7700000, v35
	v_cndmask_b32_e64 v26, v31, v26, s0
	v_cmp_gt_u32_e64 s0, 0x43f00000, v30
	v_add_co_ci_u32_e32 v25, vcc_lo, v15, v25, vcc_lo
	s_delay_alu instid0(VALU_DEP_4) | instskip(SKIP_1) | instid1(VALU_DEP_4)
	v_cndmask_b32_e64 v29, v33, v29, s1
	v_cmp_gt_u32_e64 s1, 0x43f00000, v32
	v_cndmask_b32_e64 v26, 0x7f, v26, s0
	v_cmp_eq_u32_e32 vcc_lo, 0, v21
	s_delay_alu instid0(VALU_DEP_3) | instskip(NEXT) | instid1(VALU_DEP_3)
	v_cndmask_b32_e64 v29, 0x7f, v29, s1
	v_and_or_b32 v26, 0x80, v27, v26
	s_or_b32 s10, vcc_lo, s10
	s_delay_alu instid0(VALU_DEP_2)
	v_and_or_b32 v27, 0x80, v28, v29
	s_clause 0x1
	global_store_b8 v[22:23], v26, off
	global_store_b8 v[24:25], v27, off
	s_and_not1_b32 exec_lo, exec_lo, s10
	s_cbranch_execnz .LBB18_85
; %bb.86:
	s_or_b32 exec_lo, exec_lo, s10
	v_cmp_ne_u32_e32 vcc_lo, v6, v7
	v_lshl_add_u32 v0, v7, 4, v0
                                        ; implicit-def: $vgpr13
	s_and_b32 s0, vcc_lo, exec_lo
	s_and_not1_saveexec_b32 s1, s9
	s_cbranch_execz .LBB18_83
.LBB18_87:
	v_lshlrev_b32_e32 v3, 1, v13
	s_or_b32 s0, s0, exec_lo
	s_or_b32 exec_lo, exec_lo, s1
	s_delay_alu instid0(SALU_CYCLE_1)
	s_and_b32 exec_lo, exec_lo, s0
	s_cbranch_execz .LBB18_96
.LBB18_88:
	v_add_co_u32 v1, vcc_lo, v10, v4
	v_add_co_ci_u32_e32 v2, vcc_lo, v11, v5, vcc_lo
	v_ashrrev_i32_e32 v4, 31, v0
	s_delay_alu instid0(VALU_DEP_3) | instskip(SKIP_2) | instid1(VALU_DEP_4)
	v_add_co_u32 v1, vcc_lo, v1, v0
	v_lshl_add_u32 v3, v0, 1, v3
	v_max_f32_e64 v5, s7, s7
	v_add_co_ci_u32_e32 v2, vcc_lo, v2, v4, vcc_lo
	s_delay_alu instid0(VALU_DEP_4) | instskip(NEXT) | instid1(VALU_DEP_4)
	v_add_co_u32 v1, vcc_lo, s2, v1
	v_add3_u32 v3, v3, v14, 0
	s_delay_alu instid0(VALU_DEP_3)
	v_add_co_ci_u32_e32 v2, vcc_lo, s3, v2, vcc_lo
	v_max_f32_e64 v4, s6, s6
	s_mov_b32 s1, 0
	s_branch .LBB18_91
.LBB18_89:                              ;   in Loop: Header=BB18_91 Depth=1
	s_or_b32 exec_lo, exec_lo, s9
.LBB18_90:                              ;   in Loop: Header=BB18_91 Depth=1
	s_delay_alu instid0(SALU_CYCLE_1) | instskip(SKIP_3) | instid1(VALU_DEP_3)
	s_or_b32 exec_lo, exec_lo, s0
	v_lshrrev_b32_e32 v6, 24, v6
	v_add_nc_u32_e32 v0, 16, v0
	v_add_nc_u32_e32 v3, 32, v3
	v_and_or_b32 v6, 0x80, v6, v7
	s_delay_alu instid0(VALU_DEP_3) | instskip(SKIP_2) | instid1(VALU_DEP_1)
	v_cmp_ge_i32_e32 vcc_lo, v0, v9
	global_store_b8 v[1:2], v6, off
	v_add_co_u32 v1, s0, v1, 16
	v_add_co_ci_u32_e64 v2, s0, 0, v2, s0
	s_or_b32 s1, vcc_lo, s1
	s_delay_alu instid0(SALU_CYCLE_1)
	s_and_not1_b32 exec_lo, exec_lo, s1
	s_cbranch_execz .LBB18_96
.LBB18_91:                              ; =>This Inner Loop Header: Depth=1
	ds_load_u16 v6, v3
	s_mov_b32 s0, exec_lo
	s_waitcnt lgkmcnt(0)
	v_cvt_f32_f16_e32 v6, v6
	s_delay_alu instid0(VALU_DEP_1) | instskip(SKIP_1) | instid1(VALU_DEP_2)
	v_div_scale_f32 v7, null, v8, v8, v6
	v_div_scale_f32 v12, vcc_lo, v6, v8, v6
	v_rcp_f32_e32 v10, v7
	s_waitcnt_depctr 0xfff
	v_fma_f32 v11, -v7, v10, 1.0
	s_delay_alu instid0(VALU_DEP_1) | instskip(NEXT) | instid1(VALU_DEP_1)
	v_fmac_f32_e32 v10, v11, v10
	v_mul_f32_e32 v11, v12, v10
	s_delay_alu instid0(VALU_DEP_1) | instskip(NEXT) | instid1(VALU_DEP_1)
	v_fma_f32 v13, -v7, v11, v12
	v_fmac_f32_e32 v11, v13, v10
	s_delay_alu instid0(VALU_DEP_1) | instskip(NEXT) | instid1(VALU_DEP_1)
	v_fma_f32 v7, -v7, v11, v12
	v_div_fmas_f32 v7, v7, v10, v11
	s_delay_alu instid0(VALU_DEP_1) | instskip(SKIP_1) | instid1(VALU_DEP_2)
	v_div_fixup_f32 v6, v7, v8, v6
	v_mov_b32_e32 v7, 0x7f
	v_maxmin_f32 v6, v6, v4, v5
	s_delay_alu instid0(VALU_DEP_1) | instskip(NEXT) | instid1(VALU_DEP_1)
	v_and_b32_e32 v10, 0x7fffffff, v6
	v_cmpx_gt_u32_e32 0x43f00000, v10
	s_cbranch_execz .LBB18_90
; %bb.92:                               ;   in Loop: Header=BB18_91 Depth=1
	s_mov_b32 s9, exec_lo
                                        ; implicit-def: $vgpr7
	v_cmpx_lt_u32_e32 0x3c7fffff, v10
	s_xor_b32 s9, exec_lo, s9
; %bb.93:                               ;   in Loop: Header=BB18_91 Depth=1
	v_bfe_u32 v7, v6, 20, 1
	s_delay_alu instid0(VALU_DEP_1) | instskip(NEXT) | instid1(VALU_DEP_1)
	v_add3_u32 v7, v6, v7, 0x407ffff
	v_lshrrev_b32_e32 v7, 20, v7
; %bb.94:                               ;   in Loop: Header=BB18_91 Depth=1
	s_and_not1_saveexec_b32 s9, s9
	s_cbranch_execz .LBB18_89
; %bb.95:                               ;   in Loop: Header=BB18_91 Depth=1
	v_add_f32_e64 v7, 0x46800000, |v6|
	s_branch .LBB18_89
.LBB18_96:
	s_or_b32 exec_lo, exec_lo, s5
                                        ; implicit-def: $vgpr12
                                        ; implicit-def: $vgpr8
                                        ; implicit-def: $vgpr13
                                        ; implicit-def: $vgpr4_vgpr5
.LBB18_97:
	s_and_not1_saveexec_b32 s0, s4
	s_cbranch_execz .LBB18_149
; %bb.98:
	s_ashr_i32 s1, s8, 3
	s_mov_b32 s0, exec_lo
	v_cmpx_gt_i32_e64 s1, v12
	s_cbranch_execz .LBB18_149
; %bb.99:
	v_lshlrev_b32_e32 v0, 3, v12
	v_lshlrev_b32_e32 v1, 1, v13
	v_lshlrev_b32_e32 v2, 4, v12
	v_max_f32_e64 v7, s6, s6
	v_max_f32_e64 v9, s7, s7
	v_add_co_u32 v0, vcc_lo, v4, v0
	v_add_co_ci_u32_e32 v3, vcc_lo, 0, v5, vcc_lo
	v_add3_u32 v6, v1, v2, 0
	s_delay_alu instid0(VALU_DEP_3) | instskip(NEXT) | instid1(VALU_DEP_3)
	v_add_co_u32 v4, vcc_lo, s2, v0
	v_add_co_ci_u32_e32 v5, vcc_lo, s3, v3, vcc_lo
	s_mov_b32 s2, 0
	s_branch .LBB18_102
.LBB18_100:                             ;   in Loop: Header=BB18_102 Depth=1
	s_or_b32 exec_lo, exec_lo, s3
.LBB18_101:                             ;   in Loop: Header=BB18_102 Depth=1
	s_delay_alu instid0(SALU_CYCLE_1)
	s_or_b32 exec_lo, exec_lo, s0
	v_lshrrev_b32_e32 v22, 24, v22
	v_lshrrev_b32_e32 v16, 24, v16
	;; [unrolled: 1-line block ×5, first 2 shown]
	v_and_b32_e32 v22, 0x80, v22
	v_and_b32_e32 v16, 0x80, v16
	v_lshrrev_b32_e32 v19, 24, v19
	v_and_b32_e32 v2, 0x80, v2
	v_lshrrev_b32_e32 v13, 24, v13
	v_and_or_b32 v3, 0x80, v3, v21
	v_and_or_b32 v20, 0xff, v20, v22
	v_and_b32_e32 v0, 0x80, v0
	v_and_or_b32 v15, 0xff, v15, v16
	v_and_b32_e32 v19, 0x80, v19
	v_and_b32_e32 v13, 0x80, v13
	v_lshlrev_b32_e32 v3, 24, v3
	v_lshlrev_b32_e32 v20, 16, v20
	v_and_or_b32 v2, 0xff, v18, v2
	v_lshlrev_b32_e32 v14, 24, v14
	v_and_b32_e32 v1, 0x80000000, v1
	v_and_or_b32 v0, 0xff, v11, v0
	v_lshlrev_b32_e32 v11, 16, v15
	v_or_b32_e32 v3, v3, v20
	v_lshlrev_b32_e32 v2, 8, v2
	v_and_or_b32 v15, 0xff, v17, v19
	v_lshlrev_b32_e32 v0, 8, v0
	v_or3_b32 v11, v14, v1, v11
	v_and_or_b32 v10, 0xff, v10, v13
	v_add_nc_u32_e32 v12, 16, v12
	v_or3_b32 v1, v3, v2, v15
	v_add_nc_u32_e32 v6, 0x100, v6
	s_delay_alu instid0(VALU_DEP_4) | instskip(NEXT) | instid1(VALU_DEP_4)
	v_or3_b32 v0, v11, v0, v10
	v_cmp_le_i32_e32 vcc_lo, s1, v12
	global_store_b64 v[4:5], v[0:1], off
	v_add_co_u32 v4, s0, 0x80, v4
	s_delay_alu instid0(VALU_DEP_1) | instskip(SKIP_1) | instid1(SALU_CYCLE_1)
	v_add_co_ci_u32_e64 v5, s0, 0, v5, s0
	s_or_b32 s2, vcc_lo, s2
	s_and_not1_b32 exec_lo, exec_lo, s2
	s_cbranch_execz .LBB18_149
.LBB18_102:                             ; =>This Inner Loop Header: Depth=1
	ds_load_b128 v[0:3], v6
	s_mov_b32 s0, exec_lo
	s_waitcnt lgkmcnt(0)
	v_cvt_f32_f16_e32 v10, v0
	s_delay_alu instid0(VALU_DEP_1) | instskip(SKIP_1) | instid1(VALU_DEP_2)
	v_div_scale_f32 v11, null, v8, v8, v10
	v_div_scale_f32 v15, vcc_lo, v10, v8, v10
	v_rcp_f32_e32 v13, v11
	s_waitcnt_depctr 0xfff
	v_fma_f32 v14, -v11, v13, 1.0
	s_delay_alu instid0(VALU_DEP_1) | instskip(NEXT) | instid1(VALU_DEP_1)
	v_fmac_f32_e32 v13, v14, v13
	v_mul_f32_e32 v14, v15, v13
	s_delay_alu instid0(VALU_DEP_1) | instskip(NEXT) | instid1(VALU_DEP_1)
	v_fma_f32 v16, -v11, v14, v15
	v_fmac_f32_e32 v14, v16, v13
	s_delay_alu instid0(VALU_DEP_1) | instskip(NEXT) | instid1(VALU_DEP_1)
	v_fma_f32 v11, -v11, v14, v15
	v_div_fmas_f32 v11, v11, v13, v14
	s_delay_alu instid0(VALU_DEP_1) | instskip(SKIP_1) | instid1(VALU_DEP_2)
	v_div_fixup_f32 v10, v11, v8, v10
	v_mov_b32_e32 v11, 0x7f
	v_maxmin_f32 v13, v10, v7, v9
	v_mov_b32_e32 v10, 0x7f
	s_delay_alu instid0(VALU_DEP_2) | instskip(NEXT) | instid1(VALU_DEP_1)
	v_and_b32_e32 v14, 0x7fffffff, v13
	v_cmpx_gt_u32_e32 0x43f00000, v14
	s_cbranch_execz .LBB18_108
; %bb.103:                              ;   in Loop: Header=BB18_102 Depth=1
	s_mov_b32 s3, exec_lo
                                        ; implicit-def: $vgpr10
	v_cmpx_lt_u32_e32 0x3c7fffff, v14
	s_xor_b32 s3, exec_lo, s3
; %bb.104:                              ;   in Loop: Header=BB18_102 Depth=1
	v_bfe_u32 v10, v13, 20, 1
	s_delay_alu instid0(VALU_DEP_1) | instskip(NEXT) | instid1(VALU_DEP_1)
	v_add3_u32 v10, v13, v10, 0x407ffff
	v_lshrrev_b32_e32 v10, 20, v10
; %bb.105:                              ;   in Loop: Header=BB18_102 Depth=1
	s_and_not1_saveexec_b32 s3, s3
; %bb.106:                              ;   in Loop: Header=BB18_102 Depth=1
	v_add_f32_e64 v10, 0x46800000, |v13|
; %bb.107:                              ;   in Loop: Header=BB18_102 Depth=1
	s_or_b32 exec_lo, exec_lo, s3
.LBB18_108:                             ;   in Loop: Header=BB18_102 Depth=1
	s_delay_alu instid0(SALU_CYCLE_1) | instskip(SKIP_2) | instid1(VALU_DEP_1)
	s_or_b32 exec_lo, exec_lo, s0
	v_lshrrev_b32_e32 v0, 16, v0
	s_mov_b32 s0, exec_lo
	v_cvt_f32_f16_e32 v0, v0
	s_delay_alu instid0(VALU_DEP_1) | instskip(NEXT) | instid1(VALU_DEP_1)
	v_div_scale_f32 v14, null, v8, v8, v0
	v_rcp_f32_e32 v15, v14
	s_waitcnt_depctr 0xfff
	v_fma_f32 v16, -v14, v15, 1.0
	s_delay_alu instid0(VALU_DEP_1) | instskip(SKIP_1) | instid1(VALU_DEP_1)
	v_fmac_f32_e32 v15, v16, v15
	v_div_scale_f32 v16, vcc_lo, v0, v8, v0
	v_mul_f32_e32 v17, v16, v15
	s_delay_alu instid0(VALU_DEP_1) | instskip(NEXT) | instid1(VALU_DEP_1)
	v_fma_f32 v18, -v14, v17, v16
	v_fmac_f32_e32 v17, v18, v15
	s_delay_alu instid0(VALU_DEP_1) | instskip(NEXT) | instid1(VALU_DEP_1)
	v_fma_f32 v14, -v14, v17, v16
	v_div_fmas_f32 v14, v14, v15, v17
	s_delay_alu instid0(VALU_DEP_1) | instskip(NEXT) | instid1(VALU_DEP_1)
	v_div_fixup_f32 v0, v14, v8, v0
	v_maxmin_f32 v0, v0, v7, v9
	s_delay_alu instid0(VALU_DEP_1) | instskip(NEXT) | instid1(VALU_DEP_1)
	v_and_b32_e32 v14, 0x7fffffff, v0
	v_cmpx_gt_u32_e32 0x43f00000, v14
	s_cbranch_execz .LBB18_114
; %bb.109:                              ;   in Loop: Header=BB18_102 Depth=1
	s_mov_b32 s3, exec_lo
                                        ; implicit-def: $vgpr11
	v_cmpx_lt_u32_e32 0x3c7fffff, v14
	s_xor_b32 s3, exec_lo, s3
; %bb.110:                              ;   in Loop: Header=BB18_102 Depth=1
	v_bfe_u32 v11, v0, 20, 1
	s_delay_alu instid0(VALU_DEP_1) | instskip(NEXT) | instid1(VALU_DEP_1)
	v_add3_u32 v11, v0, v11, 0x407ffff
	v_lshrrev_b32_e32 v11, 20, v11
; %bb.111:                              ;   in Loop: Header=BB18_102 Depth=1
	s_and_not1_saveexec_b32 s3, s3
; %bb.112:                              ;   in Loop: Header=BB18_102 Depth=1
	v_add_f32_e64 v11, 0x46800000, |v0|
; %bb.113:                              ;   in Loop: Header=BB18_102 Depth=1
	s_or_b32 exec_lo, exec_lo, s3
.LBB18_114:                             ;   in Loop: Header=BB18_102 Depth=1
	s_delay_alu instid0(SALU_CYCLE_1) | instskip(SKIP_2) | instid1(VALU_DEP_1)
	s_or_b32 exec_lo, exec_lo, s0
	v_cvt_f32_f16_e32 v14, v1
	s_mov_b32 s0, exec_lo
	v_div_scale_f32 v15, null, v8, v8, v14
	v_div_scale_f32 v18, vcc_lo, v14, v8, v14
	s_delay_alu instid0(VALU_DEP_2) | instskip(SKIP_2) | instid1(VALU_DEP_1)
	v_rcp_f32_e32 v16, v15
	s_waitcnt_depctr 0xfff
	v_fma_f32 v17, -v15, v16, 1.0
	v_fmac_f32_e32 v16, v17, v16
	s_delay_alu instid0(VALU_DEP_1) | instskip(NEXT) | instid1(VALU_DEP_1)
	v_mul_f32_e32 v17, v18, v16
	v_fma_f32 v19, -v15, v17, v18
	s_delay_alu instid0(VALU_DEP_1) | instskip(NEXT) | instid1(VALU_DEP_1)
	v_fmac_f32_e32 v17, v19, v16
	v_fma_f32 v15, -v15, v17, v18
	s_delay_alu instid0(VALU_DEP_1) | instskip(NEXT) | instid1(VALU_DEP_1)
	v_div_fmas_f32 v15, v15, v16, v17
	v_div_fixup_f32 v14, v15, v8, v14
	v_mov_b32_e32 v15, 0x7f
	s_delay_alu instid0(VALU_DEP_2) | instskip(SKIP_1) | instid1(VALU_DEP_2)
	v_maxmin_f32 v16, v14, v7, v9
	v_mov_b32_e32 v14, 0x7f
	v_and_b32_e32 v17, 0x7fffffff, v16
	s_delay_alu instid0(VALU_DEP_1)
	v_cmpx_gt_u32_e32 0x43f00000, v17
	s_cbranch_execz .LBB18_120
; %bb.115:                              ;   in Loop: Header=BB18_102 Depth=1
	s_mov_b32 s3, exec_lo
                                        ; implicit-def: $vgpr15
	v_cmpx_lt_u32_e32 0x3c7fffff, v17
	s_xor_b32 s3, exec_lo, s3
; %bb.116:                              ;   in Loop: Header=BB18_102 Depth=1
	v_bfe_u32 v15, v16, 20, 1
	s_delay_alu instid0(VALU_DEP_1) | instskip(NEXT) | instid1(VALU_DEP_1)
	v_add3_u32 v15, v16, v15, 0x407ffff
	v_lshrrev_b32_e32 v15, 20, v15
; %bb.117:                              ;   in Loop: Header=BB18_102 Depth=1
	s_and_not1_saveexec_b32 s3, s3
; %bb.118:                              ;   in Loop: Header=BB18_102 Depth=1
	v_add_f32_e64 v15, 0x46800000, |v16|
; %bb.119:                              ;   in Loop: Header=BB18_102 Depth=1
	s_or_b32 exec_lo, exec_lo, s3
.LBB18_120:                             ;   in Loop: Header=BB18_102 Depth=1
	s_delay_alu instid0(SALU_CYCLE_1) | instskip(SKIP_2) | instid1(VALU_DEP_1)
	s_or_b32 exec_lo, exec_lo, s0
	v_lshrrev_b32_e32 v1, 16, v1
	s_mov_b32 s0, exec_lo
	v_cvt_f32_f16_e32 v1, v1
	s_delay_alu instid0(VALU_DEP_1) | instskip(NEXT) | instid1(VALU_DEP_1)
	v_div_scale_f32 v17, null, v8, v8, v1
	v_rcp_f32_e32 v18, v17
	s_waitcnt_depctr 0xfff
	v_fma_f32 v19, -v17, v18, 1.0
	s_delay_alu instid0(VALU_DEP_1) | instskip(SKIP_1) | instid1(VALU_DEP_1)
	v_fmac_f32_e32 v18, v19, v18
	v_div_scale_f32 v19, vcc_lo, v1, v8, v1
	v_mul_f32_e32 v20, v19, v18
	s_delay_alu instid0(VALU_DEP_1) | instskip(NEXT) | instid1(VALU_DEP_1)
	v_fma_f32 v21, -v17, v20, v19
	v_fmac_f32_e32 v20, v21, v18
	s_delay_alu instid0(VALU_DEP_1) | instskip(NEXT) | instid1(VALU_DEP_1)
	v_fma_f32 v17, -v17, v20, v19
	v_div_fmas_f32 v17, v17, v18, v20
	s_delay_alu instid0(VALU_DEP_1) | instskip(NEXT) | instid1(VALU_DEP_1)
	v_div_fixup_f32 v1, v17, v8, v1
	v_maxmin_f32 v1, v1, v7, v9
	s_delay_alu instid0(VALU_DEP_1) | instskip(NEXT) | instid1(VALU_DEP_1)
	v_and_b32_e32 v17, 0x7fffffff, v1
	v_cmpx_gt_u32_e32 0x43f00000, v17
	s_cbranch_execz .LBB18_126
; %bb.121:                              ;   in Loop: Header=BB18_102 Depth=1
	s_mov_b32 s3, exec_lo
                                        ; implicit-def: $vgpr14
	v_cmpx_lt_u32_e32 0x3c7fffff, v17
	s_xor_b32 s3, exec_lo, s3
; %bb.122:                              ;   in Loop: Header=BB18_102 Depth=1
	v_bfe_u32 v14, v1, 20, 1
	s_delay_alu instid0(VALU_DEP_1) | instskip(NEXT) | instid1(VALU_DEP_1)
	v_add3_u32 v14, v1, v14, 0x407ffff
	v_lshrrev_b32_e32 v14, 20, v14
; %bb.123:                              ;   in Loop: Header=BB18_102 Depth=1
	s_and_not1_saveexec_b32 s3, s3
; %bb.124:                              ;   in Loop: Header=BB18_102 Depth=1
	v_add_f32_e64 v14, 0x46800000, |v1|
; %bb.125:                              ;   in Loop: Header=BB18_102 Depth=1
	s_or_b32 exec_lo, exec_lo, s3
.LBB18_126:                             ;   in Loop: Header=BB18_102 Depth=1
	s_delay_alu instid0(SALU_CYCLE_1) | instskip(SKIP_2) | instid1(VALU_DEP_1)
	s_or_b32 exec_lo, exec_lo, s0
	v_cvt_f32_f16_e32 v17, v2
	s_mov_b32 s0, exec_lo
	v_div_scale_f32 v18, null, v8, v8, v17
	v_div_scale_f32 v21, vcc_lo, v17, v8, v17
	s_delay_alu instid0(VALU_DEP_2) | instskip(SKIP_2) | instid1(VALU_DEP_1)
	v_rcp_f32_e32 v19, v18
	s_waitcnt_depctr 0xfff
	v_fma_f32 v20, -v18, v19, 1.0
	v_fmac_f32_e32 v19, v20, v19
	s_delay_alu instid0(VALU_DEP_1) | instskip(NEXT) | instid1(VALU_DEP_1)
	v_mul_f32_e32 v20, v21, v19
	v_fma_f32 v22, -v18, v20, v21
	s_delay_alu instid0(VALU_DEP_1) | instskip(NEXT) | instid1(VALU_DEP_1)
	v_fmac_f32_e32 v20, v22, v19
	v_fma_f32 v18, -v18, v20, v21
	s_delay_alu instid0(VALU_DEP_1) | instskip(NEXT) | instid1(VALU_DEP_1)
	v_div_fmas_f32 v18, v18, v19, v20
	v_div_fixup_f32 v17, v18, v8, v17
	v_mov_b32_e32 v18, 0x7f
	s_delay_alu instid0(VALU_DEP_2) | instskip(SKIP_1) | instid1(VALU_DEP_2)
	v_maxmin_f32 v19, v17, v7, v9
	v_mov_b32_e32 v17, 0x7f
	v_and_b32_e32 v20, 0x7fffffff, v19
	s_delay_alu instid0(VALU_DEP_1)
	v_cmpx_gt_u32_e32 0x43f00000, v20
	s_cbranch_execz .LBB18_132
; %bb.127:                              ;   in Loop: Header=BB18_102 Depth=1
	s_mov_b32 s3, exec_lo
                                        ; implicit-def: $vgpr17
	v_cmpx_lt_u32_e32 0x3c7fffff, v20
	s_xor_b32 s3, exec_lo, s3
; %bb.128:                              ;   in Loop: Header=BB18_102 Depth=1
	v_bfe_u32 v17, v19, 20, 1
	s_delay_alu instid0(VALU_DEP_1) | instskip(NEXT) | instid1(VALU_DEP_1)
	v_add3_u32 v17, v19, v17, 0x407ffff
	v_lshrrev_b32_e32 v17, 20, v17
; %bb.129:                              ;   in Loop: Header=BB18_102 Depth=1
	s_and_not1_saveexec_b32 s3, s3
; %bb.130:                              ;   in Loop: Header=BB18_102 Depth=1
	v_add_f32_e64 v17, 0x46800000, |v19|
; %bb.131:                              ;   in Loop: Header=BB18_102 Depth=1
	s_or_b32 exec_lo, exec_lo, s3
.LBB18_132:                             ;   in Loop: Header=BB18_102 Depth=1
	s_delay_alu instid0(SALU_CYCLE_1) | instskip(SKIP_2) | instid1(VALU_DEP_1)
	s_or_b32 exec_lo, exec_lo, s0
	v_lshrrev_b32_e32 v2, 16, v2
	s_mov_b32 s0, exec_lo
	v_cvt_f32_f16_e32 v2, v2
	s_delay_alu instid0(VALU_DEP_1) | instskip(NEXT) | instid1(VALU_DEP_1)
	v_div_scale_f32 v20, null, v8, v8, v2
	v_rcp_f32_e32 v21, v20
	s_waitcnt_depctr 0xfff
	v_fma_f32 v22, -v20, v21, 1.0
	s_delay_alu instid0(VALU_DEP_1) | instskip(SKIP_1) | instid1(VALU_DEP_1)
	v_fmac_f32_e32 v21, v22, v21
	v_div_scale_f32 v22, vcc_lo, v2, v8, v2
	v_mul_f32_e32 v23, v22, v21
	s_delay_alu instid0(VALU_DEP_1) | instskip(NEXT) | instid1(VALU_DEP_1)
	v_fma_f32 v24, -v20, v23, v22
	v_fmac_f32_e32 v23, v24, v21
	s_delay_alu instid0(VALU_DEP_1) | instskip(NEXT) | instid1(VALU_DEP_1)
	v_fma_f32 v20, -v20, v23, v22
	v_div_fmas_f32 v20, v20, v21, v23
	s_delay_alu instid0(VALU_DEP_1) | instskip(NEXT) | instid1(VALU_DEP_1)
	v_div_fixup_f32 v2, v20, v8, v2
	v_maxmin_f32 v2, v2, v7, v9
	s_delay_alu instid0(VALU_DEP_1) | instskip(NEXT) | instid1(VALU_DEP_1)
	v_and_b32_e32 v20, 0x7fffffff, v2
	v_cmpx_gt_u32_e32 0x43f00000, v20
	s_cbranch_execz .LBB18_138
; %bb.133:                              ;   in Loop: Header=BB18_102 Depth=1
	s_mov_b32 s3, exec_lo
                                        ; implicit-def: $vgpr18
	v_cmpx_lt_u32_e32 0x3c7fffff, v20
	s_xor_b32 s3, exec_lo, s3
; %bb.134:                              ;   in Loop: Header=BB18_102 Depth=1
	v_bfe_u32 v18, v2, 20, 1
	s_delay_alu instid0(VALU_DEP_1) | instskip(NEXT) | instid1(VALU_DEP_1)
	v_add3_u32 v18, v2, v18, 0x407ffff
	v_lshrrev_b32_e32 v18, 20, v18
; %bb.135:                              ;   in Loop: Header=BB18_102 Depth=1
	s_and_not1_saveexec_b32 s3, s3
; %bb.136:                              ;   in Loop: Header=BB18_102 Depth=1
	v_add_f32_e64 v18, 0x46800000, |v2|
; %bb.137:                              ;   in Loop: Header=BB18_102 Depth=1
	s_or_b32 exec_lo, exec_lo, s3
.LBB18_138:                             ;   in Loop: Header=BB18_102 Depth=1
	s_delay_alu instid0(SALU_CYCLE_1) | instskip(SKIP_2) | instid1(VALU_DEP_1)
	s_or_b32 exec_lo, exec_lo, s0
	v_cvt_f32_f16_e32 v20, v3
	s_mov_b32 s0, exec_lo
	v_div_scale_f32 v21, null, v8, v8, v20
	v_div_scale_f32 v24, vcc_lo, v20, v8, v20
	s_delay_alu instid0(VALU_DEP_2) | instskip(SKIP_2) | instid1(VALU_DEP_1)
	v_rcp_f32_e32 v22, v21
	s_waitcnt_depctr 0xfff
	v_fma_f32 v23, -v21, v22, 1.0
	v_fmac_f32_e32 v22, v23, v22
	s_delay_alu instid0(VALU_DEP_1) | instskip(NEXT) | instid1(VALU_DEP_1)
	v_mul_f32_e32 v23, v24, v22
	v_fma_f32 v25, -v21, v23, v24
	s_delay_alu instid0(VALU_DEP_1) | instskip(NEXT) | instid1(VALU_DEP_1)
	v_fmac_f32_e32 v23, v25, v22
	v_fma_f32 v21, -v21, v23, v24
	s_delay_alu instid0(VALU_DEP_1) | instskip(NEXT) | instid1(VALU_DEP_1)
	v_div_fmas_f32 v21, v21, v22, v23
	v_div_fixup_f32 v20, v21, v8, v20
	v_mov_b32_e32 v21, 0x7f
	s_delay_alu instid0(VALU_DEP_2) | instskip(SKIP_1) | instid1(VALU_DEP_2)
	v_maxmin_f32 v22, v20, v7, v9
	v_mov_b32_e32 v20, 0x7f
	v_and_b32_e32 v23, 0x7fffffff, v22
	s_delay_alu instid0(VALU_DEP_1)
	v_cmpx_gt_u32_e32 0x43f00000, v23
	s_cbranch_execz .LBB18_144
; %bb.139:                              ;   in Loop: Header=BB18_102 Depth=1
	s_mov_b32 s3, exec_lo
                                        ; implicit-def: $vgpr20
	v_cmpx_lt_u32_e32 0x3c7fffff, v23
	s_xor_b32 s3, exec_lo, s3
; %bb.140:                              ;   in Loop: Header=BB18_102 Depth=1
	v_bfe_u32 v20, v22, 20, 1
	s_delay_alu instid0(VALU_DEP_1) | instskip(NEXT) | instid1(VALU_DEP_1)
	v_add3_u32 v20, v22, v20, 0x407ffff
	v_lshrrev_b32_e32 v20, 20, v20
; %bb.141:                              ;   in Loop: Header=BB18_102 Depth=1
	s_and_not1_saveexec_b32 s3, s3
; %bb.142:                              ;   in Loop: Header=BB18_102 Depth=1
	v_add_f32_e64 v20, 0x46800000, |v22|
; %bb.143:                              ;   in Loop: Header=BB18_102 Depth=1
	s_or_b32 exec_lo, exec_lo, s3
.LBB18_144:                             ;   in Loop: Header=BB18_102 Depth=1
	s_delay_alu instid0(SALU_CYCLE_1) | instskip(SKIP_2) | instid1(VALU_DEP_1)
	s_or_b32 exec_lo, exec_lo, s0
	v_lshrrev_b32_e32 v3, 16, v3
	s_mov_b32 s0, exec_lo
	v_cvt_f32_f16_e32 v3, v3
	s_delay_alu instid0(VALU_DEP_1) | instskip(NEXT) | instid1(VALU_DEP_1)
	v_div_scale_f32 v23, null, v8, v8, v3
	v_rcp_f32_e32 v24, v23
	s_waitcnt_depctr 0xfff
	v_fma_f32 v25, -v23, v24, 1.0
	s_delay_alu instid0(VALU_DEP_1) | instskip(SKIP_1) | instid1(VALU_DEP_1)
	v_fmac_f32_e32 v24, v25, v24
	v_div_scale_f32 v25, vcc_lo, v3, v8, v3
	v_mul_f32_e32 v26, v25, v24
	s_delay_alu instid0(VALU_DEP_1) | instskip(NEXT) | instid1(VALU_DEP_1)
	v_fma_f32 v27, -v23, v26, v25
	v_fmac_f32_e32 v26, v27, v24
	s_delay_alu instid0(VALU_DEP_1) | instskip(NEXT) | instid1(VALU_DEP_1)
	v_fma_f32 v23, -v23, v26, v25
	v_div_fmas_f32 v23, v23, v24, v26
	s_delay_alu instid0(VALU_DEP_1) | instskip(NEXT) | instid1(VALU_DEP_1)
	v_div_fixup_f32 v3, v23, v8, v3
	v_maxmin_f32 v3, v3, v7, v9
	s_delay_alu instid0(VALU_DEP_1) | instskip(NEXT) | instid1(VALU_DEP_1)
	v_and_b32_e32 v23, 0x7fffffff, v3
	v_cmpx_gt_u32_e32 0x43f00000, v23
	s_cbranch_execz .LBB18_101
; %bb.145:                              ;   in Loop: Header=BB18_102 Depth=1
	s_mov_b32 s3, exec_lo
                                        ; implicit-def: $vgpr21
	v_cmpx_lt_u32_e32 0x3c7fffff, v23
	s_xor_b32 s3, exec_lo, s3
; %bb.146:                              ;   in Loop: Header=BB18_102 Depth=1
	v_bfe_u32 v21, v3, 20, 1
	s_delay_alu instid0(VALU_DEP_1) | instskip(NEXT) | instid1(VALU_DEP_1)
	v_add3_u32 v21, v3, v21, 0x407ffff
	v_lshrrev_b32_e32 v21, 20, v21
; %bb.147:                              ;   in Loop: Header=BB18_102 Depth=1
	s_and_not1_saveexec_b32 s3, s3
	s_cbranch_execz .LBB18_100
; %bb.148:                              ;   in Loop: Header=BB18_102 Depth=1
	v_add_f32_e64 v21, 0x46800000, |v3|
	s_branch .LBB18_100
.LBB18_149:
	s_nop 0
	s_sendmsg sendmsg(MSG_DEALLOC_VGPRS)
	s_endpgm
	.section	.rodata,"a",@progbits
	.p2align	6, 0x0
	.amdhsa_kernel _Z33per_token_group_quant_8bit_kernelIN3c104HalfENS0_13Float8_e4m3fnELb0ELb1EfEvPKT_PvPT3_iiifffii
		.amdhsa_group_segment_fixed_size 0
		.amdhsa_private_segment_fixed_size 0
		.amdhsa_kernarg_size 56
		.amdhsa_user_sgpr_count 15
		.amdhsa_user_sgpr_dispatch_ptr 0
		.amdhsa_user_sgpr_queue_ptr 0
		.amdhsa_user_sgpr_kernarg_segment_ptr 1
		.amdhsa_user_sgpr_dispatch_id 0
		.amdhsa_user_sgpr_private_segment_size 0
		.amdhsa_wavefront_size32 1
		.amdhsa_uses_dynamic_stack 0
		.amdhsa_enable_private_segment 0
		.amdhsa_system_sgpr_workgroup_id_x 1
		.amdhsa_system_sgpr_workgroup_id_y 0
		.amdhsa_system_sgpr_workgroup_id_z 0
		.amdhsa_system_sgpr_workgroup_info 0
		.amdhsa_system_vgpr_workitem_id 0
		.amdhsa_next_free_vgpr 39
		.amdhsa_next_free_sgpr 16
		.amdhsa_reserve_vcc 1
		.amdhsa_float_round_mode_32 0
		.amdhsa_float_round_mode_16_64 0
		.amdhsa_float_denorm_mode_32 3
		.amdhsa_float_denorm_mode_16_64 3
		.amdhsa_dx10_clamp 1
		.amdhsa_ieee_mode 1
		.amdhsa_fp16_overflow 0
		.amdhsa_workgroup_processor_mode 1
		.amdhsa_memory_ordered 1
		.amdhsa_forward_progress 0
		.amdhsa_shared_vgpr_count 0
		.amdhsa_exception_fp_ieee_invalid_op 0
		.amdhsa_exception_fp_denorm_src 0
		.amdhsa_exception_fp_ieee_div_zero 0
		.amdhsa_exception_fp_ieee_overflow 0
		.amdhsa_exception_fp_ieee_underflow 0
		.amdhsa_exception_fp_ieee_inexact 0
		.amdhsa_exception_int_div_zero 0
	.end_amdhsa_kernel
	.section	.text._Z33per_token_group_quant_8bit_kernelIN3c104HalfENS0_13Float8_e4m3fnELb0ELb1EfEvPKT_PvPT3_iiifffii,"axG",@progbits,_Z33per_token_group_quant_8bit_kernelIN3c104HalfENS0_13Float8_e4m3fnELb0ELb1EfEvPKT_PvPT3_iiifffii,comdat
.Lfunc_end18:
	.size	_Z33per_token_group_quant_8bit_kernelIN3c104HalfENS0_13Float8_e4m3fnELb0ELb1EfEvPKT_PvPT3_iiifffii, .Lfunc_end18-_Z33per_token_group_quant_8bit_kernelIN3c104HalfENS0_13Float8_e4m3fnELb0ELb1EfEvPKT_PvPT3_iiifffii
                                        ; -- End function
	.section	.AMDGPU.csdata,"",@progbits
; Kernel info:
; codeLenInByte = 7732
; NumSgprs: 18
; NumVgprs: 39
; ScratchSize: 0
; MemoryBound: 0
; FloatMode: 240
; IeeeMode: 1
; LDSByteSize: 0 bytes/workgroup (compile time only)
; SGPRBlocks: 2
; VGPRBlocks: 4
; NumSGPRsForWavesPerEU: 18
; NumVGPRsForWavesPerEU: 39
; Occupancy: 16
; WaveLimiterHint : 0
; COMPUTE_PGM_RSRC2:SCRATCH_EN: 0
; COMPUTE_PGM_RSRC2:USER_SGPR: 15
; COMPUTE_PGM_RSRC2:TRAP_HANDLER: 0
; COMPUTE_PGM_RSRC2:TGID_X_EN: 1
; COMPUTE_PGM_RSRC2:TGID_Y_EN: 0
; COMPUTE_PGM_RSRC2:TGID_Z_EN: 0
; COMPUTE_PGM_RSRC2:TIDIG_COMP_CNT: 0
	.section	.text._Z33per_token_group_quant_8bit_kernelIN3c104HalfENS0_13Float8_e4m3fnELb0ELb0EfEvPKT_PvPT3_iiifffii,"axG",@progbits,_Z33per_token_group_quant_8bit_kernelIN3c104HalfENS0_13Float8_e4m3fnELb0ELb0EfEvPKT_PvPT3_iiifffii,comdat
	.protected	_Z33per_token_group_quant_8bit_kernelIN3c104HalfENS0_13Float8_e4m3fnELb0ELb0EfEvPKT_PvPT3_iiifffii ; -- Begin function _Z33per_token_group_quant_8bit_kernelIN3c104HalfENS0_13Float8_e4m3fnELb0ELb0EfEvPKT_PvPT3_iiifffii
	.globl	_Z33per_token_group_quant_8bit_kernelIN3c104HalfENS0_13Float8_e4m3fnELb0ELb0EfEvPKT_PvPT3_iiifffii
	.p2align	8
	.type	_Z33per_token_group_quant_8bit_kernelIN3c104HalfENS0_13Float8_e4m3fnELb0ELb0EfEvPKT_PvPT3_iiifffii,@function
_Z33per_token_group_quant_8bit_kernelIN3c104HalfENS0_13Float8_e4m3fnELb0ELb0EfEvPKT_PvPT3_iiifffii: ; @_Z33per_token_group_quant_8bit_kernelIN3c104HalfENS0_13Float8_e4m3fnELb0ELb0EfEvPKT_PvPT3_iiifffii
; %bb.0:
	s_clause 0x1
	s_load_b128 s[4:7], s[0:1], 0x20
	s_load_b32 s8, s[0:1], 0x18
	v_lshrrev_b32_e32 v3, 4, v0
	v_and_b32_e32 v12, 15, v0
	s_waitcnt lgkmcnt(0)
	s_mul_i32 s15, s15, s4
	s_ashr_i32 s4, s8, 31
	v_add_co_u32 v1, s2, s15, v3
	s_delay_alu instid0(VALU_DEP_1) | instskip(SKIP_1) | instid1(VALU_DEP_2)
	v_add_co_ci_u32_e64 v2, null, 0, 0, s2
	s_load_b64 s[2:3], s[0:1], 0x0
	v_mul_lo_u32 v7, v1, s4
	v_mad_u64_u32 v[4:5], null, v1, s8, 0
	s_delay_alu instid0(VALU_DEP_3) | instskip(SKIP_2) | instid1(SALU_CYCLE_1)
	v_mul_lo_u32 v6, v2, s8
	v_mul_lo_u32 v13, v3, s8
	s_and_b32 s9, s8, 7
                                        ; implicit-def: $vgpr3
	s_cmp_eq_u32 s9, 0
	s_cselect_b32 s4, -1, 0
	s_cmp_lg_u32 s9, 0
	s_delay_alu instid0(VALU_DEP_2) | instskip(NEXT) | instid1(VALU_DEP_2)
	v_add3_u32 v5, v5, v7, v6
	v_lshl_add_u32 v0, v13, 1, 0
	s_cselect_b32 s9, -1, 0
	s_delay_alu instid0(VALU_DEP_2) | instskip(SKIP_1) | instid1(VALU_DEP_1)
	v_lshlrev_b64 v[6:7], 1, v[4:5]
	s_waitcnt lgkmcnt(0)
	v_add_co_u32 v8, vcc_lo, s2, v6
	v_mov_b32_e32 v11, 0
	s_delay_alu instid0(VALU_DEP_3) | instskip(NEXT) | instid1(VALU_DEP_3)
	v_add_co_ci_u32_e32 v9, vcc_lo, s3, v7, vcc_lo
	v_and_b32_e32 v10, 15, v8
	s_delay_alu instid0(VALU_DEP_1) | instskip(SKIP_1) | instid1(SALU_CYCLE_1)
	v_cmp_ne_u64_e32 vcc_lo, 0, v[10:11]
	s_or_b32 s9, s9, vcc_lo
	s_and_saveexec_b32 s10, s9
	s_delay_alu instid0(SALU_CYCLE_1)
	s_xor_b32 s9, exec_lo, s10
	s_cbranch_execz .LBB19_12
; %bb.1:
	v_sub_nc_u32_e32 v3, 0, v8
	s_mov_b32 s10, exec_lo
	s_delay_alu instid0(VALU_DEP_1) | instskip(NEXT) | instid1(VALU_DEP_1)
	v_bfe_u32 v3, v3, 1, 3
	v_min_i32_e32 v10, s8, v3
	v_mov_b32_e32 v3, s5
	s_delay_alu instid0(VALU_DEP_2)
	v_cmpx_gt_i32_e64 v10, v12
	s_cbranch_execz .LBB19_3
; %bb.2:
	v_lshlrev_b32_e32 v3, 1, v12
	v_max_f32_e64 v11, s5, s5
	s_delay_alu instid0(VALU_DEP_2) | instskip(SKIP_4) | instid1(VALU_DEP_1)
	v_add_co_u32 v8, vcc_lo, v8, v3
	v_add_co_ci_u32_e32 v9, vcc_lo, 0, v9, vcc_lo
	global_load_u16 v8, v[8:9], off
	s_waitcnt vmcnt(0)
	v_cvt_f32_f16_e64 v9, |v8|
	v_dual_max_f32 v3, v11, v9 :: v_dual_add_nc_u32 v14, v0, v3
	ds_store_b16 v14, v8
.LBB19_3:
	s_or_b32 exec_lo, exec_lo, s10
	v_sub_nc_u32_e32 v14, s8, v10
	v_ashrrev_i32_e32 v11, 31, v10
	v_lshlrev_b32_e32 v15, 1, v10
	s_mov_b32 s10, exec_lo
	s_delay_alu instid0(VALU_DEP_3) | instskip(NEXT) | instid1(VALU_DEP_1)
	v_ashrrev_i32_e32 v8, 31, v14
	v_lshrrev_b32_e32 v8, 29, v8
	s_delay_alu instid0(VALU_DEP_1) | instskip(NEXT) | instid1(VALU_DEP_1)
	v_add_nc_u32_e32 v8, v14, v8
	v_ashrrev_i32_e32 v16, 3, v8
	v_lshlrev_b64 v[8:9], 1, v[10:11]
	s_delay_alu instid0(VALU_DEP_2)
	v_cmpx_gt_i32_e64 v16, v12
	s_cbranch_execz .LBB19_7
; %bb.4:
	v_lshlrev_b32_e32 v10, 4, v12
	s_mov_b32 s11, 0
	s_delay_alu instid0(VALU_DEP_1) | instskip(SKIP_2) | instid1(VALU_DEP_3)
	v_add_co_u32 v11, vcc_lo, v6, v10
	v_add_co_ci_u32_e32 v17, vcc_lo, 0, v7, vcc_lo
	v_lshl_add_u32 v10, v13, 1, v10
	v_add_co_u32 v11, vcc_lo, v11, v8
	s_delay_alu instid0(VALU_DEP_3) | instskip(NEXT) | instid1(VALU_DEP_2)
	v_add_co_ci_u32_e32 v17, vcc_lo, v17, v9, vcc_lo
	v_add_co_u32 v11, vcc_lo, v11, s2
	s_delay_alu instid0(VALU_DEP_2) | instskip(SKIP_1) | instid1(VALU_DEP_3)
	v_add_co_ci_u32_e32 v18, vcc_lo, s3, v17, vcc_lo
	v_add3_u32 v17, v10, v15, 0
	v_add_co_u32 v10, vcc_lo, v11, 8
	s_delay_alu instid0(VALU_DEP_3)
	v_add_co_ci_u32_e32 v11, vcc_lo, 0, v18, vcc_lo
	v_mov_b32_e32 v18, v12
	s_set_inst_prefetch_distance 0x1
	.p2align	6
.LBB19_5:                               ; =>This Inner Loop Header: Depth=1
	global_load_b128 v[19:22], v[10:11], off offset:-8
	v_add_nc_u32_e32 v18, 16, v18
	v_add_co_u32 v10, vcc_lo, 0x100, v10
	v_add_co_ci_u32_e32 v11, vcc_lo, 0, v11, vcc_lo
	s_delay_alu instid0(VALU_DEP_3)
	v_cmp_ge_i32_e32 vcc_lo, v18, v16
	s_or_b32 s11, vcc_lo, s11
	s_waitcnt vmcnt(0)
	v_lshrrev_b32_e32 v23, 16, v19
	v_cvt_f32_f16_e64 v24, |v19|
	v_lshrrev_b32_e32 v25, 16, v20
	v_cvt_f32_f16_e64 v26, |v20|
	;; [unrolled: 2-line block ×3, first 2 shown]
	ds_store_b128 v17, v[19:22]
	v_cvt_f32_f16_e64 v25, |v25|
	v_add_nc_u32_e32 v17, 0x100, v17
	v_cvt_f32_f16_e64 v27, |v27|
	v_max3_f32 v3, v3, v24, v23
	v_cvt_f32_f16_e64 v23, |v21|
	v_lshrrev_b32_e32 v24, 16, v22
	s_delay_alu instid0(VALU_DEP_3) | instskip(SKIP_1) | instid1(VALU_DEP_3)
	v_max3_f32 v3, v3, v26, v25
	v_cvt_f32_f16_e64 v25, |v22|
	v_cvt_f32_f16_e64 v24, |v24|
	s_delay_alu instid0(VALU_DEP_3) | instskip(NEXT) | instid1(VALU_DEP_1)
	v_max3_f32 v3, v3, v23, v27
	v_max3_f32 v3, v3, v25, v24
	s_and_not1_b32 exec_lo, exec_lo, s11
	s_cbranch_execnz .LBB19_5
; %bb.6:
	s_set_inst_prefetch_distance 0x2
	s_or_b32 exec_lo, exec_lo, s11
.LBB19_7:
	s_delay_alu instid0(SALU_CYCLE_1) | instskip(SKIP_2) | instid1(VALU_DEP_1)
	s_or_b32 exec_lo, exec_lo, s10
	v_lshl_add_u32 v10, v16, 3, v12
	s_mov_b32 s10, exec_lo
	v_cmpx_lt_i32_e64 v10, v14
	s_cbranch_execz .LBB19_11
; %bb.8:
	v_ashrrev_i32_e32 v11, 31, v10
	v_lshlrev_b32_e32 v19, 4, v16
	v_add_co_u32 v6, vcc_lo, v6, v8
	v_lshlrev_b32_e32 v18, 1, v13
	s_delay_alu instid0(VALU_DEP_4) | instskip(SKIP_2) | instid1(VALU_DEP_4)
	v_lshlrev_b64 v[16:17], 1, v[10:11]
	v_add_co_ci_u32_e32 v7, vcc_lo, v7, v9, vcc_lo
	v_lshlrev_b32_e32 v20, 1, v12
	v_add3_u32 v8, v18, v19, v15
	s_mov_b32 s11, 0
	s_delay_alu instid0(VALU_DEP_4) | instskip(SKIP_1) | instid1(VALU_DEP_3)
	v_add_co_u32 v6, vcc_lo, v6, v16
	v_add_co_ci_u32_e32 v7, vcc_lo, v7, v17, vcc_lo
	v_add3_u32 v8, v8, v20, 0
	s_delay_alu instid0(VALU_DEP_3) | instskip(NEXT) | instid1(VALU_DEP_3)
	v_add_co_u32 v6, vcc_lo, s2, v6
	v_add_co_ci_u32_e32 v7, vcc_lo, s3, v7, vcc_lo
	.p2align	6
.LBB19_9:                               ; =>This Inner Loop Header: Depth=1
	global_load_u16 v9, v[6:7], off
	v_dual_max_f32 v3, v3, v3 :: v_dual_add_nc_u32 v10, 16, v10
	v_add_co_u32 v6, vcc_lo, v6, 32
	v_add_co_ci_u32_e32 v7, vcc_lo, 0, v7, vcc_lo
	s_delay_alu instid0(VALU_DEP_3)
	v_cmp_ge_i32_e32 vcc_lo, v10, v14
	s_or_b32 s11, vcc_lo, s11
	s_waitcnt vmcnt(0)
	v_cvt_f32_f16_e64 v11, |v9|
	ds_store_b16 v8, v9
	v_dual_max_f32 v3, v3, v11 :: v_dual_add_nc_u32 v8, 32, v8
	s_and_not1_b32 exec_lo, exec_lo, s11
	s_cbranch_execnz .LBB19_9
; %bb.10:
	s_or_b32 exec_lo, exec_lo, s11
.LBB19_11:
	s_delay_alu instid0(SALU_CYCLE_1)
	s_or_b32 exec_lo, exec_lo, s10
                                        ; implicit-def: $vgpr6_vgpr7
.LBB19_12:
	s_and_not1_saveexec_b32 s9, s9
	s_cbranch_execz .LBB19_18
; %bb.13:
	v_mov_b32_e32 v3, s5
	s_ashr_i32 s11, s8, 3
	s_mov_b32 s10, exec_lo
	v_cmpx_gt_i32_e64 s11, v12
	s_cbranch_execz .LBB19_17
; %bb.14:
	v_dual_mov_b32 v3, s5 :: v_dual_lshlrev_b32 v8, 4, v12
	v_lshlrev_b32_e32 v9, 1, v13
	s_delay_alu instid0(VALU_DEP_2) | instskip(SKIP_1) | instid1(VALU_DEP_3)
	v_add_co_u32 v6, vcc_lo, v6, v8
	v_add_co_ci_u32_e32 v7, vcc_lo, 0, v7, vcc_lo
	v_add3_u32 v8, v9, v8, 0
	s_delay_alu instid0(VALU_DEP_3) | instskip(NEXT) | instid1(VALU_DEP_3)
	v_add_co_u32 v6, vcc_lo, v6, s2
	v_add_co_ci_u32_e32 v7, vcc_lo, s3, v7, vcc_lo
	v_mov_b32_e32 v9, v12
	s_delay_alu instid0(VALU_DEP_3) | instskip(NEXT) | instid1(VALU_DEP_3)
	v_add_co_u32 v6, vcc_lo, v6, 8
	v_add_co_ci_u32_e32 v7, vcc_lo, 0, v7, vcc_lo
	s_mov_b32 s2, 0
	s_set_inst_prefetch_distance 0x1
	.p2align	6
.LBB19_15:                              ; =>This Inner Loop Header: Depth=1
	global_load_b128 v[14:17], v[6:7], off offset:-8
	v_add_nc_u32_e32 v9, 16, v9
	v_add_co_u32 v6, vcc_lo, 0x100, v6
	v_add_co_ci_u32_e32 v7, vcc_lo, 0, v7, vcc_lo
	s_delay_alu instid0(VALU_DEP_3)
	v_cmp_le_i32_e32 vcc_lo, s11, v9
	s_or_b32 s2, vcc_lo, s2
	s_waitcnt vmcnt(0)
	v_lshrrev_b32_e32 v10, 16, v14
	v_cvt_f32_f16_e64 v11, |v14|
	v_lshrrev_b32_e32 v18, 16, v15
	v_cvt_f32_f16_e64 v19, |v15|
	v_lshrrev_b32_e32 v20, 16, v16
	v_cvt_f32_f16_e64 v10, |v10|
	ds_store_b128 v8, v[14:17]
	v_cvt_f32_f16_e64 v18, |v18|
	v_add_nc_u32_e32 v8, 0x100, v8
	v_cvt_f32_f16_e64 v20, |v20|
	v_max3_f32 v3, v3, v11, v10
	v_cvt_f32_f16_e64 v10, |v16|
	v_lshrrev_b32_e32 v11, 16, v17
	s_delay_alu instid0(VALU_DEP_3) | instskip(SKIP_1) | instid1(VALU_DEP_3)
	v_max3_f32 v3, v3, v19, v18
	v_cvt_f32_f16_e64 v18, |v17|
	v_cvt_f32_f16_e64 v11, |v11|
	s_delay_alu instid0(VALU_DEP_3) | instskip(NEXT) | instid1(VALU_DEP_1)
	v_max3_f32 v3, v3, v10, v20
	v_max3_f32 v3, v3, v18, v11
	s_and_not1_b32 exec_lo, exec_lo, s2
	s_cbranch_execnz .LBB19_15
; %bb.16:
	s_set_inst_prefetch_distance 0x2
	s_or_b32 exec_lo, exec_lo, s2
.LBB19_17:
	s_delay_alu instid0(SALU_CYCLE_1)
	s_or_b32 exec_lo, exec_lo, s10
.LBB19_18:
	s_delay_alu instid0(SALU_CYCLE_1) | instskip(SKIP_3) | instid1(VALU_DEP_1)
	s_or_b32 exec_lo, exec_lo, s9
	v_mbcnt_lo_u32_b32 v6, -1, 0
	s_load_b64 s[2:3], s[0:1], 0x8
	s_mov_b32 s5, exec_lo
	v_xor_b32_e32 v8, 8, v6
	v_and_b32_e32 v7, 16, v6
	v_xor_b32_e32 v9, 4, v6
	s_delay_alu instid0(VALU_DEP_2) | instskip(NEXT) | instid1(VALU_DEP_1)
	v_add_nc_u32_e32 v7, 16, v7
	v_cmp_lt_i32_e32 vcc_lo, v8, v7
	v_cndmask_b32_e32 v8, v6, v8, vcc_lo
	s_delay_alu instid0(VALU_DEP_1) | instskip(SKIP_4) | instid1(VALU_DEP_2)
	v_lshlrev_b32_e32 v8, 2, v8
	ds_bpermute_b32 v8, v8, v3
	s_waitcnt lgkmcnt(0)
	v_dual_max_f32 v3, v3, v3 :: v_dual_max_f32 v8, v8, v8
	v_cmp_lt_i32_e32 vcc_lo, v9, v7
	v_max_f32_e32 v3, v3, v8
	v_cndmask_b32_e32 v9, v6, v9, vcc_lo
	s_delay_alu instid0(VALU_DEP_1) | instskip(SKIP_2) | instid1(VALU_DEP_1)
	v_lshlrev_b32_e32 v9, 2, v9
	ds_bpermute_b32 v8, v9, v3
	v_xor_b32_e32 v9, 2, v6
	v_cmp_lt_i32_e32 vcc_lo, v9, v7
	v_cndmask_b32_e32 v9, v6, v9, vcc_lo
	s_waitcnt lgkmcnt(0)
	s_delay_alu instid0(VALU_DEP_1) | instskip(NEXT) | instid1(VALU_DEP_1)
	v_dual_max_f32 v8, v8, v8 :: v_dual_lshlrev_b32 v9, 2, v9
	v_max_f32_e32 v3, v3, v8
	ds_bpermute_b32 v8, v9, v3
	v_xor_b32_e32 v9, 1, v6
	s_delay_alu instid0(VALU_DEP_1) | instskip(SKIP_2) | instid1(VALU_DEP_1)
	v_cmp_lt_i32_e32 vcc_lo, v9, v7
	v_cndmask_b32_e32 v6, v6, v9, vcc_lo
	s_waitcnt lgkmcnt(0)
	v_dual_max_f32 v7, v8, v8 :: v_dual_lshlrev_b32 v6, 2, v6
	s_delay_alu instid0(VALU_DEP_1) | instskip(SKIP_3) | instid1(VALU_DEP_1)
	v_max_f32_e32 v3, v3, v7
	ds_bpermute_b32 v6, v6, v3
	s_waitcnt lgkmcnt(0)
	v_max_f32_e32 v6, v6, v6
	v_max_f32_e32 v3, v3, v6
	s_delay_alu instid0(VALU_DEP_1) | instskip(SKIP_1) | instid1(VALU_DEP_2)
	v_div_scale_f32 v6, null, s7, s7, v3
	v_div_scale_f32 v9, vcc_lo, v3, s7, v3
	v_rcp_f32_e32 v7, v6
	s_waitcnt_depctr 0xfff
	v_fma_f32 v8, -v6, v7, 1.0
	s_delay_alu instid0(VALU_DEP_1) | instskip(NEXT) | instid1(VALU_DEP_1)
	v_fmac_f32_e32 v7, v8, v7
	v_mul_f32_e32 v8, v9, v7
	s_delay_alu instid0(VALU_DEP_1) | instskip(NEXT) | instid1(VALU_DEP_1)
	v_fma_f32 v10, -v6, v8, v9
	v_fmac_f32_e32 v8, v10, v7
	s_delay_alu instid0(VALU_DEP_1) | instskip(NEXT) | instid1(VALU_DEP_1)
	v_fma_f32 v6, -v6, v8, v9
	v_div_fmas_f32 v6, v6, v7, v8
	s_delay_alu instid0(VALU_DEP_1)
	v_div_fixup_f32 v8, v6, s7, v3
	v_cmpx_eq_u32_e32 0, v12
	s_cbranch_execz .LBB19_20
; %bb.19:
	s_load_b64 s[0:1], s[0:1], 0x10
	v_lshlrev_b64 v[1:2], 2, v[1:2]
	s_waitcnt lgkmcnt(0)
	s_delay_alu instid0(VALU_DEP_1) | instskip(NEXT) | instid1(VALU_DEP_2)
	v_add_co_u32 v1, vcc_lo, s0, v1
	v_add_co_ci_u32_e32 v2, vcc_lo, s1, v2, vcc_lo
	global_store_b32 v[1:2], v8, off
.LBB19_20:
	s_or_b32 exec_lo, exec_lo, s5
	v_dual_mov_b32 v2, 0 :: v_dual_and_b32 v1, 15, v0
	s_xor_b32 s0, s4, -1
	s_waitcnt_vscnt null, 0x0
	s_barrier
	buffer_gl0_inv
	v_cmp_ne_u64_e32 vcc_lo, 0, v[1:2]
	s_or_b32 s0, s0, vcc_lo
	s_delay_alu instid0(SALU_CYCLE_1) | instskip(NEXT) | instid1(SALU_CYCLE_1)
	s_and_saveexec_b32 s1, s0
	s_xor_b32 s4, exec_lo, s1
	s_cbranch_execz .LBB19_97
; %bb.21:
	v_sub_nc_u32_e32 v1, 0, v0
	v_add_co_u32 v15, vcc_lo, s2, v4
	v_add_co_ci_u32_e32 v16, vcc_lo, s3, v5, vcc_lo
	s_delay_alu instid0(VALU_DEP_3) | instskip(SKIP_1) | instid1(VALU_DEP_1)
	v_bfe_u32 v1, v1, 1, 3
	s_mov_b32 s0, exec_lo
	v_min_i32_e32 v10, s8, v1
	s_delay_alu instid0(VALU_DEP_1)
	v_cmpx_gt_i32_e64 v10, v12
	s_cbranch_execz .LBB19_29
; %bb.22:
	v_lshl_add_u32 v0, v12, 1, v0
	s_mov_b32 s1, exec_lo
	ds_load_u16 v0, v0
	s_waitcnt lgkmcnt(0)
	v_cvt_f32_f16_e32 v0, v0
	s_delay_alu instid0(VALU_DEP_1) | instskip(SKIP_1) | instid1(VALU_DEP_2)
	v_div_scale_f32 v1, null, v8, v8, v0
	v_div_scale_f32 v6, vcc_lo, v0, v8, v0
	v_rcp_f32_e32 v2, v1
	s_waitcnt_depctr 0xfff
	v_fma_f32 v3, -v1, v2, 1.0
	s_delay_alu instid0(VALU_DEP_1) | instskip(NEXT) | instid1(VALU_DEP_1)
	v_fmac_f32_e32 v2, v3, v2
	v_mul_f32_e32 v3, v6, v2
	s_delay_alu instid0(VALU_DEP_1) | instskip(NEXT) | instid1(VALU_DEP_1)
	v_fma_f32 v7, -v1, v3, v6
	v_fmac_f32_e32 v3, v7, v2
	s_delay_alu instid0(VALU_DEP_1) | instskip(NEXT) | instid1(VALU_DEP_1)
	v_fma_f32 v1, -v1, v3, v6
	v_div_fmas_f32 v1, v1, v2, v3
	v_max_f32_e64 v2, s6, s6
	v_max_f32_e64 v3, s7, s7
	s_delay_alu instid0(VALU_DEP_3) | instskip(SKIP_1) | instid1(VALU_DEP_2)
	v_div_fixup_f32 v0, v1, v8, v0
	v_mov_b32_e32 v1, 0x7f
	v_maxmin_f32 v0, v0, v2, v3
	s_delay_alu instid0(VALU_DEP_1) | instskip(NEXT) | instid1(VALU_DEP_1)
	v_and_b32_e32 v2, 0x7fffffff, v0
	v_cmpx_gt_u32_e32 0x43f00000, v2
	s_cbranch_execz .LBB19_28
; %bb.23:
	s_mov_b32 s5, exec_lo
                                        ; implicit-def: $vgpr1
	v_cmpx_lt_u32_e32 0x3c7fffff, v2
	s_xor_b32 s5, exec_lo, s5
; %bb.24:
	v_bfe_u32 v1, v0, 20, 1
	s_delay_alu instid0(VALU_DEP_1) | instskip(NEXT) | instid1(VALU_DEP_1)
	v_add3_u32 v1, v0, v1, 0x407ffff
	v_lshrrev_b32_e32 v1, 20, v1
; %bb.25:
	s_and_not1_saveexec_b32 s5, s5
; %bb.26:
	v_add_f32_e64 v1, 0x46800000, |v0|
; %bb.27:
	s_or_b32 exec_lo, exec_lo, s5
.LBB19_28:
	s_delay_alu instid0(SALU_CYCLE_1) | instskip(SKIP_3) | instid1(VALU_DEP_3)
	s_or_b32 exec_lo, exec_lo, s1
	v_lshrrev_b32_e32 v0, 24, v0
	v_add_co_u32 v2, vcc_lo, v15, v12
	v_add_co_ci_u32_e32 v3, vcc_lo, 0, v16, vcc_lo
	v_and_or_b32 v0, 0x80, v0, v1
	global_store_b8 v[2:3], v0, off
.LBB19_29:
	s_or_b32 exec_lo, exec_lo, s0
	v_sub_nc_u32_e32 v9, s8, v10
	v_ashrrev_i32_e32 v11, 31, v10
	v_lshlrev_b32_e32 v14, 1, v10
	s_mov_b32 s1, exec_lo
	s_delay_alu instid0(VALU_DEP_3) | instskip(NEXT) | instid1(VALU_DEP_1)
	v_ashrrev_i32_e32 v0, 31, v9
	v_lshrrev_b32_e32 v0, 29, v0
	s_delay_alu instid0(VALU_DEP_1) | instskip(NEXT) | instid1(VALU_DEP_1)
	v_add_nc_u32_e32 v0, v9, v0
	v_ashrrev_i32_e32 v17, 3, v0
	s_delay_alu instid0(VALU_DEP_1)
	v_cmpx_gt_i32_e64 v17, v12
	s_cbranch_execz .LBB19_80
; %bb.30:
	v_dual_mov_b32 v21, v12 :: v_dual_lshlrev_b32 v0, 4, v12
	v_lshlrev_b32_e32 v1, 3, v12
	v_add_co_u32 v2, vcc_lo, v10, v4
	v_add_co_ci_u32_e32 v3, vcc_lo, v11, v5, vcc_lo
	s_delay_alu instid0(VALU_DEP_4) | instskip(SKIP_1) | instid1(VALU_DEP_4)
	v_lshl_add_u32 v0, v13, 1, v0
	v_lshlrev_b32_e32 v6, 1, v10
	v_add_co_u32 v1, vcc_lo, v2, v1
	s_delay_alu instid0(VALU_DEP_4) | instskip(NEXT) | instid1(VALU_DEP_3)
	v_add_co_ci_u32_e32 v2, vcc_lo, 0, v3, vcc_lo
	v_add3_u32 v18, v0, v6, 0
	s_delay_alu instid0(VALU_DEP_3) | instskip(NEXT) | instid1(VALU_DEP_3)
	v_add_co_u32 v6, vcc_lo, s2, v1
	v_add_co_ci_u32_e32 v7, vcc_lo, s3, v2, vcc_lo
	v_max_f32_e64 v19, s6, s6
	v_max_f32_e64 v20, s7, s7
	s_mov_b32 s5, 0
	s_branch .LBB19_33
.LBB19_31:                              ;   in Loop: Header=BB19_33 Depth=1
	s_or_b32 exec_lo, exec_lo, s9
.LBB19_32:                              ;   in Loop: Header=BB19_33 Depth=1
	s_delay_alu instid0(SALU_CYCLE_1)
	s_or_b32 exec_lo, exec_lo, s0
	v_lshrrev_b32_e32 v33, 24, v33
	v_lshrrev_b32_e32 v27, 24, v27
	;; [unrolled: 1-line block ×5, first 2 shown]
	v_and_b32_e32 v33, 0x80, v33
	v_and_b32_e32 v27, 0x80, v27
	v_lshrrev_b32_e32 v30, 24, v30
	v_and_b32_e32 v2, 0x80, v2
	v_lshrrev_b32_e32 v24, 24, v24
	v_and_or_b32 v3, 0x80, v3, v32
	v_and_or_b32 v31, 0xff, v31, v33
	v_and_b32_e32 v0, 0x80, v0
	v_and_or_b32 v26, 0xff, v26, v27
	v_and_b32_e32 v30, 0x80, v30
	v_and_b32_e32 v24, 0x80, v24
	v_lshlrev_b32_e32 v3, 24, v3
	v_lshlrev_b32_e32 v31, 16, v31
	v_and_or_b32 v2, 0xff, v29, v2
	v_lshlrev_b32_e32 v25, 24, v25
	v_and_b32_e32 v1, 0x80000000, v1
	v_and_or_b32 v0, 0xff, v23, v0
	v_lshlrev_b32_e32 v23, 16, v26
	v_or_b32_e32 v3, v3, v31
	v_lshlrev_b32_e32 v2, 8, v2
	v_and_or_b32 v26, 0xff, v28, v30
	v_lshlrev_b32_e32 v0, 8, v0
	v_or3_b32 v23, v25, v1, v23
	v_and_or_b32 v22, 0xff, v22, v24
	v_add_nc_u32_e32 v21, 16, v21
	v_or3_b32 v1, v3, v2, v26
	v_add_nc_u32_e32 v18, 0x100, v18
	s_delay_alu instid0(VALU_DEP_4) | instskip(NEXT) | instid1(VALU_DEP_4)
	v_or3_b32 v0, v23, v0, v22
	v_cmp_ge_i32_e32 vcc_lo, v21, v17
	global_store_b64 v[6:7], v[0:1], off
	v_add_co_u32 v6, s0, 0x80, v6
	s_delay_alu instid0(VALU_DEP_1) | instskip(SKIP_1) | instid1(SALU_CYCLE_1)
	v_add_co_ci_u32_e64 v7, s0, 0, v7, s0
	s_or_b32 s5, vcc_lo, s5
	s_and_not1_b32 exec_lo, exec_lo, s5
	s_cbranch_execz .LBB19_80
.LBB19_33:                              ; =>This Inner Loop Header: Depth=1
	ds_load_b128 v[0:3], v18
	s_mov_b32 s0, exec_lo
	s_waitcnt lgkmcnt(0)
	v_cvt_f32_f16_e32 v22, v0
	s_delay_alu instid0(VALU_DEP_1) | instskip(SKIP_1) | instid1(VALU_DEP_2)
	v_div_scale_f32 v23, null, v8, v8, v22
	v_div_scale_f32 v26, vcc_lo, v22, v8, v22
	v_rcp_f32_e32 v24, v23
	s_waitcnt_depctr 0xfff
	v_fma_f32 v25, -v23, v24, 1.0
	s_delay_alu instid0(VALU_DEP_1) | instskip(NEXT) | instid1(VALU_DEP_1)
	v_fmac_f32_e32 v24, v25, v24
	v_mul_f32_e32 v25, v26, v24
	s_delay_alu instid0(VALU_DEP_1) | instskip(NEXT) | instid1(VALU_DEP_1)
	v_fma_f32 v27, -v23, v25, v26
	v_fmac_f32_e32 v25, v27, v24
	s_delay_alu instid0(VALU_DEP_1) | instskip(NEXT) | instid1(VALU_DEP_1)
	v_fma_f32 v23, -v23, v25, v26
	v_div_fmas_f32 v23, v23, v24, v25
	s_delay_alu instid0(VALU_DEP_1) | instskip(SKIP_1) | instid1(VALU_DEP_2)
	v_div_fixup_f32 v22, v23, v8, v22
	v_mov_b32_e32 v23, 0x7f
	v_maxmin_f32 v24, v22, v19, v20
	v_mov_b32_e32 v22, 0x7f
	s_delay_alu instid0(VALU_DEP_2) | instskip(NEXT) | instid1(VALU_DEP_1)
	v_and_b32_e32 v25, 0x7fffffff, v24
	v_cmpx_gt_u32_e32 0x43f00000, v25
	s_cbranch_execz .LBB19_39
; %bb.34:                               ;   in Loop: Header=BB19_33 Depth=1
	s_mov_b32 s9, exec_lo
                                        ; implicit-def: $vgpr22
	v_cmpx_lt_u32_e32 0x3c7fffff, v25
	s_xor_b32 s9, exec_lo, s9
; %bb.35:                               ;   in Loop: Header=BB19_33 Depth=1
	v_bfe_u32 v22, v24, 20, 1
	s_delay_alu instid0(VALU_DEP_1) | instskip(NEXT) | instid1(VALU_DEP_1)
	v_add3_u32 v22, v24, v22, 0x407ffff
	v_lshrrev_b32_e32 v22, 20, v22
; %bb.36:                               ;   in Loop: Header=BB19_33 Depth=1
	s_and_not1_saveexec_b32 s9, s9
; %bb.37:                               ;   in Loop: Header=BB19_33 Depth=1
	v_add_f32_e64 v22, 0x46800000, |v24|
; %bb.38:                               ;   in Loop: Header=BB19_33 Depth=1
	s_or_b32 exec_lo, exec_lo, s9
.LBB19_39:                              ;   in Loop: Header=BB19_33 Depth=1
	s_delay_alu instid0(SALU_CYCLE_1) | instskip(SKIP_2) | instid1(VALU_DEP_1)
	s_or_b32 exec_lo, exec_lo, s0
	v_lshrrev_b32_e32 v0, 16, v0
	s_mov_b32 s0, exec_lo
	v_cvt_f32_f16_e32 v0, v0
	s_delay_alu instid0(VALU_DEP_1) | instskip(NEXT) | instid1(VALU_DEP_1)
	v_div_scale_f32 v25, null, v8, v8, v0
	v_rcp_f32_e32 v26, v25
	s_waitcnt_depctr 0xfff
	v_fma_f32 v27, -v25, v26, 1.0
	s_delay_alu instid0(VALU_DEP_1) | instskip(SKIP_1) | instid1(VALU_DEP_1)
	v_fmac_f32_e32 v26, v27, v26
	v_div_scale_f32 v27, vcc_lo, v0, v8, v0
	v_mul_f32_e32 v28, v27, v26
	s_delay_alu instid0(VALU_DEP_1) | instskip(NEXT) | instid1(VALU_DEP_1)
	v_fma_f32 v29, -v25, v28, v27
	v_fmac_f32_e32 v28, v29, v26
	s_delay_alu instid0(VALU_DEP_1) | instskip(NEXT) | instid1(VALU_DEP_1)
	v_fma_f32 v25, -v25, v28, v27
	v_div_fmas_f32 v25, v25, v26, v28
	s_delay_alu instid0(VALU_DEP_1) | instskip(NEXT) | instid1(VALU_DEP_1)
	v_div_fixup_f32 v0, v25, v8, v0
	v_maxmin_f32 v0, v0, v19, v20
	s_delay_alu instid0(VALU_DEP_1) | instskip(NEXT) | instid1(VALU_DEP_1)
	v_and_b32_e32 v25, 0x7fffffff, v0
	v_cmpx_gt_u32_e32 0x43f00000, v25
	s_cbranch_execz .LBB19_45
; %bb.40:                               ;   in Loop: Header=BB19_33 Depth=1
	s_mov_b32 s9, exec_lo
                                        ; implicit-def: $vgpr23
	v_cmpx_lt_u32_e32 0x3c7fffff, v25
	s_xor_b32 s9, exec_lo, s9
; %bb.41:                               ;   in Loop: Header=BB19_33 Depth=1
	v_bfe_u32 v23, v0, 20, 1
	s_delay_alu instid0(VALU_DEP_1) | instskip(NEXT) | instid1(VALU_DEP_1)
	v_add3_u32 v23, v0, v23, 0x407ffff
	v_lshrrev_b32_e32 v23, 20, v23
; %bb.42:                               ;   in Loop: Header=BB19_33 Depth=1
	s_and_not1_saveexec_b32 s9, s9
; %bb.43:                               ;   in Loop: Header=BB19_33 Depth=1
	v_add_f32_e64 v23, 0x46800000, |v0|
; %bb.44:                               ;   in Loop: Header=BB19_33 Depth=1
	s_or_b32 exec_lo, exec_lo, s9
.LBB19_45:                              ;   in Loop: Header=BB19_33 Depth=1
	s_delay_alu instid0(SALU_CYCLE_1) | instskip(SKIP_2) | instid1(VALU_DEP_1)
	s_or_b32 exec_lo, exec_lo, s0
	v_cvt_f32_f16_e32 v25, v1
	s_mov_b32 s0, exec_lo
	v_div_scale_f32 v26, null, v8, v8, v25
	v_div_scale_f32 v29, vcc_lo, v25, v8, v25
	s_delay_alu instid0(VALU_DEP_2) | instskip(SKIP_2) | instid1(VALU_DEP_1)
	v_rcp_f32_e32 v27, v26
	s_waitcnt_depctr 0xfff
	v_fma_f32 v28, -v26, v27, 1.0
	v_fmac_f32_e32 v27, v28, v27
	s_delay_alu instid0(VALU_DEP_1) | instskip(NEXT) | instid1(VALU_DEP_1)
	v_mul_f32_e32 v28, v29, v27
	v_fma_f32 v30, -v26, v28, v29
	s_delay_alu instid0(VALU_DEP_1) | instskip(NEXT) | instid1(VALU_DEP_1)
	v_fmac_f32_e32 v28, v30, v27
	v_fma_f32 v26, -v26, v28, v29
	s_delay_alu instid0(VALU_DEP_1) | instskip(NEXT) | instid1(VALU_DEP_1)
	v_div_fmas_f32 v26, v26, v27, v28
	v_div_fixup_f32 v25, v26, v8, v25
	v_mov_b32_e32 v26, 0x7f
	s_delay_alu instid0(VALU_DEP_2) | instskip(SKIP_1) | instid1(VALU_DEP_2)
	v_maxmin_f32 v27, v25, v19, v20
	v_mov_b32_e32 v25, 0x7f
	v_and_b32_e32 v28, 0x7fffffff, v27
	s_delay_alu instid0(VALU_DEP_1)
	v_cmpx_gt_u32_e32 0x43f00000, v28
	s_cbranch_execz .LBB19_51
; %bb.46:                               ;   in Loop: Header=BB19_33 Depth=1
	s_mov_b32 s9, exec_lo
                                        ; implicit-def: $vgpr26
	v_cmpx_lt_u32_e32 0x3c7fffff, v28
	s_xor_b32 s9, exec_lo, s9
; %bb.47:                               ;   in Loop: Header=BB19_33 Depth=1
	v_bfe_u32 v26, v27, 20, 1
	s_delay_alu instid0(VALU_DEP_1) | instskip(NEXT) | instid1(VALU_DEP_1)
	v_add3_u32 v26, v27, v26, 0x407ffff
	v_lshrrev_b32_e32 v26, 20, v26
; %bb.48:                               ;   in Loop: Header=BB19_33 Depth=1
	s_and_not1_saveexec_b32 s9, s9
; %bb.49:                               ;   in Loop: Header=BB19_33 Depth=1
	v_add_f32_e64 v26, 0x46800000, |v27|
; %bb.50:                               ;   in Loop: Header=BB19_33 Depth=1
	s_or_b32 exec_lo, exec_lo, s9
.LBB19_51:                              ;   in Loop: Header=BB19_33 Depth=1
	s_delay_alu instid0(SALU_CYCLE_1) | instskip(SKIP_2) | instid1(VALU_DEP_1)
	s_or_b32 exec_lo, exec_lo, s0
	v_lshrrev_b32_e32 v1, 16, v1
	s_mov_b32 s0, exec_lo
	v_cvt_f32_f16_e32 v1, v1
	s_delay_alu instid0(VALU_DEP_1) | instskip(NEXT) | instid1(VALU_DEP_1)
	v_div_scale_f32 v28, null, v8, v8, v1
	v_rcp_f32_e32 v29, v28
	s_waitcnt_depctr 0xfff
	v_fma_f32 v30, -v28, v29, 1.0
	s_delay_alu instid0(VALU_DEP_1) | instskip(SKIP_1) | instid1(VALU_DEP_1)
	v_fmac_f32_e32 v29, v30, v29
	v_div_scale_f32 v30, vcc_lo, v1, v8, v1
	v_mul_f32_e32 v31, v30, v29
	s_delay_alu instid0(VALU_DEP_1) | instskip(NEXT) | instid1(VALU_DEP_1)
	v_fma_f32 v32, -v28, v31, v30
	v_fmac_f32_e32 v31, v32, v29
	s_delay_alu instid0(VALU_DEP_1) | instskip(NEXT) | instid1(VALU_DEP_1)
	v_fma_f32 v28, -v28, v31, v30
	v_div_fmas_f32 v28, v28, v29, v31
	s_delay_alu instid0(VALU_DEP_1) | instskip(NEXT) | instid1(VALU_DEP_1)
	v_div_fixup_f32 v1, v28, v8, v1
	v_maxmin_f32 v1, v1, v19, v20
	s_delay_alu instid0(VALU_DEP_1) | instskip(NEXT) | instid1(VALU_DEP_1)
	v_and_b32_e32 v28, 0x7fffffff, v1
	v_cmpx_gt_u32_e32 0x43f00000, v28
	s_cbranch_execz .LBB19_57
; %bb.52:                               ;   in Loop: Header=BB19_33 Depth=1
	s_mov_b32 s9, exec_lo
                                        ; implicit-def: $vgpr25
	v_cmpx_lt_u32_e32 0x3c7fffff, v28
	s_xor_b32 s9, exec_lo, s9
; %bb.53:                               ;   in Loop: Header=BB19_33 Depth=1
	v_bfe_u32 v25, v1, 20, 1
	s_delay_alu instid0(VALU_DEP_1) | instskip(NEXT) | instid1(VALU_DEP_1)
	v_add3_u32 v25, v1, v25, 0x407ffff
	v_lshrrev_b32_e32 v25, 20, v25
; %bb.54:                               ;   in Loop: Header=BB19_33 Depth=1
	s_and_not1_saveexec_b32 s9, s9
; %bb.55:                               ;   in Loop: Header=BB19_33 Depth=1
	v_add_f32_e64 v25, 0x46800000, |v1|
; %bb.56:                               ;   in Loop: Header=BB19_33 Depth=1
	s_or_b32 exec_lo, exec_lo, s9
.LBB19_57:                              ;   in Loop: Header=BB19_33 Depth=1
	s_delay_alu instid0(SALU_CYCLE_1) | instskip(SKIP_2) | instid1(VALU_DEP_1)
	s_or_b32 exec_lo, exec_lo, s0
	v_cvt_f32_f16_e32 v28, v2
	s_mov_b32 s0, exec_lo
	v_div_scale_f32 v29, null, v8, v8, v28
	v_div_scale_f32 v32, vcc_lo, v28, v8, v28
	s_delay_alu instid0(VALU_DEP_2) | instskip(SKIP_2) | instid1(VALU_DEP_1)
	v_rcp_f32_e32 v30, v29
	s_waitcnt_depctr 0xfff
	v_fma_f32 v31, -v29, v30, 1.0
	v_fmac_f32_e32 v30, v31, v30
	s_delay_alu instid0(VALU_DEP_1) | instskip(NEXT) | instid1(VALU_DEP_1)
	v_mul_f32_e32 v31, v32, v30
	v_fma_f32 v33, -v29, v31, v32
	s_delay_alu instid0(VALU_DEP_1) | instskip(NEXT) | instid1(VALU_DEP_1)
	v_fmac_f32_e32 v31, v33, v30
	v_fma_f32 v29, -v29, v31, v32
	s_delay_alu instid0(VALU_DEP_1) | instskip(NEXT) | instid1(VALU_DEP_1)
	v_div_fmas_f32 v29, v29, v30, v31
	v_div_fixup_f32 v28, v29, v8, v28
	v_mov_b32_e32 v29, 0x7f
	s_delay_alu instid0(VALU_DEP_2) | instskip(SKIP_1) | instid1(VALU_DEP_2)
	v_maxmin_f32 v30, v28, v19, v20
	v_mov_b32_e32 v28, 0x7f
	v_and_b32_e32 v31, 0x7fffffff, v30
	s_delay_alu instid0(VALU_DEP_1)
	v_cmpx_gt_u32_e32 0x43f00000, v31
	s_cbranch_execz .LBB19_63
; %bb.58:                               ;   in Loop: Header=BB19_33 Depth=1
	s_mov_b32 s9, exec_lo
                                        ; implicit-def: $vgpr28
	v_cmpx_lt_u32_e32 0x3c7fffff, v31
	s_xor_b32 s9, exec_lo, s9
; %bb.59:                               ;   in Loop: Header=BB19_33 Depth=1
	v_bfe_u32 v28, v30, 20, 1
	s_delay_alu instid0(VALU_DEP_1) | instskip(NEXT) | instid1(VALU_DEP_1)
	v_add3_u32 v28, v30, v28, 0x407ffff
	v_lshrrev_b32_e32 v28, 20, v28
; %bb.60:                               ;   in Loop: Header=BB19_33 Depth=1
	s_and_not1_saveexec_b32 s9, s9
; %bb.61:                               ;   in Loop: Header=BB19_33 Depth=1
	v_add_f32_e64 v28, 0x46800000, |v30|
; %bb.62:                               ;   in Loop: Header=BB19_33 Depth=1
	s_or_b32 exec_lo, exec_lo, s9
.LBB19_63:                              ;   in Loop: Header=BB19_33 Depth=1
	s_delay_alu instid0(SALU_CYCLE_1) | instskip(SKIP_2) | instid1(VALU_DEP_1)
	s_or_b32 exec_lo, exec_lo, s0
	v_lshrrev_b32_e32 v2, 16, v2
	s_mov_b32 s0, exec_lo
	v_cvt_f32_f16_e32 v2, v2
	s_delay_alu instid0(VALU_DEP_1) | instskip(NEXT) | instid1(VALU_DEP_1)
	v_div_scale_f32 v31, null, v8, v8, v2
	v_rcp_f32_e32 v32, v31
	s_waitcnt_depctr 0xfff
	v_fma_f32 v33, -v31, v32, 1.0
	s_delay_alu instid0(VALU_DEP_1) | instskip(SKIP_1) | instid1(VALU_DEP_1)
	v_fmac_f32_e32 v32, v33, v32
	v_div_scale_f32 v33, vcc_lo, v2, v8, v2
	v_mul_f32_e32 v34, v33, v32
	s_delay_alu instid0(VALU_DEP_1) | instskip(NEXT) | instid1(VALU_DEP_1)
	v_fma_f32 v35, -v31, v34, v33
	v_fmac_f32_e32 v34, v35, v32
	s_delay_alu instid0(VALU_DEP_1) | instskip(NEXT) | instid1(VALU_DEP_1)
	v_fma_f32 v31, -v31, v34, v33
	v_div_fmas_f32 v31, v31, v32, v34
	s_delay_alu instid0(VALU_DEP_1) | instskip(NEXT) | instid1(VALU_DEP_1)
	v_div_fixup_f32 v2, v31, v8, v2
	v_maxmin_f32 v2, v2, v19, v20
	s_delay_alu instid0(VALU_DEP_1) | instskip(NEXT) | instid1(VALU_DEP_1)
	v_and_b32_e32 v31, 0x7fffffff, v2
	v_cmpx_gt_u32_e32 0x43f00000, v31
	s_cbranch_execz .LBB19_69
; %bb.64:                               ;   in Loop: Header=BB19_33 Depth=1
	s_mov_b32 s9, exec_lo
                                        ; implicit-def: $vgpr29
	v_cmpx_lt_u32_e32 0x3c7fffff, v31
	s_xor_b32 s9, exec_lo, s9
; %bb.65:                               ;   in Loop: Header=BB19_33 Depth=1
	v_bfe_u32 v29, v2, 20, 1
	s_delay_alu instid0(VALU_DEP_1) | instskip(NEXT) | instid1(VALU_DEP_1)
	v_add3_u32 v29, v2, v29, 0x407ffff
	v_lshrrev_b32_e32 v29, 20, v29
; %bb.66:                               ;   in Loop: Header=BB19_33 Depth=1
	s_and_not1_saveexec_b32 s9, s9
; %bb.67:                               ;   in Loop: Header=BB19_33 Depth=1
	v_add_f32_e64 v29, 0x46800000, |v2|
; %bb.68:                               ;   in Loop: Header=BB19_33 Depth=1
	s_or_b32 exec_lo, exec_lo, s9
.LBB19_69:                              ;   in Loop: Header=BB19_33 Depth=1
	s_delay_alu instid0(SALU_CYCLE_1) | instskip(SKIP_2) | instid1(VALU_DEP_1)
	s_or_b32 exec_lo, exec_lo, s0
	v_cvt_f32_f16_e32 v31, v3
	s_mov_b32 s0, exec_lo
	v_div_scale_f32 v32, null, v8, v8, v31
	v_div_scale_f32 v35, vcc_lo, v31, v8, v31
	s_delay_alu instid0(VALU_DEP_2) | instskip(SKIP_2) | instid1(VALU_DEP_1)
	v_rcp_f32_e32 v33, v32
	s_waitcnt_depctr 0xfff
	v_fma_f32 v34, -v32, v33, 1.0
	v_fmac_f32_e32 v33, v34, v33
	s_delay_alu instid0(VALU_DEP_1) | instskip(NEXT) | instid1(VALU_DEP_1)
	v_mul_f32_e32 v34, v35, v33
	v_fma_f32 v36, -v32, v34, v35
	s_delay_alu instid0(VALU_DEP_1) | instskip(NEXT) | instid1(VALU_DEP_1)
	v_fmac_f32_e32 v34, v36, v33
	v_fma_f32 v32, -v32, v34, v35
	s_delay_alu instid0(VALU_DEP_1) | instskip(NEXT) | instid1(VALU_DEP_1)
	v_div_fmas_f32 v32, v32, v33, v34
	v_div_fixup_f32 v31, v32, v8, v31
	v_mov_b32_e32 v32, 0x7f
	s_delay_alu instid0(VALU_DEP_2) | instskip(SKIP_1) | instid1(VALU_DEP_2)
	v_maxmin_f32 v33, v31, v19, v20
	v_mov_b32_e32 v31, 0x7f
	v_and_b32_e32 v34, 0x7fffffff, v33
	s_delay_alu instid0(VALU_DEP_1)
	v_cmpx_gt_u32_e32 0x43f00000, v34
	s_cbranch_execz .LBB19_75
; %bb.70:                               ;   in Loop: Header=BB19_33 Depth=1
	s_mov_b32 s9, exec_lo
                                        ; implicit-def: $vgpr31
	v_cmpx_lt_u32_e32 0x3c7fffff, v34
	s_xor_b32 s9, exec_lo, s9
; %bb.71:                               ;   in Loop: Header=BB19_33 Depth=1
	v_bfe_u32 v31, v33, 20, 1
	s_delay_alu instid0(VALU_DEP_1) | instskip(NEXT) | instid1(VALU_DEP_1)
	v_add3_u32 v31, v33, v31, 0x407ffff
	v_lshrrev_b32_e32 v31, 20, v31
; %bb.72:                               ;   in Loop: Header=BB19_33 Depth=1
	s_and_not1_saveexec_b32 s9, s9
; %bb.73:                               ;   in Loop: Header=BB19_33 Depth=1
	v_add_f32_e64 v31, 0x46800000, |v33|
; %bb.74:                               ;   in Loop: Header=BB19_33 Depth=1
	s_or_b32 exec_lo, exec_lo, s9
.LBB19_75:                              ;   in Loop: Header=BB19_33 Depth=1
	s_delay_alu instid0(SALU_CYCLE_1) | instskip(SKIP_2) | instid1(VALU_DEP_1)
	s_or_b32 exec_lo, exec_lo, s0
	v_lshrrev_b32_e32 v3, 16, v3
	s_mov_b32 s0, exec_lo
	v_cvt_f32_f16_e32 v3, v3
	s_delay_alu instid0(VALU_DEP_1) | instskip(NEXT) | instid1(VALU_DEP_1)
	v_div_scale_f32 v34, null, v8, v8, v3
	v_rcp_f32_e32 v35, v34
	s_waitcnt_depctr 0xfff
	v_fma_f32 v36, -v34, v35, 1.0
	s_delay_alu instid0(VALU_DEP_1) | instskip(SKIP_1) | instid1(VALU_DEP_1)
	v_fmac_f32_e32 v35, v36, v35
	v_div_scale_f32 v36, vcc_lo, v3, v8, v3
	v_mul_f32_e32 v37, v36, v35
	s_delay_alu instid0(VALU_DEP_1) | instskip(NEXT) | instid1(VALU_DEP_1)
	v_fma_f32 v38, -v34, v37, v36
	v_fmac_f32_e32 v37, v38, v35
	s_delay_alu instid0(VALU_DEP_1) | instskip(NEXT) | instid1(VALU_DEP_1)
	v_fma_f32 v34, -v34, v37, v36
	v_div_fmas_f32 v34, v34, v35, v37
	s_delay_alu instid0(VALU_DEP_1) | instskip(NEXT) | instid1(VALU_DEP_1)
	v_div_fixup_f32 v3, v34, v8, v3
	v_maxmin_f32 v3, v3, v19, v20
	s_delay_alu instid0(VALU_DEP_1) | instskip(NEXT) | instid1(VALU_DEP_1)
	v_and_b32_e32 v34, 0x7fffffff, v3
	v_cmpx_gt_u32_e32 0x43f00000, v34
	s_cbranch_execz .LBB19_32
; %bb.76:                               ;   in Loop: Header=BB19_33 Depth=1
	s_mov_b32 s9, exec_lo
                                        ; implicit-def: $vgpr32
	v_cmpx_lt_u32_e32 0x3c7fffff, v34
	s_xor_b32 s9, exec_lo, s9
; %bb.77:                               ;   in Loop: Header=BB19_33 Depth=1
	v_bfe_u32 v32, v3, 20, 1
	s_delay_alu instid0(VALU_DEP_1) | instskip(NEXT) | instid1(VALU_DEP_1)
	v_add3_u32 v32, v3, v32, 0x407ffff
	v_lshrrev_b32_e32 v32, 20, v32
; %bb.78:                               ;   in Loop: Header=BB19_33 Depth=1
	s_and_not1_saveexec_b32 s9, s9
	s_cbranch_execz .LBB19_31
; %bb.79:                               ;   in Loop: Header=BB19_33 Depth=1
	v_add_f32_e64 v32, 0x46800000, |v3|
	s_branch .LBB19_31
.LBB19_80:
	s_or_b32 exec_lo, exec_lo, s1
	v_lshlrev_b32_e32 v2, 3, v17
	s_mov_b32 s5, exec_lo
	s_delay_alu instid0(VALU_DEP_1) | instskip(NEXT) | instid1(VALU_DEP_1)
	v_add_nc_u32_e32 v0, v2, v12
	v_cmpx_lt_i32_e64 v0, v9
	s_cbranch_execz .LBB19_96
; %bb.81:
	v_add_nc_u32_e32 v1, 16, v0
	s_mov_b32 s0, 0
	s_mov_b32 s1, exec_lo
	s_delay_alu instid0(VALU_DEP_1) | instskip(NEXT) | instid1(VALU_DEP_1)
	v_max_i32_e32 v3, v1, v9
	v_xad_u32 v3, v12, -1, v3
	s_delay_alu instid0(VALU_DEP_1) | instskip(NEXT) | instid1(VALU_DEP_1)
	v_sub_nc_u32_e32 v2, v3, v2
                                        ; implicit-def: $vgpr3
	v_cmpx_lt_u32_e32 15, v2
	s_xor_b32 s9, exec_lo, s1
	s_cbranch_execnz .LBB19_84
; %bb.82:
	s_and_not1_saveexec_b32 s1, s9
	s_cbranch_execnz .LBB19_87
.LBB19_83:
	s_or_b32 exec_lo, exec_lo, s1
	s_delay_alu instid0(SALU_CYCLE_1)
	s_and_b32 exec_lo, exec_lo, s0
	s_cbranch_execnz .LBB19_88
	s_branch .LBB19_96
.LBB19_84:
	v_lshrrev_b32_e32 v2, 4, v2
	v_lshlrev_b32_e32 v3, 1, v13
	v_lshlrev_b32_e32 v17, 4, v17
	v_add_co_u32 v13, vcc_lo, v15, v10
	s_delay_alu instid0(VALU_DEP_4) | instskip(SKIP_3) | instid1(VALU_DEP_4)
	v_add_nc_u32_e32 v6, 1, v2
	v_add_co_ci_u32_e32 v15, vcc_lo, v16, v11, vcc_lo
	v_mov_b32_e32 v16, v8
	v_lshlrev_b32_e32 v12, 1, v12
	v_and_b32_e32 v7, 0x1ffffffe, v6
	v_lshlrev_b32_e32 v14, 1, v10
	s_mov_b32 s0, s6
	s_mov_b32 s1, s6
	;; [unrolled: 1-line block ×3, first 2 shown]
	v_mov_b32_e32 v21, v7
	v_add3_u32 v2, v3, v17, v14
	s_mov_b32 s11, s7
	v_max_f32_e64 v17, s0, s0
	v_max_f32_e64 v18, s1, s1
	;; [unrolled: 1-line block ×3, first 2 shown]
	v_add3_u32 v12, v2, v12, 0
	v_mov_b32_e32 v2, v1
	v_max_f32_e64 v20, s10, s10
	v_mov_b32_e32 v1, v0
	s_mov_b32 s10, 0
.LBB19_85:                              ; =>This Inner Loop Header: Depth=1
	ds_load_u16 v22, v12
	ds_load_u16 v23, v12 offset:32
	v_ashrrev_i32_e32 v25, 31, v2
	v_ashrrev_i32_e32 v26, 31, v1
	v_add_nc_u32_e32 v12, 64, v12
	v_add_nc_u32_e32 v21, -2, v21
	s_waitcnt lgkmcnt(1)
	v_cvt_f32_f16_e32 v27, v22
	s_waitcnt lgkmcnt(0)
	v_cvt_f32_f16_e32 v23, v23
	s_delay_alu instid0(VALU_DEP_2) | instskip(NEXT) | instid1(VALU_DEP_2)
	v_div_scale_f32 v22, null, v8, v8, v27
	v_div_scale_f32 v28, null, v16, v16, v23
	v_div_scale_f32 v31, vcc_lo, v27, v8, v27
	s_delay_alu instid0(VALU_DEP_3) | instskip(NEXT) | instid1(VALU_DEP_2)
	v_rcp_f32_e32 v29, v22
	v_rcp_f32_e32 v30, v28
	v_div_scale_f32 v32, s0, v23, v16, v23
	s_waitcnt_depctr 0xfff
	v_fma_f32 v33, -v22, v29, 1.0
	v_mov_b32_e32 v24, v2
	v_fma_f32 v34, -v28, v30, 1.0
	s_delay_alu instid0(VALU_DEP_3) | instskip(NEXT) | instid1(VALU_DEP_1)
	v_dual_fmac_f32 v29, v33, v29 :: v_dual_add_nc_u32 v2, 32, v2
	v_mul_f32_e32 v33, v31, v29
	s_delay_alu instid0(VALU_DEP_1) | instskip(NEXT) | instid1(VALU_DEP_1)
	v_fma_f32 v35, -v22, v33, v31
	v_dual_fmac_f32 v30, v34, v30 :: v_dual_fmac_f32 v33, v35, v29
	s_delay_alu instid0(VALU_DEP_1) | instskip(NEXT) | instid1(VALU_DEP_2)
	v_mul_f32_e32 v34, v32, v30
	v_fma_f32 v22, -v22, v33, v31
	s_delay_alu instid0(VALU_DEP_2) | instskip(NEXT) | instid1(VALU_DEP_2)
	v_fma_f32 v36, -v28, v34, v32
	v_div_fmas_f32 v29, v22, v29, v33
	s_delay_alu instid0(VALU_DEP_2) | instskip(SKIP_1) | instid1(VALU_DEP_2)
	v_fmac_f32_e32 v34, v36, v30
	s_mov_b32 vcc_lo, s0
	v_div_fixup_f32 v27, v29, v8, v27
	s_delay_alu instid0(VALU_DEP_2) | instskip(NEXT) | instid1(VALU_DEP_2)
	v_fma_f32 v28, -v28, v34, v32
	v_maxmin_f32 v27, v27, v17, v20
	s_delay_alu instid0(VALU_DEP_2) | instskip(SKIP_2) | instid1(VALU_DEP_4)
	v_div_fmas_f32 v28, v28, v30, v34
	v_add_co_u32 v22, vcc_lo, v13, v1
	v_add_nc_u32_e32 v1, 32, v1
	v_and_b32_e32 v30, 0x7fffffff, v27
	s_delay_alu instid0(VALU_DEP_4) | instskip(SKIP_1) | instid1(VALU_DEP_3)
	v_div_fixup_f32 v23, v28, v16, v23
	v_add_f32_e64 v31, 0x46800000, |v27|
	v_add_nc_u32_e32 v34, 0xc3800000, v30
	s_delay_alu instid0(VALU_DEP_3) | instskip(SKIP_2) | instid1(VALU_DEP_4)
	v_maxmin_f32 v28, v23, v18, v19
	v_add_co_ci_u32_e32 v23, vcc_lo, v15, v26, vcc_lo
	v_bfe_u32 v26, v27, 20, 1
	v_cmp_gt_u32_e64 s0, 0x7700000, v34
	s_delay_alu instid0(VALU_DEP_4)
	v_bfe_u32 v29, v28, 20, 1
	v_and_b32_e32 v32, 0x7fffffff, v28
	v_add_f32_e64 v33, 0x46800000, |v28|
	v_add3_u32 v26, v27, v26, 0x407ffff
	v_add_co_u32 v24, vcc_lo, v13, v24
	v_add3_u32 v29, v28, v29, 0x407ffff
	v_add_nc_u32_e32 v35, 0xc3800000, v32
	s_delay_alu instid0(VALU_DEP_4)
	v_lshrrev_b32_e32 v26, 20, v26
	v_lshrrev_b32_e32 v27, 24, v27
	;; [unrolled: 1-line block ×4, first 2 shown]
	v_cmp_gt_u32_e64 s1, 0x7700000, v35
	v_cndmask_b32_e64 v26, v31, v26, s0
	v_cmp_gt_u32_e64 s0, 0x43f00000, v30
	v_add_co_ci_u32_e32 v25, vcc_lo, v15, v25, vcc_lo
	s_delay_alu instid0(VALU_DEP_4) | instskip(SKIP_1) | instid1(VALU_DEP_4)
	v_cndmask_b32_e64 v29, v33, v29, s1
	v_cmp_gt_u32_e64 s1, 0x43f00000, v32
	v_cndmask_b32_e64 v26, 0x7f, v26, s0
	v_cmp_eq_u32_e32 vcc_lo, 0, v21
	s_delay_alu instid0(VALU_DEP_3) | instskip(NEXT) | instid1(VALU_DEP_3)
	v_cndmask_b32_e64 v29, 0x7f, v29, s1
	v_and_or_b32 v26, 0x80, v27, v26
	s_or_b32 s10, vcc_lo, s10
	s_delay_alu instid0(VALU_DEP_2)
	v_and_or_b32 v27, 0x80, v28, v29
	s_clause 0x1
	global_store_b8 v[22:23], v26, off
	global_store_b8 v[24:25], v27, off
	s_and_not1_b32 exec_lo, exec_lo, s10
	s_cbranch_execnz .LBB19_85
; %bb.86:
	s_or_b32 exec_lo, exec_lo, s10
	v_cmp_ne_u32_e32 vcc_lo, v6, v7
	v_lshl_add_u32 v0, v7, 4, v0
                                        ; implicit-def: $vgpr13
	s_and_b32 s0, vcc_lo, exec_lo
	s_and_not1_saveexec_b32 s1, s9
	s_cbranch_execz .LBB19_83
.LBB19_87:
	v_lshlrev_b32_e32 v3, 1, v13
	s_or_b32 s0, s0, exec_lo
	s_or_b32 exec_lo, exec_lo, s1
	s_delay_alu instid0(SALU_CYCLE_1)
	s_and_b32 exec_lo, exec_lo, s0
	s_cbranch_execz .LBB19_96
.LBB19_88:
	v_add_co_u32 v1, vcc_lo, v10, v4
	v_add_co_ci_u32_e32 v2, vcc_lo, v11, v5, vcc_lo
	v_ashrrev_i32_e32 v4, 31, v0
	s_delay_alu instid0(VALU_DEP_3) | instskip(SKIP_2) | instid1(VALU_DEP_4)
	v_add_co_u32 v1, vcc_lo, v1, v0
	v_lshl_add_u32 v3, v0, 1, v3
	v_max_f32_e64 v5, s7, s7
	v_add_co_ci_u32_e32 v2, vcc_lo, v2, v4, vcc_lo
	s_delay_alu instid0(VALU_DEP_4) | instskip(NEXT) | instid1(VALU_DEP_4)
	v_add_co_u32 v1, vcc_lo, s2, v1
	v_add3_u32 v3, v3, v14, 0
	s_delay_alu instid0(VALU_DEP_3)
	v_add_co_ci_u32_e32 v2, vcc_lo, s3, v2, vcc_lo
	v_max_f32_e64 v4, s6, s6
	s_mov_b32 s1, 0
	s_branch .LBB19_91
.LBB19_89:                              ;   in Loop: Header=BB19_91 Depth=1
	s_or_b32 exec_lo, exec_lo, s9
.LBB19_90:                              ;   in Loop: Header=BB19_91 Depth=1
	s_delay_alu instid0(SALU_CYCLE_1) | instskip(SKIP_3) | instid1(VALU_DEP_3)
	s_or_b32 exec_lo, exec_lo, s0
	v_lshrrev_b32_e32 v6, 24, v6
	v_add_nc_u32_e32 v0, 16, v0
	v_add_nc_u32_e32 v3, 32, v3
	v_and_or_b32 v6, 0x80, v6, v7
	s_delay_alu instid0(VALU_DEP_3) | instskip(SKIP_2) | instid1(VALU_DEP_1)
	v_cmp_ge_i32_e32 vcc_lo, v0, v9
	global_store_b8 v[1:2], v6, off
	v_add_co_u32 v1, s0, v1, 16
	v_add_co_ci_u32_e64 v2, s0, 0, v2, s0
	s_or_b32 s1, vcc_lo, s1
	s_delay_alu instid0(SALU_CYCLE_1)
	s_and_not1_b32 exec_lo, exec_lo, s1
	s_cbranch_execz .LBB19_96
.LBB19_91:                              ; =>This Inner Loop Header: Depth=1
	ds_load_u16 v6, v3
	s_mov_b32 s0, exec_lo
	s_waitcnt lgkmcnt(0)
	v_cvt_f32_f16_e32 v6, v6
	s_delay_alu instid0(VALU_DEP_1) | instskip(SKIP_1) | instid1(VALU_DEP_2)
	v_div_scale_f32 v7, null, v8, v8, v6
	v_div_scale_f32 v12, vcc_lo, v6, v8, v6
	v_rcp_f32_e32 v10, v7
	s_waitcnt_depctr 0xfff
	v_fma_f32 v11, -v7, v10, 1.0
	s_delay_alu instid0(VALU_DEP_1) | instskip(NEXT) | instid1(VALU_DEP_1)
	v_fmac_f32_e32 v10, v11, v10
	v_mul_f32_e32 v11, v12, v10
	s_delay_alu instid0(VALU_DEP_1) | instskip(NEXT) | instid1(VALU_DEP_1)
	v_fma_f32 v13, -v7, v11, v12
	v_fmac_f32_e32 v11, v13, v10
	s_delay_alu instid0(VALU_DEP_1) | instskip(NEXT) | instid1(VALU_DEP_1)
	v_fma_f32 v7, -v7, v11, v12
	v_div_fmas_f32 v7, v7, v10, v11
	s_delay_alu instid0(VALU_DEP_1) | instskip(SKIP_1) | instid1(VALU_DEP_2)
	v_div_fixup_f32 v6, v7, v8, v6
	v_mov_b32_e32 v7, 0x7f
	v_maxmin_f32 v6, v6, v4, v5
	s_delay_alu instid0(VALU_DEP_1) | instskip(NEXT) | instid1(VALU_DEP_1)
	v_and_b32_e32 v10, 0x7fffffff, v6
	v_cmpx_gt_u32_e32 0x43f00000, v10
	s_cbranch_execz .LBB19_90
; %bb.92:                               ;   in Loop: Header=BB19_91 Depth=1
	s_mov_b32 s9, exec_lo
                                        ; implicit-def: $vgpr7
	v_cmpx_lt_u32_e32 0x3c7fffff, v10
	s_xor_b32 s9, exec_lo, s9
; %bb.93:                               ;   in Loop: Header=BB19_91 Depth=1
	v_bfe_u32 v7, v6, 20, 1
	s_delay_alu instid0(VALU_DEP_1) | instskip(NEXT) | instid1(VALU_DEP_1)
	v_add3_u32 v7, v6, v7, 0x407ffff
	v_lshrrev_b32_e32 v7, 20, v7
; %bb.94:                               ;   in Loop: Header=BB19_91 Depth=1
	s_and_not1_saveexec_b32 s9, s9
	s_cbranch_execz .LBB19_89
; %bb.95:                               ;   in Loop: Header=BB19_91 Depth=1
	v_add_f32_e64 v7, 0x46800000, |v6|
	s_branch .LBB19_89
.LBB19_96:
	s_or_b32 exec_lo, exec_lo, s5
                                        ; implicit-def: $vgpr12
                                        ; implicit-def: $vgpr8
                                        ; implicit-def: $vgpr13
                                        ; implicit-def: $vgpr4_vgpr5
.LBB19_97:
	s_and_not1_saveexec_b32 s0, s4
	s_cbranch_execz .LBB19_149
; %bb.98:
	s_ashr_i32 s1, s8, 3
	s_mov_b32 s0, exec_lo
	v_cmpx_gt_i32_e64 s1, v12
	s_cbranch_execz .LBB19_149
; %bb.99:
	v_lshlrev_b32_e32 v0, 3, v12
	v_lshlrev_b32_e32 v1, 1, v13
	;; [unrolled: 1-line block ×3, first 2 shown]
	v_max_f32_e64 v7, s6, s6
	v_max_f32_e64 v9, s7, s7
	v_add_co_u32 v0, vcc_lo, v4, v0
	v_add_co_ci_u32_e32 v3, vcc_lo, 0, v5, vcc_lo
	v_add3_u32 v6, v1, v2, 0
	s_delay_alu instid0(VALU_DEP_3) | instskip(NEXT) | instid1(VALU_DEP_3)
	v_add_co_u32 v4, vcc_lo, s2, v0
	v_add_co_ci_u32_e32 v5, vcc_lo, s3, v3, vcc_lo
	s_mov_b32 s2, 0
	s_branch .LBB19_102
.LBB19_100:                             ;   in Loop: Header=BB19_102 Depth=1
	s_or_b32 exec_lo, exec_lo, s3
.LBB19_101:                             ;   in Loop: Header=BB19_102 Depth=1
	s_delay_alu instid0(SALU_CYCLE_1)
	s_or_b32 exec_lo, exec_lo, s0
	v_lshrrev_b32_e32 v22, 24, v22
	v_lshrrev_b32_e32 v16, 24, v16
	;; [unrolled: 1-line block ×5, first 2 shown]
	v_and_b32_e32 v22, 0x80, v22
	v_and_b32_e32 v16, 0x80, v16
	v_lshrrev_b32_e32 v19, 24, v19
	v_and_b32_e32 v2, 0x80, v2
	v_lshrrev_b32_e32 v13, 24, v13
	v_and_or_b32 v3, 0x80, v3, v21
	v_and_or_b32 v20, 0xff, v20, v22
	v_and_b32_e32 v0, 0x80, v0
	v_and_or_b32 v15, 0xff, v15, v16
	v_and_b32_e32 v19, 0x80, v19
	v_and_b32_e32 v13, 0x80, v13
	v_lshlrev_b32_e32 v3, 24, v3
	v_lshlrev_b32_e32 v20, 16, v20
	v_and_or_b32 v2, 0xff, v18, v2
	v_lshlrev_b32_e32 v14, 24, v14
	v_and_b32_e32 v1, 0x80000000, v1
	v_and_or_b32 v0, 0xff, v11, v0
	v_lshlrev_b32_e32 v11, 16, v15
	v_or_b32_e32 v3, v3, v20
	v_lshlrev_b32_e32 v2, 8, v2
	v_and_or_b32 v15, 0xff, v17, v19
	v_lshlrev_b32_e32 v0, 8, v0
	v_or3_b32 v11, v14, v1, v11
	v_and_or_b32 v10, 0xff, v10, v13
	v_add_nc_u32_e32 v12, 16, v12
	v_or3_b32 v1, v3, v2, v15
	v_add_nc_u32_e32 v6, 0x100, v6
	s_delay_alu instid0(VALU_DEP_4) | instskip(NEXT) | instid1(VALU_DEP_4)
	v_or3_b32 v0, v11, v0, v10
	v_cmp_le_i32_e32 vcc_lo, s1, v12
	global_store_b64 v[4:5], v[0:1], off
	v_add_co_u32 v4, s0, 0x80, v4
	s_delay_alu instid0(VALU_DEP_1) | instskip(SKIP_1) | instid1(SALU_CYCLE_1)
	v_add_co_ci_u32_e64 v5, s0, 0, v5, s0
	s_or_b32 s2, vcc_lo, s2
	s_and_not1_b32 exec_lo, exec_lo, s2
	s_cbranch_execz .LBB19_149
.LBB19_102:                             ; =>This Inner Loop Header: Depth=1
	ds_load_b128 v[0:3], v6
	s_mov_b32 s0, exec_lo
	s_waitcnt lgkmcnt(0)
	v_cvt_f32_f16_e32 v10, v0
	s_delay_alu instid0(VALU_DEP_1) | instskip(SKIP_1) | instid1(VALU_DEP_2)
	v_div_scale_f32 v11, null, v8, v8, v10
	v_div_scale_f32 v15, vcc_lo, v10, v8, v10
	v_rcp_f32_e32 v13, v11
	s_waitcnt_depctr 0xfff
	v_fma_f32 v14, -v11, v13, 1.0
	s_delay_alu instid0(VALU_DEP_1) | instskip(NEXT) | instid1(VALU_DEP_1)
	v_fmac_f32_e32 v13, v14, v13
	v_mul_f32_e32 v14, v15, v13
	s_delay_alu instid0(VALU_DEP_1) | instskip(NEXT) | instid1(VALU_DEP_1)
	v_fma_f32 v16, -v11, v14, v15
	v_fmac_f32_e32 v14, v16, v13
	s_delay_alu instid0(VALU_DEP_1) | instskip(NEXT) | instid1(VALU_DEP_1)
	v_fma_f32 v11, -v11, v14, v15
	v_div_fmas_f32 v11, v11, v13, v14
	s_delay_alu instid0(VALU_DEP_1) | instskip(SKIP_1) | instid1(VALU_DEP_2)
	v_div_fixup_f32 v10, v11, v8, v10
	v_mov_b32_e32 v11, 0x7f
	v_maxmin_f32 v13, v10, v7, v9
	v_mov_b32_e32 v10, 0x7f
	s_delay_alu instid0(VALU_DEP_2) | instskip(NEXT) | instid1(VALU_DEP_1)
	v_and_b32_e32 v14, 0x7fffffff, v13
	v_cmpx_gt_u32_e32 0x43f00000, v14
	s_cbranch_execz .LBB19_108
; %bb.103:                              ;   in Loop: Header=BB19_102 Depth=1
	s_mov_b32 s3, exec_lo
                                        ; implicit-def: $vgpr10
	v_cmpx_lt_u32_e32 0x3c7fffff, v14
	s_xor_b32 s3, exec_lo, s3
; %bb.104:                              ;   in Loop: Header=BB19_102 Depth=1
	v_bfe_u32 v10, v13, 20, 1
	s_delay_alu instid0(VALU_DEP_1) | instskip(NEXT) | instid1(VALU_DEP_1)
	v_add3_u32 v10, v13, v10, 0x407ffff
	v_lshrrev_b32_e32 v10, 20, v10
; %bb.105:                              ;   in Loop: Header=BB19_102 Depth=1
	s_and_not1_saveexec_b32 s3, s3
; %bb.106:                              ;   in Loop: Header=BB19_102 Depth=1
	v_add_f32_e64 v10, 0x46800000, |v13|
; %bb.107:                              ;   in Loop: Header=BB19_102 Depth=1
	s_or_b32 exec_lo, exec_lo, s3
.LBB19_108:                             ;   in Loop: Header=BB19_102 Depth=1
	s_delay_alu instid0(SALU_CYCLE_1) | instskip(SKIP_2) | instid1(VALU_DEP_1)
	s_or_b32 exec_lo, exec_lo, s0
	v_lshrrev_b32_e32 v0, 16, v0
	s_mov_b32 s0, exec_lo
	v_cvt_f32_f16_e32 v0, v0
	s_delay_alu instid0(VALU_DEP_1) | instskip(NEXT) | instid1(VALU_DEP_1)
	v_div_scale_f32 v14, null, v8, v8, v0
	v_rcp_f32_e32 v15, v14
	s_waitcnt_depctr 0xfff
	v_fma_f32 v16, -v14, v15, 1.0
	s_delay_alu instid0(VALU_DEP_1) | instskip(SKIP_1) | instid1(VALU_DEP_1)
	v_fmac_f32_e32 v15, v16, v15
	v_div_scale_f32 v16, vcc_lo, v0, v8, v0
	v_mul_f32_e32 v17, v16, v15
	s_delay_alu instid0(VALU_DEP_1) | instskip(NEXT) | instid1(VALU_DEP_1)
	v_fma_f32 v18, -v14, v17, v16
	v_fmac_f32_e32 v17, v18, v15
	s_delay_alu instid0(VALU_DEP_1) | instskip(NEXT) | instid1(VALU_DEP_1)
	v_fma_f32 v14, -v14, v17, v16
	v_div_fmas_f32 v14, v14, v15, v17
	s_delay_alu instid0(VALU_DEP_1) | instskip(NEXT) | instid1(VALU_DEP_1)
	v_div_fixup_f32 v0, v14, v8, v0
	v_maxmin_f32 v0, v0, v7, v9
	s_delay_alu instid0(VALU_DEP_1) | instskip(NEXT) | instid1(VALU_DEP_1)
	v_and_b32_e32 v14, 0x7fffffff, v0
	v_cmpx_gt_u32_e32 0x43f00000, v14
	s_cbranch_execz .LBB19_114
; %bb.109:                              ;   in Loop: Header=BB19_102 Depth=1
	s_mov_b32 s3, exec_lo
                                        ; implicit-def: $vgpr11
	v_cmpx_lt_u32_e32 0x3c7fffff, v14
	s_xor_b32 s3, exec_lo, s3
; %bb.110:                              ;   in Loop: Header=BB19_102 Depth=1
	v_bfe_u32 v11, v0, 20, 1
	s_delay_alu instid0(VALU_DEP_1) | instskip(NEXT) | instid1(VALU_DEP_1)
	v_add3_u32 v11, v0, v11, 0x407ffff
	v_lshrrev_b32_e32 v11, 20, v11
; %bb.111:                              ;   in Loop: Header=BB19_102 Depth=1
	s_and_not1_saveexec_b32 s3, s3
; %bb.112:                              ;   in Loop: Header=BB19_102 Depth=1
	v_add_f32_e64 v11, 0x46800000, |v0|
; %bb.113:                              ;   in Loop: Header=BB19_102 Depth=1
	s_or_b32 exec_lo, exec_lo, s3
.LBB19_114:                             ;   in Loop: Header=BB19_102 Depth=1
	s_delay_alu instid0(SALU_CYCLE_1) | instskip(SKIP_2) | instid1(VALU_DEP_1)
	s_or_b32 exec_lo, exec_lo, s0
	v_cvt_f32_f16_e32 v14, v1
	s_mov_b32 s0, exec_lo
	v_div_scale_f32 v15, null, v8, v8, v14
	v_div_scale_f32 v18, vcc_lo, v14, v8, v14
	s_delay_alu instid0(VALU_DEP_2) | instskip(SKIP_2) | instid1(VALU_DEP_1)
	v_rcp_f32_e32 v16, v15
	s_waitcnt_depctr 0xfff
	v_fma_f32 v17, -v15, v16, 1.0
	v_fmac_f32_e32 v16, v17, v16
	s_delay_alu instid0(VALU_DEP_1) | instskip(NEXT) | instid1(VALU_DEP_1)
	v_mul_f32_e32 v17, v18, v16
	v_fma_f32 v19, -v15, v17, v18
	s_delay_alu instid0(VALU_DEP_1) | instskip(NEXT) | instid1(VALU_DEP_1)
	v_fmac_f32_e32 v17, v19, v16
	v_fma_f32 v15, -v15, v17, v18
	s_delay_alu instid0(VALU_DEP_1) | instskip(NEXT) | instid1(VALU_DEP_1)
	v_div_fmas_f32 v15, v15, v16, v17
	v_div_fixup_f32 v14, v15, v8, v14
	v_mov_b32_e32 v15, 0x7f
	s_delay_alu instid0(VALU_DEP_2) | instskip(SKIP_1) | instid1(VALU_DEP_2)
	v_maxmin_f32 v16, v14, v7, v9
	v_mov_b32_e32 v14, 0x7f
	v_and_b32_e32 v17, 0x7fffffff, v16
	s_delay_alu instid0(VALU_DEP_1)
	v_cmpx_gt_u32_e32 0x43f00000, v17
	s_cbranch_execz .LBB19_120
; %bb.115:                              ;   in Loop: Header=BB19_102 Depth=1
	s_mov_b32 s3, exec_lo
                                        ; implicit-def: $vgpr15
	v_cmpx_lt_u32_e32 0x3c7fffff, v17
	s_xor_b32 s3, exec_lo, s3
; %bb.116:                              ;   in Loop: Header=BB19_102 Depth=1
	v_bfe_u32 v15, v16, 20, 1
	s_delay_alu instid0(VALU_DEP_1) | instskip(NEXT) | instid1(VALU_DEP_1)
	v_add3_u32 v15, v16, v15, 0x407ffff
	v_lshrrev_b32_e32 v15, 20, v15
; %bb.117:                              ;   in Loop: Header=BB19_102 Depth=1
	s_and_not1_saveexec_b32 s3, s3
; %bb.118:                              ;   in Loop: Header=BB19_102 Depth=1
	v_add_f32_e64 v15, 0x46800000, |v16|
; %bb.119:                              ;   in Loop: Header=BB19_102 Depth=1
	s_or_b32 exec_lo, exec_lo, s3
.LBB19_120:                             ;   in Loop: Header=BB19_102 Depth=1
	s_delay_alu instid0(SALU_CYCLE_1) | instskip(SKIP_2) | instid1(VALU_DEP_1)
	s_or_b32 exec_lo, exec_lo, s0
	v_lshrrev_b32_e32 v1, 16, v1
	s_mov_b32 s0, exec_lo
	v_cvt_f32_f16_e32 v1, v1
	s_delay_alu instid0(VALU_DEP_1) | instskip(NEXT) | instid1(VALU_DEP_1)
	v_div_scale_f32 v17, null, v8, v8, v1
	v_rcp_f32_e32 v18, v17
	s_waitcnt_depctr 0xfff
	v_fma_f32 v19, -v17, v18, 1.0
	s_delay_alu instid0(VALU_DEP_1) | instskip(SKIP_1) | instid1(VALU_DEP_1)
	v_fmac_f32_e32 v18, v19, v18
	v_div_scale_f32 v19, vcc_lo, v1, v8, v1
	v_mul_f32_e32 v20, v19, v18
	s_delay_alu instid0(VALU_DEP_1) | instskip(NEXT) | instid1(VALU_DEP_1)
	v_fma_f32 v21, -v17, v20, v19
	v_fmac_f32_e32 v20, v21, v18
	s_delay_alu instid0(VALU_DEP_1) | instskip(NEXT) | instid1(VALU_DEP_1)
	v_fma_f32 v17, -v17, v20, v19
	v_div_fmas_f32 v17, v17, v18, v20
	s_delay_alu instid0(VALU_DEP_1) | instskip(NEXT) | instid1(VALU_DEP_1)
	v_div_fixup_f32 v1, v17, v8, v1
	v_maxmin_f32 v1, v1, v7, v9
	s_delay_alu instid0(VALU_DEP_1) | instskip(NEXT) | instid1(VALU_DEP_1)
	v_and_b32_e32 v17, 0x7fffffff, v1
	v_cmpx_gt_u32_e32 0x43f00000, v17
	s_cbranch_execz .LBB19_126
; %bb.121:                              ;   in Loop: Header=BB19_102 Depth=1
	s_mov_b32 s3, exec_lo
                                        ; implicit-def: $vgpr14
	v_cmpx_lt_u32_e32 0x3c7fffff, v17
	s_xor_b32 s3, exec_lo, s3
; %bb.122:                              ;   in Loop: Header=BB19_102 Depth=1
	v_bfe_u32 v14, v1, 20, 1
	s_delay_alu instid0(VALU_DEP_1) | instskip(NEXT) | instid1(VALU_DEP_1)
	v_add3_u32 v14, v1, v14, 0x407ffff
	v_lshrrev_b32_e32 v14, 20, v14
; %bb.123:                              ;   in Loop: Header=BB19_102 Depth=1
	s_and_not1_saveexec_b32 s3, s3
; %bb.124:                              ;   in Loop: Header=BB19_102 Depth=1
	v_add_f32_e64 v14, 0x46800000, |v1|
; %bb.125:                              ;   in Loop: Header=BB19_102 Depth=1
	s_or_b32 exec_lo, exec_lo, s3
.LBB19_126:                             ;   in Loop: Header=BB19_102 Depth=1
	s_delay_alu instid0(SALU_CYCLE_1) | instskip(SKIP_2) | instid1(VALU_DEP_1)
	s_or_b32 exec_lo, exec_lo, s0
	v_cvt_f32_f16_e32 v17, v2
	s_mov_b32 s0, exec_lo
	v_div_scale_f32 v18, null, v8, v8, v17
	v_div_scale_f32 v21, vcc_lo, v17, v8, v17
	s_delay_alu instid0(VALU_DEP_2) | instskip(SKIP_2) | instid1(VALU_DEP_1)
	v_rcp_f32_e32 v19, v18
	s_waitcnt_depctr 0xfff
	v_fma_f32 v20, -v18, v19, 1.0
	v_fmac_f32_e32 v19, v20, v19
	s_delay_alu instid0(VALU_DEP_1) | instskip(NEXT) | instid1(VALU_DEP_1)
	v_mul_f32_e32 v20, v21, v19
	v_fma_f32 v22, -v18, v20, v21
	s_delay_alu instid0(VALU_DEP_1) | instskip(NEXT) | instid1(VALU_DEP_1)
	v_fmac_f32_e32 v20, v22, v19
	v_fma_f32 v18, -v18, v20, v21
	s_delay_alu instid0(VALU_DEP_1) | instskip(NEXT) | instid1(VALU_DEP_1)
	v_div_fmas_f32 v18, v18, v19, v20
	v_div_fixup_f32 v17, v18, v8, v17
	v_mov_b32_e32 v18, 0x7f
	s_delay_alu instid0(VALU_DEP_2) | instskip(SKIP_1) | instid1(VALU_DEP_2)
	v_maxmin_f32 v19, v17, v7, v9
	v_mov_b32_e32 v17, 0x7f
	v_and_b32_e32 v20, 0x7fffffff, v19
	s_delay_alu instid0(VALU_DEP_1)
	v_cmpx_gt_u32_e32 0x43f00000, v20
	s_cbranch_execz .LBB19_132
; %bb.127:                              ;   in Loop: Header=BB19_102 Depth=1
	s_mov_b32 s3, exec_lo
                                        ; implicit-def: $vgpr17
	v_cmpx_lt_u32_e32 0x3c7fffff, v20
	s_xor_b32 s3, exec_lo, s3
; %bb.128:                              ;   in Loop: Header=BB19_102 Depth=1
	v_bfe_u32 v17, v19, 20, 1
	s_delay_alu instid0(VALU_DEP_1) | instskip(NEXT) | instid1(VALU_DEP_1)
	v_add3_u32 v17, v19, v17, 0x407ffff
	v_lshrrev_b32_e32 v17, 20, v17
; %bb.129:                              ;   in Loop: Header=BB19_102 Depth=1
	s_and_not1_saveexec_b32 s3, s3
; %bb.130:                              ;   in Loop: Header=BB19_102 Depth=1
	v_add_f32_e64 v17, 0x46800000, |v19|
; %bb.131:                              ;   in Loop: Header=BB19_102 Depth=1
	s_or_b32 exec_lo, exec_lo, s3
.LBB19_132:                             ;   in Loop: Header=BB19_102 Depth=1
	s_delay_alu instid0(SALU_CYCLE_1) | instskip(SKIP_2) | instid1(VALU_DEP_1)
	s_or_b32 exec_lo, exec_lo, s0
	v_lshrrev_b32_e32 v2, 16, v2
	s_mov_b32 s0, exec_lo
	v_cvt_f32_f16_e32 v2, v2
	s_delay_alu instid0(VALU_DEP_1) | instskip(NEXT) | instid1(VALU_DEP_1)
	v_div_scale_f32 v20, null, v8, v8, v2
	v_rcp_f32_e32 v21, v20
	s_waitcnt_depctr 0xfff
	v_fma_f32 v22, -v20, v21, 1.0
	s_delay_alu instid0(VALU_DEP_1) | instskip(SKIP_1) | instid1(VALU_DEP_1)
	v_fmac_f32_e32 v21, v22, v21
	v_div_scale_f32 v22, vcc_lo, v2, v8, v2
	v_mul_f32_e32 v23, v22, v21
	s_delay_alu instid0(VALU_DEP_1) | instskip(NEXT) | instid1(VALU_DEP_1)
	v_fma_f32 v24, -v20, v23, v22
	v_fmac_f32_e32 v23, v24, v21
	s_delay_alu instid0(VALU_DEP_1) | instskip(NEXT) | instid1(VALU_DEP_1)
	v_fma_f32 v20, -v20, v23, v22
	v_div_fmas_f32 v20, v20, v21, v23
	s_delay_alu instid0(VALU_DEP_1) | instskip(NEXT) | instid1(VALU_DEP_1)
	v_div_fixup_f32 v2, v20, v8, v2
	v_maxmin_f32 v2, v2, v7, v9
	s_delay_alu instid0(VALU_DEP_1) | instskip(NEXT) | instid1(VALU_DEP_1)
	v_and_b32_e32 v20, 0x7fffffff, v2
	v_cmpx_gt_u32_e32 0x43f00000, v20
	s_cbranch_execz .LBB19_138
; %bb.133:                              ;   in Loop: Header=BB19_102 Depth=1
	s_mov_b32 s3, exec_lo
                                        ; implicit-def: $vgpr18
	v_cmpx_lt_u32_e32 0x3c7fffff, v20
	s_xor_b32 s3, exec_lo, s3
; %bb.134:                              ;   in Loop: Header=BB19_102 Depth=1
	v_bfe_u32 v18, v2, 20, 1
	s_delay_alu instid0(VALU_DEP_1) | instskip(NEXT) | instid1(VALU_DEP_1)
	v_add3_u32 v18, v2, v18, 0x407ffff
	v_lshrrev_b32_e32 v18, 20, v18
; %bb.135:                              ;   in Loop: Header=BB19_102 Depth=1
	s_and_not1_saveexec_b32 s3, s3
; %bb.136:                              ;   in Loop: Header=BB19_102 Depth=1
	v_add_f32_e64 v18, 0x46800000, |v2|
; %bb.137:                              ;   in Loop: Header=BB19_102 Depth=1
	s_or_b32 exec_lo, exec_lo, s3
.LBB19_138:                             ;   in Loop: Header=BB19_102 Depth=1
	s_delay_alu instid0(SALU_CYCLE_1) | instskip(SKIP_2) | instid1(VALU_DEP_1)
	s_or_b32 exec_lo, exec_lo, s0
	v_cvt_f32_f16_e32 v20, v3
	s_mov_b32 s0, exec_lo
	v_div_scale_f32 v21, null, v8, v8, v20
	v_div_scale_f32 v24, vcc_lo, v20, v8, v20
	s_delay_alu instid0(VALU_DEP_2) | instskip(SKIP_2) | instid1(VALU_DEP_1)
	v_rcp_f32_e32 v22, v21
	s_waitcnt_depctr 0xfff
	v_fma_f32 v23, -v21, v22, 1.0
	v_fmac_f32_e32 v22, v23, v22
	s_delay_alu instid0(VALU_DEP_1) | instskip(NEXT) | instid1(VALU_DEP_1)
	v_mul_f32_e32 v23, v24, v22
	v_fma_f32 v25, -v21, v23, v24
	s_delay_alu instid0(VALU_DEP_1) | instskip(NEXT) | instid1(VALU_DEP_1)
	v_fmac_f32_e32 v23, v25, v22
	v_fma_f32 v21, -v21, v23, v24
	s_delay_alu instid0(VALU_DEP_1) | instskip(NEXT) | instid1(VALU_DEP_1)
	v_div_fmas_f32 v21, v21, v22, v23
	v_div_fixup_f32 v20, v21, v8, v20
	v_mov_b32_e32 v21, 0x7f
	s_delay_alu instid0(VALU_DEP_2) | instskip(SKIP_1) | instid1(VALU_DEP_2)
	v_maxmin_f32 v22, v20, v7, v9
	v_mov_b32_e32 v20, 0x7f
	v_and_b32_e32 v23, 0x7fffffff, v22
	s_delay_alu instid0(VALU_DEP_1)
	v_cmpx_gt_u32_e32 0x43f00000, v23
	s_cbranch_execz .LBB19_144
; %bb.139:                              ;   in Loop: Header=BB19_102 Depth=1
	s_mov_b32 s3, exec_lo
                                        ; implicit-def: $vgpr20
	v_cmpx_lt_u32_e32 0x3c7fffff, v23
	s_xor_b32 s3, exec_lo, s3
; %bb.140:                              ;   in Loop: Header=BB19_102 Depth=1
	v_bfe_u32 v20, v22, 20, 1
	s_delay_alu instid0(VALU_DEP_1) | instskip(NEXT) | instid1(VALU_DEP_1)
	v_add3_u32 v20, v22, v20, 0x407ffff
	v_lshrrev_b32_e32 v20, 20, v20
; %bb.141:                              ;   in Loop: Header=BB19_102 Depth=1
	s_and_not1_saveexec_b32 s3, s3
; %bb.142:                              ;   in Loop: Header=BB19_102 Depth=1
	v_add_f32_e64 v20, 0x46800000, |v22|
; %bb.143:                              ;   in Loop: Header=BB19_102 Depth=1
	s_or_b32 exec_lo, exec_lo, s3
.LBB19_144:                             ;   in Loop: Header=BB19_102 Depth=1
	s_delay_alu instid0(SALU_CYCLE_1) | instskip(SKIP_2) | instid1(VALU_DEP_1)
	s_or_b32 exec_lo, exec_lo, s0
	v_lshrrev_b32_e32 v3, 16, v3
	s_mov_b32 s0, exec_lo
	v_cvt_f32_f16_e32 v3, v3
	s_delay_alu instid0(VALU_DEP_1) | instskip(NEXT) | instid1(VALU_DEP_1)
	v_div_scale_f32 v23, null, v8, v8, v3
	v_rcp_f32_e32 v24, v23
	s_waitcnt_depctr 0xfff
	v_fma_f32 v25, -v23, v24, 1.0
	s_delay_alu instid0(VALU_DEP_1) | instskip(SKIP_1) | instid1(VALU_DEP_1)
	v_fmac_f32_e32 v24, v25, v24
	v_div_scale_f32 v25, vcc_lo, v3, v8, v3
	v_mul_f32_e32 v26, v25, v24
	s_delay_alu instid0(VALU_DEP_1) | instskip(NEXT) | instid1(VALU_DEP_1)
	v_fma_f32 v27, -v23, v26, v25
	v_fmac_f32_e32 v26, v27, v24
	s_delay_alu instid0(VALU_DEP_1) | instskip(NEXT) | instid1(VALU_DEP_1)
	v_fma_f32 v23, -v23, v26, v25
	v_div_fmas_f32 v23, v23, v24, v26
	s_delay_alu instid0(VALU_DEP_1) | instskip(NEXT) | instid1(VALU_DEP_1)
	v_div_fixup_f32 v3, v23, v8, v3
	v_maxmin_f32 v3, v3, v7, v9
	s_delay_alu instid0(VALU_DEP_1) | instskip(NEXT) | instid1(VALU_DEP_1)
	v_and_b32_e32 v23, 0x7fffffff, v3
	v_cmpx_gt_u32_e32 0x43f00000, v23
	s_cbranch_execz .LBB19_101
; %bb.145:                              ;   in Loop: Header=BB19_102 Depth=1
	s_mov_b32 s3, exec_lo
                                        ; implicit-def: $vgpr21
	v_cmpx_lt_u32_e32 0x3c7fffff, v23
	s_xor_b32 s3, exec_lo, s3
; %bb.146:                              ;   in Loop: Header=BB19_102 Depth=1
	v_bfe_u32 v21, v3, 20, 1
	s_delay_alu instid0(VALU_DEP_1) | instskip(NEXT) | instid1(VALU_DEP_1)
	v_add3_u32 v21, v3, v21, 0x407ffff
	v_lshrrev_b32_e32 v21, 20, v21
; %bb.147:                              ;   in Loop: Header=BB19_102 Depth=1
	s_and_not1_saveexec_b32 s3, s3
	s_cbranch_execz .LBB19_100
; %bb.148:                              ;   in Loop: Header=BB19_102 Depth=1
	v_add_f32_e64 v21, 0x46800000, |v3|
	s_branch .LBB19_100
.LBB19_149:
	s_nop 0
	s_sendmsg sendmsg(MSG_DEALLOC_VGPRS)
	s_endpgm
	.section	.rodata,"a",@progbits
	.p2align	6, 0x0
	.amdhsa_kernel _Z33per_token_group_quant_8bit_kernelIN3c104HalfENS0_13Float8_e4m3fnELb0ELb0EfEvPKT_PvPT3_iiifffii
		.amdhsa_group_segment_fixed_size 0
		.amdhsa_private_segment_fixed_size 0
		.amdhsa_kernarg_size 56
		.amdhsa_user_sgpr_count 15
		.amdhsa_user_sgpr_dispatch_ptr 0
		.amdhsa_user_sgpr_queue_ptr 0
		.amdhsa_user_sgpr_kernarg_segment_ptr 1
		.amdhsa_user_sgpr_dispatch_id 0
		.amdhsa_user_sgpr_private_segment_size 0
		.amdhsa_wavefront_size32 1
		.amdhsa_uses_dynamic_stack 0
		.amdhsa_enable_private_segment 0
		.amdhsa_system_sgpr_workgroup_id_x 1
		.amdhsa_system_sgpr_workgroup_id_y 0
		.amdhsa_system_sgpr_workgroup_id_z 0
		.amdhsa_system_sgpr_workgroup_info 0
		.amdhsa_system_vgpr_workitem_id 0
		.amdhsa_next_free_vgpr 39
		.amdhsa_next_free_sgpr 16
		.amdhsa_reserve_vcc 1
		.amdhsa_float_round_mode_32 0
		.amdhsa_float_round_mode_16_64 0
		.amdhsa_float_denorm_mode_32 3
		.amdhsa_float_denorm_mode_16_64 3
		.amdhsa_dx10_clamp 1
		.amdhsa_ieee_mode 1
		.amdhsa_fp16_overflow 0
		.amdhsa_workgroup_processor_mode 1
		.amdhsa_memory_ordered 1
		.amdhsa_forward_progress 0
		.amdhsa_shared_vgpr_count 0
		.amdhsa_exception_fp_ieee_invalid_op 0
		.amdhsa_exception_fp_denorm_src 0
		.amdhsa_exception_fp_ieee_div_zero 0
		.amdhsa_exception_fp_ieee_overflow 0
		.amdhsa_exception_fp_ieee_underflow 0
		.amdhsa_exception_fp_ieee_inexact 0
		.amdhsa_exception_int_div_zero 0
	.end_amdhsa_kernel
	.section	.text._Z33per_token_group_quant_8bit_kernelIN3c104HalfENS0_13Float8_e4m3fnELb0ELb0EfEvPKT_PvPT3_iiifffii,"axG",@progbits,_Z33per_token_group_quant_8bit_kernelIN3c104HalfENS0_13Float8_e4m3fnELb0ELb0EfEvPKT_PvPT3_iiifffii,comdat
.Lfunc_end19:
	.size	_Z33per_token_group_quant_8bit_kernelIN3c104HalfENS0_13Float8_e4m3fnELb0ELb0EfEvPKT_PvPT3_iiifffii, .Lfunc_end19-_Z33per_token_group_quant_8bit_kernelIN3c104HalfENS0_13Float8_e4m3fnELb0ELb0EfEvPKT_PvPT3_iiifffii
                                        ; -- End function
	.section	.AMDGPU.csdata,"",@progbits
; Kernel info:
; codeLenInByte = 7604
; NumSgprs: 18
; NumVgprs: 39
; ScratchSize: 0
; MemoryBound: 0
; FloatMode: 240
; IeeeMode: 1
; LDSByteSize: 0 bytes/workgroup (compile time only)
; SGPRBlocks: 2
; VGPRBlocks: 4
; NumSGPRsForWavesPerEU: 18
; NumVGPRsForWavesPerEU: 39
; Occupancy: 16
; WaveLimiterHint : 0
; COMPUTE_PGM_RSRC2:SCRATCH_EN: 0
; COMPUTE_PGM_RSRC2:USER_SGPR: 15
; COMPUTE_PGM_RSRC2:TRAP_HANDLER: 0
; COMPUTE_PGM_RSRC2:TGID_X_EN: 1
; COMPUTE_PGM_RSRC2:TGID_Y_EN: 0
; COMPUTE_PGM_RSRC2:TGID_Z_EN: 0
; COMPUTE_PGM_RSRC2:TIDIG_COMP_CNT: 0
	.section	.text._Z33per_token_group_quant_8bit_kernelIN3c104HalfENS0_15Float8_e4m3fnuzELb1ELb1EfEvPKT_PvPT3_iiifffii,"axG",@progbits,_Z33per_token_group_quant_8bit_kernelIN3c104HalfENS0_15Float8_e4m3fnuzELb1ELb1EfEvPKT_PvPT3_iiifffii,comdat
	.protected	_Z33per_token_group_quant_8bit_kernelIN3c104HalfENS0_15Float8_e4m3fnuzELb1ELb1EfEvPKT_PvPT3_iiifffii ; -- Begin function _Z33per_token_group_quant_8bit_kernelIN3c104HalfENS0_15Float8_e4m3fnuzELb1ELb1EfEvPKT_PvPT3_iiifffii
	.globl	_Z33per_token_group_quant_8bit_kernelIN3c104HalfENS0_15Float8_e4m3fnuzELb1ELb1EfEvPKT_PvPT3_iiifffii
	.p2align	8
	.type	_Z33per_token_group_quant_8bit_kernelIN3c104HalfENS0_15Float8_e4m3fnuzELb1ELb1EfEvPKT_PvPT3_iiifffii,@function
_Z33per_token_group_quant_8bit_kernelIN3c104HalfENS0_15Float8_e4m3fnuzELb1ELb1EfEvPKT_PvPT3_iiifffii: ; @_Z33per_token_group_quant_8bit_kernelIN3c104HalfENS0_15Float8_e4m3fnuzELb1ELb1EfEvPKT_PvPT3_iiifffii
; %bb.0:
	s_clause 0x1
	s_load_b128 s[4:7], s[0:1], 0x20
	s_load_b32 s14, s[0:1], 0x18
	v_lshrrev_b32_e32 v3, 4, v0
	s_clause 0x1
	s_load_b64 s[2:3], s[0:1], 0x30
	s_load_b64 s[8:9], s[0:1], 0x0
	v_and_b32_e32 v17, 15, v0
                                        ; implicit-def: $vgpr12
	s_waitcnt lgkmcnt(0)
	s_mul_i32 s15, s15, s4
	v_mul_lo_u32 v19, v3, s14
	v_add_co_u32 v10, s4, s15, v3
	s_delay_alu instid0(VALU_DEP_1) | instskip(SKIP_1) | instid1(VALU_DEP_2)
	v_add_co_ci_u32_e64 v11, null, 0, 0, s4
	s_ashr_i32 s4, s14, 31
	v_mad_u64_u32 v[4:5], null, v10, s14, 0
	s_delay_alu instid0(VALU_DEP_2)
	v_mul_lo_u32 v1, v11, s14
	v_mul_lo_u32 v2, v10, s4
	s_and_b32 s4, s14, 7
	v_lshl_add_u32 v3, v19, 1, 0
	s_cmp_eq_u32 s4, 0
	s_cselect_b32 s15, -1, 0
	s_cmp_lg_u32 s4, 0
	s_delay_alu instid0(VALU_DEP_2) | instskip(SKIP_1) | instid1(VALU_DEP_1)
	v_add3_u32 v5, v5, v2, v1
	s_cselect_b32 s4, -1, 0
	v_lshlrev_b64 v[1:2], 1, v[4:5]
	s_delay_alu instid0(VALU_DEP_1) | instskip(SKIP_1) | instid1(VALU_DEP_3)
	v_add_co_u32 v6, vcc_lo, s8, v1
	v_mov_b32_e32 v9, 0
	v_add_co_ci_u32_e32 v7, vcc_lo, s9, v2, vcc_lo
	s_delay_alu instid0(VALU_DEP_3) | instskip(NEXT) | instid1(VALU_DEP_1)
	v_and_b32_e32 v8, 15, v6
	v_cmp_ne_u64_e32 vcc_lo, 0, v[8:9]
	s_or_b32 s4, s4, vcc_lo
	s_delay_alu instid0(SALU_CYCLE_1) | instskip(NEXT) | instid1(SALU_CYCLE_1)
	s_and_saveexec_b32 s10, s4
	s_xor_b32 s4, exec_lo, s10
	s_cbranch_execz .LBB20_12
; %bb.1:
	v_sub_nc_u32_e32 v0, 0, v6
	v_mov_b32_e32 v12, s5
	s_mov_b32 s10, exec_lo
	s_delay_alu instid0(VALU_DEP_2) | instskip(NEXT) | instid1(VALU_DEP_1)
	v_bfe_u32 v0, v0, 1, 3
	v_min_i32_e32 v8, s14, v0
	s_delay_alu instid0(VALU_DEP_1)
	v_cmpx_gt_i32_e64 v8, v17
	s_cbranch_execz .LBB20_3
; %bb.2:
	v_lshlrev_b32_e32 v0, 1, v17
	v_max_f32_e64 v9, s5, s5
	s_delay_alu instid0(VALU_DEP_2)
	v_add_co_u32 v6, vcc_lo, v6, v0
	v_add_co_ci_u32_e32 v7, vcc_lo, 0, v7, vcc_lo
	v_add_nc_u32_e32 v0, v3, v0
	global_load_u16 v6, v[6:7], off
	s_waitcnt vmcnt(0)
	v_cvt_f32_f16_e64 v7, |v6|
	ds_store_b16 v0, v6
	v_max_f32_e32 v12, v9, v7
.LBB20_3:
	s_or_b32 exec_lo, exec_lo, s10
	v_sub_nc_u32_e32 v13, s14, v8
	v_ashrrev_i32_e32 v9, 31, v8
	s_mov_b32 s10, exec_lo
	s_delay_alu instid0(VALU_DEP_2) | instskip(NEXT) | instid1(VALU_DEP_2)
	v_ashrrev_i32_e32 v0, 31, v13
	v_lshlrev_b64 v[6:7], 1, v[8:9]
	s_delay_alu instid0(VALU_DEP_2) | instskip(NEXT) | instid1(VALU_DEP_1)
	v_lshrrev_b32_e32 v0, 29, v0
	v_add_nc_u32_e32 v0, v13, v0
	s_delay_alu instid0(VALU_DEP_1) | instskip(SKIP_1) | instid1(VALU_DEP_2)
	v_ashrrev_i32_e32 v14, 3, v0
	v_lshlrev_b32_e32 v0, 1, v8
	v_cmpx_gt_i32_e64 v14, v17
	s_cbranch_execz .LBB20_7
; %bb.4:
	v_lshlrev_b32_e32 v8, 4, v17
	s_mov_b32 s11, 0
	s_delay_alu instid0(VALU_DEP_1) | instskip(SKIP_2) | instid1(VALU_DEP_3)
	v_add_co_u32 v9, vcc_lo, v1, v8
	v_add_co_ci_u32_e32 v15, vcc_lo, 0, v2, vcc_lo
	v_lshl_add_u32 v8, v19, 1, v8
	v_add_co_u32 v9, vcc_lo, v9, v6
	s_delay_alu instid0(VALU_DEP_3) | instskip(NEXT) | instid1(VALU_DEP_2)
	v_add_co_ci_u32_e32 v15, vcc_lo, v15, v7, vcc_lo
	v_add_co_u32 v9, vcc_lo, v9, s8
	s_delay_alu instid0(VALU_DEP_2) | instskip(SKIP_1) | instid1(VALU_DEP_3)
	v_add_co_ci_u32_e32 v16, vcc_lo, s9, v15, vcc_lo
	v_add3_u32 v15, v8, v0, 0
	v_add_co_u32 v8, vcc_lo, v9, 8
	s_delay_alu instid0(VALU_DEP_3)
	v_add_co_ci_u32_e32 v9, vcc_lo, 0, v16, vcc_lo
	v_mov_b32_e32 v16, v17
	s_set_inst_prefetch_distance 0x1
	.p2align	6
.LBB20_5:                               ; =>This Inner Loop Header: Depth=1
	global_load_b128 v[20:23], v[8:9], off offset:-8
	v_add_nc_u32_e32 v16, 16, v16
	v_add_co_u32 v8, vcc_lo, 0x100, v8
	v_add_co_ci_u32_e32 v9, vcc_lo, 0, v9, vcc_lo
	s_delay_alu instid0(VALU_DEP_3)
	v_cmp_ge_i32_e32 vcc_lo, v16, v14
	s_or_b32 s11, vcc_lo, s11
	s_waitcnt vmcnt(0)
	v_lshrrev_b32_e32 v18, 16, v20
	v_cvt_f32_f16_e64 v24, |v20|
	v_lshrrev_b32_e32 v25, 16, v21
	v_cvt_f32_f16_e64 v26, |v21|
	;; [unrolled: 2-line block ×3, first 2 shown]
	ds_store_b128 v15, v[20:23]
	v_cvt_f32_f16_e64 v25, |v25|
	v_add_nc_u32_e32 v15, 0x100, v15
	v_cvt_f32_f16_e64 v27, |v27|
	v_max3_f32 v12, v12, v24, v18
	v_cvt_f32_f16_e64 v18, |v22|
	v_lshrrev_b32_e32 v24, 16, v23
	s_delay_alu instid0(VALU_DEP_3) | instskip(SKIP_1) | instid1(VALU_DEP_3)
	v_max3_f32 v12, v12, v26, v25
	v_cvt_f32_f16_e64 v25, |v23|
	v_cvt_f32_f16_e64 v24, |v24|
	s_delay_alu instid0(VALU_DEP_3) | instskip(NEXT) | instid1(VALU_DEP_1)
	v_max3_f32 v12, v12, v18, v27
	v_max3_f32 v12, v12, v25, v24
	s_and_not1_b32 exec_lo, exec_lo, s11
	s_cbranch_execnz .LBB20_5
; %bb.6:
	s_set_inst_prefetch_distance 0x2
	s_or_b32 exec_lo, exec_lo, s11
.LBB20_7:
	s_delay_alu instid0(SALU_CYCLE_1) | instskip(SKIP_2) | instid1(VALU_DEP_1)
	s_or_b32 exec_lo, exec_lo, s10
	v_lshl_add_u32 v8, v14, 3, v17
	s_mov_b32 s10, exec_lo
	v_cmpx_lt_i32_e64 v8, v13
	s_cbranch_execz .LBB20_11
; %bb.8:
	v_ashrrev_i32_e32 v9, 31, v8
	v_lshlrev_b32_e32 v18, 4, v14
	v_lshlrev_b32_e32 v16, 1, v19
	v_add_co_u32 v1, vcc_lo, v1, v6
	s_delay_alu instid0(VALU_DEP_4) | instskip(SKIP_4) | instid1(VALU_DEP_4)
	v_lshlrev_b64 v[14:15], 1, v[8:9]
	v_add_co_ci_u32_e32 v2, vcc_lo, v2, v7, vcc_lo
	v_lshlrev_b32_e32 v20, 1, v17
	v_add3_u32 v0, v16, v18, v0
	s_mov_b32 s11, 0
	v_add_co_u32 v1, vcc_lo, v1, v14
	v_add_co_ci_u32_e32 v6, vcc_lo, v2, v15, vcc_lo
	s_delay_alu instid0(VALU_DEP_3) | instskip(NEXT) | instid1(VALU_DEP_3)
	v_add3_u32 v2, v0, v20, 0
	v_add_co_u32 v0, vcc_lo, s8, v1
	s_delay_alu instid0(VALU_DEP_3)
	v_add_co_ci_u32_e32 v1, vcc_lo, s9, v6, vcc_lo
	.p2align	6
.LBB20_9:                               ; =>This Inner Loop Header: Depth=1
	global_load_u16 v6, v[0:1], off
	v_add_nc_u32_e32 v8, 16, v8
	v_max_f32_e32 v7, v12, v12
	v_add_co_u32 v0, vcc_lo, v0, 32
	v_add_co_ci_u32_e32 v1, vcc_lo, 0, v1, vcc_lo
	s_delay_alu instid0(VALU_DEP_4)
	v_cmp_ge_i32_e32 vcc_lo, v8, v13
	s_or_b32 s11, vcc_lo, s11
	s_waitcnt vmcnt(0)
	v_cvt_f32_f16_e64 v9, |v6|
	ds_store_b16 v2, v6
	v_add_nc_u32_e32 v2, 32, v2
	v_max_f32_e32 v12, v7, v9
	s_and_not1_b32 exec_lo, exec_lo, s11
	s_cbranch_execnz .LBB20_9
; %bb.10:
	s_or_b32 exec_lo, exec_lo, s11
.LBB20_11:
	s_delay_alu instid0(SALU_CYCLE_1)
	s_or_b32 exec_lo, exec_lo, s10
                                        ; implicit-def: $vgpr1_vgpr2
.LBB20_12:
	s_and_not1_saveexec_b32 s4, s4
	s_cbranch_execz .LBB20_18
; %bb.13:
	v_mov_b32_e32 v12, s5
	s_ashr_i32 s11, s14, 3
	s_mov_b32 s10, exec_lo
	v_cmpx_gt_i32_e64 s11, v17
	s_cbranch_execz .LBB20_17
; %bb.14:
	v_lshlrev_b32_e32 v0, 4, v17
	v_lshlrev_b32_e32 v6, 1, v19
	v_mov_b32_e32 v12, s5
	s_mov_b32 s5, 0
	s_delay_alu instid0(VALU_DEP_3) | instskip(SKIP_1) | instid1(VALU_DEP_2)
	v_add_co_u32 v1, vcc_lo, v1, v0
	v_add_co_ci_u32_e32 v2, vcc_lo, 0, v2, vcc_lo
	v_add_co_u32 v1, vcc_lo, v1, s8
	s_delay_alu instid0(VALU_DEP_2) | instskip(SKIP_1) | instid1(VALU_DEP_3)
	v_add_co_ci_u32_e32 v7, vcc_lo, s9, v2, vcc_lo
	v_add3_u32 v2, v6, v0, 0
	v_add_co_u32 v0, vcc_lo, v1, 8
	s_delay_alu instid0(VALU_DEP_3)
	v_add_co_ci_u32_e32 v1, vcc_lo, 0, v7, vcc_lo
	v_mov_b32_e32 v6, v17
	s_set_inst_prefetch_distance 0x1
	.p2align	6
.LBB20_15:                              ; =>This Inner Loop Header: Depth=1
	global_load_b128 v[13:16], v[0:1], off offset:-8
	v_add_nc_u32_e32 v6, 16, v6
	v_add_co_u32 v0, vcc_lo, 0x100, v0
	v_add_co_ci_u32_e32 v1, vcc_lo, 0, v1, vcc_lo
	s_delay_alu instid0(VALU_DEP_3)
	v_cmp_le_i32_e32 vcc_lo, s11, v6
	s_or_b32 s5, vcc_lo, s5
	s_waitcnt vmcnt(0)
	v_lshrrev_b32_e32 v7, 16, v13
	v_cvt_f32_f16_e64 v8, |v13|
	v_lshrrev_b32_e32 v9, 16, v14
	v_cvt_f32_f16_e64 v18, |v14|
	;; [unrolled: 2-line block ×3, first 2 shown]
	ds_store_b128 v2, v[13:16]
	v_cvt_f32_f16_e64 v9, |v9|
	v_add_nc_u32_e32 v2, 0x100, v2
	v_cvt_f32_f16_e64 v20, |v20|
	v_max3_f32 v7, v12, v8, v7
	v_cvt_f32_f16_e64 v8, |v15|
	v_lshrrev_b32_e32 v12, 16, v16
	s_delay_alu instid0(VALU_DEP_3) | instskip(SKIP_1) | instid1(VALU_DEP_3)
	v_max3_f32 v7, v7, v18, v9
	v_cvt_f32_f16_e64 v9, |v16|
	v_cvt_f32_f16_e64 v12, |v12|
	s_delay_alu instid0(VALU_DEP_3) | instskip(NEXT) | instid1(VALU_DEP_1)
	v_max3_f32 v7, v7, v8, v20
	v_max3_f32 v12, v7, v9, v12
	s_and_not1_b32 exec_lo, exec_lo, s5
	s_cbranch_execnz .LBB20_15
; %bb.16:
	s_set_inst_prefetch_distance 0x2
	s_or_b32 exec_lo, exec_lo, s5
.LBB20_17:
	s_delay_alu instid0(SALU_CYCLE_1)
	s_or_b32 exec_lo, exec_lo, s10
.LBB20_18:
	s_delay_alu instid0(SALU_CYCLE_1) | instskip(SKIP_4) | instid1(VALU_DEP_2)
	s_or_b32 exec_lo, exec_lo, s4
	v_mbcnt_lo_u32_b32 v0, -1, 0
	s_load_b64 s[8:9], s[0:1], 0x8
	s_mov_b32 s16, exec_lo
	v_max_f32_e32 v7, v12, v12
	v_xor_b32_e32 v2, 8, v0
	v_and_b32_e32 v1, 16, v0
	v_xor_b32_e32 v6, 4, v0
	s_delay_alu instid0(VALU_DEP_2) | instskip(NEXT) | instid1(VALU_DEP_1)
	v_add_nc_u32_e32 v1, 16, v1
	v_cmp_lt_i32_e32 vcc_lo, v2, v1
	v_cndmask_b32_e32 v2, v0, v2, vcc_lo
	s_delay_alu instid0(VALU_DEP_4) | instskip(NEXT) | instid1(VALU_DEP_2)
	v_cmp_lt_i32_e32 vcc_lo, v6, v1
	v_lshlrev_b32_e32 v2, 2, v2
	v_cndmask_b32_e32 v6, v0, v6, vcc_lo
	ds_bpermute_b32 v2, v2, v12
	v_lshlrev_b32_e32 v6, 2, v6
	s_waitcnt lgkmcnt(0)
	v_max_f32_e32 v2, v2, v2
	s_delay_alu instid0(VALU_DEP_1) | instskip(SKIP_1) | instid1(VALU_DEP_1)
	v_max_f32_e32 v2, v7, v2
	v_xor_b32_e32 v7, 2, v0
	v_cmp_lt_i32_e32 vcc_lo, v7, v1
	v_cndmask_b32_e32 v7, v0, v7, vcc_lo
	s_delay_alu instid0(VALU_DEP_1) | instskip(SKIP_3) | instid1(VALU_DEP_1)
	v_lshlrev_b32_e32 v7, 2, v7
	ds_bpermute_b32 v6, v6, v2
	s_waitcnt lgkmcnt(0)
	v_max_f32_e32 v6, v6, v6
	v_max_f32_e32 v2, v2, v6
	ds_bpermute_b32 v6, v7, v2
	v_xor_b32_e32 v7, 1, v0
	s_delay_alu instid0(VALU_DEP_1) | instskip(SKIP_2) | instid1(VALU_DEP_1)
	v_cmp_lt_i32_e32 vcc_lo, v7, v1
	s_waitcnt lgkmcnt(0)
	v_dual_cndmask_b32 v0, v0, v7 :: v_dual_max_f32 v1, v6, v6
	v_dual_max_f32 v1, v2, v1 :: v_dual_lshlrev_b32 v0, 2, v0
	ds_bpermute_b32 v0, v0, v1
	s_waitcnt lgkmcnt(0)
	v_max_f32_e32 v0, v0, v0
	s_delay_alu instid0(VALU_DEP_1) | instskip(NEXT) | instid1(VALU_DEP_1)
	v_max_f32_e32 v0, v1, v0
	v_div_scale_f32 v1, null, s7, s7, v0
	v_div_scale_f32 v7, vcc_lo, v0, s7, v0
	s_delay_alu instid0(VALU_DEP_2) | instskip(SKIP_2) | instid1(VALU_DEP_1)
	v_rcp_f32_e32 v2, v1
	s_waitcnt_depctr 0xfff
	v_fma_f32 v6, -v1, v2, 1.0
	v_fmac_f32_e32 v2, v6, v2
	s_delay_alu instid0(VALU_DEP_1) | instskip(NEXT) | instid1(VALU_DEP_1)
	v_mul_f32_e32 v6, v7, v2
	v_fma_f32 v8, -v1, v6, v7
	s_delay_alu instid0(VALU_DEP_1) | instskip(NEXT) | instid1(VALU_DEP_1)
	v_fmac_f32_e32 v6, v8, v2
	v_fma_f32 v1, -v1, v6, v7
	s_delay_alu instid0(VALU_DEP_1) | instskip(NEXT) | instid1(VALU_DEP_1)
	v_div_fmas_f32 v1, v1, v2, v6
	v_div_fixup_f32 v0, v1, s7, v0
	s_delay_alu instid0(VALU_DEP_1) | instskip(NEXT) | instid1(VALU_DEP_1)
	v_max_f32_e64 v0, 0x2edbe6ff, |v0|
	v_cmp_gt_f32_e32 vcc_lo, 0x800000, v0
	v_cndmask_b32_e64 v1, 1.0, 0x4f800000, vcc_lo
	s_delay_alu instid0(VALU_DEP_1) | instskip(SKIP_1) | instid1(VALU_DEP_2)
	v_mul_f32_e32 v0, v0, v1
	v_cndmask_b32_e64 v1, 0, 0x42000000, vcc_lo
	v_log_f32_e32 v0, v0
	s_waitcnt_depctr 0xfff
	v_sub_f32_e32 v0, v0, v1
	s_delay_alu instid0(VALU_DEP_1) | instskip(NEXT) | instid1(VALU_DEP_1)
	v_ceil_f32_e32 v0, v0
	v_cmp_gt_f32_e32 vcc_lo, 0xc2fc0000, v0
	v_cndmask_b32_e64 v1, 0, 0x42800000, vcc_lo
	s_delay_alu instid0(VALU_DEP_1) | instskip(SKIP_1) | instid1(VALU_DEP_2)
	v_add_f32_e32 v0, v0, v1
	v_cndmask_b32_e64 v1, 1.0, 0x1f800000, vcc_lo
	v_exp_f32_e32 v0, v0
	s_waitcnt_depctr 0xfff
	v_mul_f32_e32 v18, v0, v1
	v_cmpx_eq_u32_e32 0, v17
	s_cbranch_execz .LBB20_24
; %bb.19:
	s_load_b64 s[4:5], s[0:1], 0x10
	s_ashr_i32 s0, s2, 31
	v_mov_b32_e32 v0, 0
	v_or_b32_e32 v1, s0, v11
	s_mov_b32 s1, s2
	s_delay_alu instid0(VALU_DEP_1) | instskip(SKIP_1) | instid1(SALU_CYCLE_1)
	v_cmp_ne_u64_e32 vcc_lo, 0, v[0:1]
                                        ; implicit-def: $vgpr0_vgpr1
	s_and_saveexec_b32 s2, vcc_lo
	s_xor_b32 s2, exec_lo, s2
	s_cbranch_execz .LBB20_21
; %bb.20:
	s_add_u32 s12, s1, s0
	s_mov_b32 s10, s0
	s_mov_b32 s11, s0
	s_addc_u32 s13, s0, s0
	s_delay_alu instid0(SALU_CYCLE_1) | instskip(NEXT) | instid1(SALU_CYCLE_1)
	s_xor_b64 s[12:13], s[12:13], s[10:11]
	v_cvt_f32_u32_e32 v0, s12
	v_cvt_f32_u32_e32 v1, s13
	s_sub_u32 s0, 0, s12
	s_subb_u32 s11, 0, s13
	s_delay_alu instid0(VALU_DEP_1) | instskip(NEXT) | instid1(VALU_DEP_1)
	v_fmamk_f32 v0, v1, 0x4f800000, v0
	v_rcp_f32_e32 v0, v0
	s_waitcnt_depctr 0xfff
	v_mul_f32_e32 v0, 0x5f7ffffc, v0
	s_delay_alu instid0(VALU_DEP_1) | instskip(NEXT) | instid1(VALU_DEP_1)
	v_mul_f32_e32 v1, 0x2f800000, v0
	v_trunc_f32_e32 v1, v1
	s_delay_alu instid0(VALU_DEP_1) | instskip(SKIP_1) | instid1(VALU_DEP_2)
	v_fmamk_f32 v0, v1, 0xcf800000, v0
	v_cvt_u32_f32_e32 v1, v1
	v_cvt_u32_f32_e32 v0, v0
	s_delay_alu instid0(VALU_DEP_2) | instskip(NEXT) | instid1(VALU_DEP_2)
	v_mul_lo_u32 v2, s0, v1
	v_mul_hi_u32 v6, s0, v0
	v_mul_lo_u32 v7, s11, v0
	s_delay_alu instid0(VALU_DEP_2) | instskip(SKIP_1) | instid1(VALU_DEP_2)
	v_add_nc_u32_e32 v2, v6, v2
	v_mul_lo_u32 v6, s0, v0
	v_add_nc_u32_e32 v2, v2, v7
	s_delay_alu instid0(VALU_DEP_2) | instskip(NEXT) | instid1(VALU_DEP_2)
	v_mul_hi_u32 v7, v0, v6
	v_mul_lo_u32 v8, v0, v2
	v_mul_hi_u32 v9, v0, v2
	v_mul_hi_u32 v12, v1, v6
	v_mul_lo_u32 v6, v1, v6
	v_mul_hi_u32 v13, v1, v2
	v_mul_lo_u32 v2, v1, v2
	v_add_co_u32 v7, vcc_lo, v7, v8
	v_add_co_ci_u32_e32 v8, vcc_lo, 0, v9, vcc_lo
	s_delay_alu instid0(VALU_DEP_2) | instskip(NEXT) | instid1(VALU_DEP_2)
	v_add_co_u32 v6, vcc_lo, v7, v6
	v_add_co_ci_u32_e32 v6, vcc_lo, v8, v12, vcc_lo
	v_add_co_ci_u32_e32 v7, vcc_lo, 0, v13, vcc_lo
	s_delay_alu instid0(VALU_DEP_2) | instskip(NEXT) | instid1(VALU_DEP_2)
	v_add_co_u32 v2, vcc_lo, v6, v2
	v_add_co_ci_u32_e32 v6, vcc_lo, 0, v7, vcc_lo
	s_delay_alu instid0(VALU_DEP_2) | instskip(NEXT) | instid1(VALU_DEP_2)
	v_add_co_u32 v0, vcc_lo, v0, v2
	v_add_co_ci_u32_e32 v1, vcc_lo, v1, v6, vcc_lo
	s_delay_alu instid0(VALU_DEP_2) | instskip(SKIP_1) | instid1(VALU_DEP_3)
	v_mul_hi_u32 v2, s0, v0
	v_mul_lo_u32 v7, s11, v0
	v_mul_lo_u32 v6, s0, v1
	s_delay_alu instid0(VALU_DEP_1) | instskip(SKIP_1) | instid1(VALU_DEP_2)
	v_add_nc_u32_e32 v2, v2, v6
	v_mul_lo_u32 v6, s0, v0
	v_add_nc_u32_e32 v2, v2, v7
	s_delay_alu instid0(VALU_DEP_2) | instskip(NEXT) | instid1(VALU_DEP_2)
	v_mul_hi_u32 v7, v0, v6
	v_mul_lo_u32 v8, v0, v2
	v_mul_hi_u32 v9, v0, v2
	v_mul_hi_u32 v12, v1, v6
	v_mul_lo_u32 v6, v1, v6
	v_mul_hi_u32 v13, v1, v2
	v_mul_lo_u32 v2, v1, v2
	v_add_co_u32 v7, vcc_lo, v7, v8
	v_add_co_ci_u32_e32 v8, vcc_lo, 0, v9, vcc_lo
	s_delay_alu instid0(VALU_DEP_2) | instskip(NEXT) | instid1(VALU_DEP_2)
	v_add_co_u32 v6, vcc_lo, v7, v6
	v_add_co_ci_u32_e32 v6, vcc_lo, v8, v12, vcc_lo
	v_add_co_ci_u32_e32 v7, vcc_lo, 0, v13, vcc_lo
	s_delay_alu instid0(VALU_DEP_2) | instskip(NEXT) | instid1(VALU_DEP_2)
	v_add_co_u32 v2, vcc_lo, v6, v2
	v_add_co_ci_u32_e32 v6, vcc_lo, 0, v7, vcc_lo
	s_delay_alu instid0(VALU_DEP_2) | instskip(NEXT) | instid1(VALU_DEP_2)
	v_add_co_u32 v2, vcc_lo, v0, v2
	v_add_co_ci_u32_e32 v12, vcc_lo, v1, v6, vcc_lo
	s_delay_alu instid0(VALU_DEP_2) | instskip(SKIP_1) | instid1(VALU_DEP_3)
	v_mul_hi_u32 v13, v10, v2
	v_mad_u64_u32 v[6:7], null, v11, v2, 0
	v_mad_u64_u32 v[0:1], null, v10, v12, 0
	;; [unrolled: 1-line block ×3, first 2 shown]
	s_delay_alu instid0(VALU_DEP_2) | instskip(NEXT) | instid1(VALU_DEP_3)
	v_add_co_u32 v0, vcc_lo, v13, v0
	v_add_co_ci_u32_e32 v1, vcc_lo, 0, v1, vcc_lo
	s_delay_alu instid0(VALU_DEP_2) | instskip(NEXT) | instid1(VALU_DEP_2)
	v_add_co_u32 v0, vcc_lo, v0, v6
	v_add_co_ci_u32_e32 v0, vcc_lo, v1, v7, vcc_lo
	v_add_co_ci_u32_e32 v1, vcc_lo, 0, v9, vcc_lo
	s_delay_alu instid0(VALU_DEP_2) | instskip(NEXT) | instid1(VALU_DEP_2)
	v_add_co_u32 v2, vcc_lo, v0, v8
	v_add_co_ci_u32_e32 v6, vcc_lo, 0, v1, vcc_lo
	s_delay_alu instid0(VALU_DEP_2) | instskip(SKIP_1) | instid1(VALU_DEP_3)
	v_mul_lo_u32 v7, s13, v2
	v_mad_u64_u32 v[0:1], null, s12, v2, 0
	v_mul_lo_u32 v6, s12, v6
	s_delay_alu instid0(VALU_DEP_2) | instskip(NEXT) | instid1(VALU_DEP_2)
	v_sub_co_u32 v0, vcc_lo, v10, v0
	v_add3_u32 v1, v1, v6, v7
	v_add_co_u32 v7, s0, v2, 2
	s_delay_alu instid0(VALU_DEP_2) | instskip(NEXT) | instid1(VALU_DEP_1)
	v_sub_nc_u32_e32 v6, v11, v1
	v_subrev_co_ci_u32_e64 v6, s0, s13, v6, vcc_lo
	v_sub_co_u32 v8, s0, v0, s12
	v_sub_co_ci_u32_e32 v1, vcc_lo, v11, v1, vcc_lo
	s_delay_alu instid0(VALU_DEP_3) | instskip(NEXT) | instid1(VALU_DEP_3)
	v_subrev_co_ci_u32_e64 v6, s0, 0, v6, s0
	v_cmp_le_u32_e32 vcc_lo, s12, v8
	v_cndmask_b32_e64 v8, 0, -1, vcc_lo
	s_delay_alu instid0(VALU_DEP_3)
	v_cmp_le_u32_e32 vcc_lo, s13, v6
	v_cndmask_b32_e64 v9, 0, -1, vcc_lo
	v_cmp_le_u32_e32 vcc_lo, s12, v0
	v_cndmask_b32_e64 v0, 0, -1, vcc_lo
	;; [unrolled: 2-line block ×3, first 2 shown]
	v_cmp_eq_u32_e32 vcc_lo, s13, v6
	v_cndmask_b32_e32 v6, v9, v8, vcc_lo
	v_add_co_u32 v8, vcc_lo, v2, 1
	v_cmp_eq_u32_e32 vcc_lo, s13, v1
	v_cndmask_b32_e32 v0, v11, v0, vcc_lo
	s_delay_alu instid0(VALU_DEP_4) | instskip(NEXT) | instid1(VALU_DEP_4)
	v_cmp_ne_u32_e32 vcc_lo, 0, v6
	v_cndmask_b32_e32 v1, v8, v7, vcc_lo
	s_delay_alu instid0(VALU_DEP_3) | instskip(NEXT) | instid1(VALU_DEP_2)
	v_cmp_ne_u32_e32 vcc_lo, 0, v0
	v_cndmask_b32_e32 v0, v2, v1, vcc_lo
	s_delay_alu instid0(VALU_DEP_1) | instskip(NEXT) | instid1(VALU_DEP_1)
	v_xor_b32_e32 v0, s10, v0
	v_sub_co_u32 v0, vcc_lo, v0, s10
.LBB20_21:
	s_and_not1_saveexec_b32 s0, s2
	s_cbranch_execz .LBB20_23
; %bb.22:
	v_cvt_f32_u32_e32 v0, s1
	s_sub_i32 s2, 0, s1
	s_delay_alu instid0(VALU_DEP_1) | instskip(SKIP_2) | instid1(VALU_DEP_1)
	v_rcp_iflag_f32_e32 v0, v0
	s_waitcnt_depctr 0xfff
	v_mul_f32_e32 v0, 0x4f7ffffe, v0
	v_cvt_u32_f32_e32 v0, v0
	s_delay_alu instid0(VALU_DEP_1) | instskip(NEXT) | instid1(VALU_DEP_1)
	v_mul_lo_u32 v1, s2, v0
	v_mul_hi_u32 v1, v0, v1
	s_delay_alu instid0(VALU_DEP_1) | instskip(NEXT) | instid1(VALU_DEP_1)
	v_add_nc_u32_e32 v0, v0, v1
	v_mul_hi_u32 v0, v10, v0
	s_delay_alu instid0(VALU_DEP_1) | instskip(SKIP_1) | instid1(VALU_DEP_2)
	v_mul_lo_u32 v1, v0, s1
	v_add_nc_u32_e32 v2, 1, v0
	v_sub_nc_u32_e32 v1, v10, v1
	s_delay_alu instid0(VALU_DEP_1) | instskip(SKIP_1) | instid1(VALU_DEP_2)
	v_subrev_nc_u32_e32 v6, s1, v1
	v_cmp_le_u32_e32 vcc_lo, s1, v1
	v_cndmask_b32_e32 v1, v1, v6, vcc_lo
	v_cndmask_b32_e32 v0, v0, v2, vcc_lo
	s_delay_alu instid0(VALU_DEP_2) | instskip(NEXT) | instid1(VALU_DEP_2)
	v_cmp_le_u32_e32 vcc_lo, s1, v1
	v_add_nc_u32_e32 v2, 1, v0
	s_delay_alu instid0(VALU_DEP_1)
	v_cndmask_b32_e32 v0, v0, v2, vcc_lo
.LBB20_23:
	s_or_b32 exec_lo, exec_lo, s0
	s_delay_alu instid0(VALU_DEP_1) | instskip(NEXT) | instid1(VALU_DEP_1)
	v_mul_lo_u32 v1, v0, s1
	v_sub_nc_u32_e32 v6, v10, v1
	s_delay_alu instid0(VALU_DEP_1) | instskip(NEXT) | instid1(VALU_DEP_1)
	v_mad_u64_u32 v[1:2], null, v6, s3, v[0:1]
	v_ashrrev_i32_e32 v2, 31, v1
	s_delay_alu instid0(VALU_DEP_1) | instskip(SKIP_1) | instid1(VALU_DEP_1)
	v_lshlrev_b64 v[0:1], 2, v[1:2]
	s_waitcnt lgkmcnt(0)
	v_add_co_u32 v0, vcc_lo, s4, v0
	s_delay_alu instid0(VALU_DEP_2)
	v_add_co_ci_u32_e32 v1, vcc_lo, s5, v1, vcc_lo
	global_store_b32 v[0:1], v18, off
.LBB20_24:
	s_or_b32 exec_lo, exec_lo, s16
	v_dual_mov_b32 v1, 0 :: v_dual_and_b32 v0, 15, v3
	s_xor_b32 s0, s15, -1
	s_waitcnt_vscnt null, 0x0
	s_barrier
	buffer_gl0_inv
	v_cmp_ne_u64_e32 vcc_lo, 0, v[0:1]
	s_or_b32 s0, s0, vcc_lo
	s_delay_alu instid0(SALU_CYCLE_1) | instskip(NEXT) | instid1(SALU_CYCLE_1)
	s_and_saveexec_b32 s1, s0
	s_xor_b32 s10, exec_lo, s1
	s_cbranch_execz .LBB20_119
; %bb.25:
	v_sub_nc_u32_e32 v0, 0, v3
	v_add_co_u32 v24, vcc_lo, s8, v4
	v_add_co_ci_u32_e32 v25, vcc_lo, s9, v5, vcc_lo
	s_delay_alu instid0(VALU_DEP_3) | instskip(SKIP_1) | instid1(VALU_DEP_1)
	v_bfe_u32 v0, v0, 1, 3
	s_mov_b32 s0, exec_lo
	v_min_i32_e32 v21, s14, v0
	s_delay_alu instid0(VALU_DEP_1)
	v_cmpx_gt_i32_e64 v21, v17
	s_cbranch_execz .LBB20_33
; %bb.26:
	v_lshl_add_u32 v0, v17, 1, v3
	s_mov_b32 s1, exec_lo
	ds_load_u16 v0, v0
	s_waitcnt lgkmcnt(0)
	v_cvt_f32_f16_e32 v0, v0
	s_delay_alu instid0(VALU_DEP_1) | instskip(SKIP_1) | instid1(VALU_DEP_2)
	v_div_scale_f32 v1, null, v18, v18, v0
	v_div_scale_f32 v6, vcc_lo, v0, v18, v0
	v_rcp_f32_e32 v2, v1
	s_waitcnt_depctr 0xfff
	v_fma_f32 v3, -v1, v2, 1.0
	s_delay_alu instid0(VALU_DEP_1) | instskip(NEXT) | instid1(VALU_DEP_1)
	v_fmac_f32_e32 v2, v3, v2
	v_mul_f32_e32 v3, v6, v2
	s_delay_alu instid0(VALU_DEP_1) | instskip(NEXT) | instid1(VALU_DEP_1)
	v_fma_f32 v7, -v1, v3, v6
	v_fmac_f32_e32 v3, v7, v2
	s_delay_alu instid0(VALU_DEP_1) | instskip(NEXT) | instid1(VALU_DEP_1)
	v_fma_f32 v1, -v1, v3, v6
	v_div_fmas_f32 v1, v1, v2, v3
	v_max_f32_e64 v2, s6, s6
	v_max_f32_e64 v3, s7, s7
	s_delay_alu instid0(VALU_DEP_3) | instskip(NEXT) | instid1(VALU_DEP_1)
	v_div_fixup_f32 v0, v1, v18, v0
	v_maxmin_f32 v0, v0, v2, v3
	v_mov_b32_e32 v2, 0x80
	s_delay_alu instid0(VALU_DEP_2) | instskip(NEXT) | instid1(VALU_DEP_1)
	v_and_b32_e32 v1, 0x7fffffff, v0
	v_cmpx_gt_u32_e32 0x43800000, v1
	s_cbranch_execz .LBB20_32
; %bb.27:
	v_cmp_lt_u32_e32 vcc_lo, 0x3bffffff, v1
	s_mov_b32 s2, 0
                                        ; implicit-def: $vgpr1
	s_and_saveexec_b32 s3, vcc_lo
	s_delay_alu instid0(SALU_CYCLE_1)
	s_xor_b32 s3, exec_lo, s3
	s_cbranch_execnz .LBB20_188
; %bb.28:
	s_or_saveexec_b32 s3, s3
                                        ; implicit-def: $sgpr4
	s_delay_alu instid0(SALU_CYCLE_1)
	s_xor_b32 exec_lo, exec_lo, s3
	s_cbranch_execnz .LBB20_189
.LBB20_29:
	s_or_b32 exec_lo, exec_lo, s3
	v_mov_b32_e32 v2, s4
	s_and_saveexec_b32 s3, s2
.LBB20_30:
	v_lshrrev_b32_e32 v0, 24, v0
	s_delay_alu instid0(VALU_DEP_1)
	v_and_or_b32 v2, 0x80, v0, v1
.LBB20_31:
	s_or_b32 exec_lo, exec_lo, s3
.LBB20_32:
	s_delay_alu instid0(SALU_CYCLE_1)
	s_or_b32 exec_lo, exec_lo, s1
	v_add_co_u32 v0, vcc_lo, v24, v17
	v_add_co_ci_u32_e32 v1, vcc_lo, 0, v25, vcc_lo
	global_store_b8 v[0:1], v2, off
.LBB20_33:
	s_or_b32 exec_lo, exec_lo, s0
	v_sub_nc_u32_e32 v20, s14, v21
	v_ashrrev_i32_e32 v22, 31, v21
	v_lshlrev_b32_e32 v23, 1, v21
	s_mov_b32 s2, exec_lo
	s_delay_alu instid0(VALU_DEP_3) | instskip(NEXT) | instid1(VALU_DEP_1)
	v_ashrrev_i32_e32 v0, 31, v20
	v_lshrrev_b32_e32 v0, 29, v0
	s_delay_alu instid0(VALU_DEP_1) | instskip(NEXT) | instid1(VALU_DEP_1)
	v_add_nc_u32_e32 v0, v20, v0
	v_ashrrev_i32_e32 v26, 3, v0
	s_delay_alu instid0(VALU_DEP_1)
	v_cmpx_gt_i32_e64 v26, v17
	s_cbranch_execz .LBB20_100
; %bb.34:
	v_lshlrev_b32_e32 v0, 4, v17
	v_dual_mov_b32 v30, v17 :: v_dual_lshlrev_b32 v1, 3, v17
	v_add_co_u32 v2, vcc_lo, v21, v4
	v_add_co_ci_u32_e32 v3, vcc_lo, v22, v5, vcc_lo
	s_delay_alu instid0(VALU_DEP_4) | instskip(SKIP_1) | instid1(VALU_DEP_4)
	v_lshl_add_u32 v0, v19, 1, v0
	v_lshlrev_b32_e32 v6, 1, v21
	v_add_co_u32 v1, vcc_lo, v2, v1
	s_delay_alu instid0(VALU_DEP_4) | instskip(NEXT) | instid1(VALU_DEP_3)
	v_add_co_ci_u32_e32 v2, vcc_lo, 0, v3, vcc_lo
	v_add3_u32 v27, v0, v6, 0
	s_delay_alu instid0(VALU_DEP_3) | instskip(NEXT) | instid1(VALU_DEP_3)
	v_add_co_u32 v6, vcc_lo, s8, v1
	v_add_co_ci_u32_e32 v7, vcc_lo, s9, v2, vcc_lo
	v_max_f32_e64 v28, s6, s6
	v_max_f32_e64 v29, s7, s7
	s_mov_b32 s3, 0
	s_branch .LBB20_37
.LBB20_35:                              ;   in Loop: Header=BB20_37 Depth=1
	s_or_b32 exec_lo, exec_lo, s0
.LBB20_36:                              ;   in Loop: Header=BB20_37 Depth=1
	s_delay_alu instid0(SALU_CYCLE_1)
	s_or_b32 exec_lo, exec_lo, s4
	v_lshlrev_b32_e32 v2, 16, v15
	v_lshlrev_b32_e32 v3, 16, v13
	;; [unrolled: 1-line block ×5, first 2 shown]
	v_and_b32_e32 v2, 0xff0000, v2
	v_perm_b32 v3, v11, v3, 0x4020c0c
	v_and_b32_e32 v0, 0xff, v0
	v_and_b32_e32 v10, 0xff, v10
	;; [unrolled: 1-line block ×3, first 2 shown]
	v_or_b32_e32 v1, v1, v2
	v_and_or_b32 v2, 0xff00, v8, v3
	v_add_nc_u32_e32 v30, 16, v30
	v_add_nc_u32_e32 v27, 0x100, v27
	s_delay_alu instid0(VALU_DEP_4) | instskip(NEXT) | instid1(VALU_DEP_4)
	v_or3_b32 v1, v1, v9, v0
	v_or_b32_e32 v0, v2, v10
	s_delay_alu instid0(VALU_DEP_4) | instskip(SKIP_2) | instid1(VALU_DEP_1)
	v_cmp_ge_i32_e32 vcc_lo, v30, v26
	global_store_b64 v[6:7], v[0:1], off
	v_add_co_u32 v6, s0, 0x80, v6
	v_add_co_ci_u32_e64 v7, s0, 0, v7, s0
	s_or_b32 s3, vcc_lo, s3
	s_delay_alu instid0(SALU_CYCLE_1)
	s_and_not1_b32 exec_lo, exec_lo, s3
	s_cbranch_execz .LBB20_100
.LBB20_37:                              ; =>This Inner Loop Header: Depth=1
	ds_load_b128 v[0:3], v27
	s_mov_b32 s4, exec_lo
	s_waitcnt lgkmcnt(0)
	v_cvt_f32_f16_e32 v8, v0
	s_delay_alu instid0(VALU_DEP_1) | instskip(SKIP_1) | instid1(VALU_DEP_2)
	v_div_scale_f32 v9, null, v18, v18, v8
	v_div_scale_f32 v12, vcc_lo, v8, v18, v8
	v_rcp_f32_e32 v10, v9
	s_waitcnt_depctr 0xfff
	v_fma_f32 v11, -v9, v10, 1.0
	s_delay_alu instid0(VALU_DEP_1) | instskip(NEXT) | instid1(VALU_DEP_1)
	v_fmac_f32_e32 v10, v11, v10
	v_mul_f32_e32 v11, v12, v10
	s_delay_alu instid0(VALU_DEP_1) | instskip(NEXT) | instid1(VALU_DEP_1)
	v_fma_f32 v13, -v9, v11, v12
	v_fmac_f32_e32 v11, v13, v10
	s_delay_alu instid0(VALU_DEP_1) | instskip(NEXT) | instid1(VALU_DEP_1)
	v_fma_f32 v9, -v9, v11, v12
	v_div_fmas_f32 v9, v9, v10, v11
	s_delay_alu instid0(VALU_DEP_1) | instskip(NEXT) | instid1(VALU_DEP_1)
	v_div_fixup_f32 v8, v9, v18, v8
	v_maxmin_f32 v12, v8, v28, v29
	v_mov_b32_e32 v8, 0x80
	v_mov_b32_e32 v9, 0
	s_delay_alu instid0(VALU_DEP_3) | instskip(NEXT) | instid1(VALU_DEP_2)
	v_and_b32_e32 v13, 0x7fffffff, v12
	v_dual_mov_b32 v11, v9 :: v_dual_mov_b32 v10, v8
	s_delay_alu instid0(VALU_DEP_2)
	v_cmpx_gt_u32_e32 0x43800000, v13
	s_cbranch_execz .LBB20_45
; %bb.38:                               ;   in Loop: Header=BB20_37 Depth=1
	s_mov_b32 s5, 0
	s_mov_b32 s0, exec_lo
                                        ; implicit-def: $vgpr9
	v_cmpx_lt_u32_e32 0x3bffffff, v13
	s_xor_b32 s0, exec_lo, s0
; %bb.39:                               ;   in Loop: Header=BB20_37 Depth=1
	v_bfe_u32 v9, v12, 20, 1
	s_mov_b32 s5, exec_lo
	s_delay_alu instid0(VALU_DEP_1) | instskip(NEXT) | instid1(VALU_DEP_1)
	v_add3_u32 v9, v12, v9, 0x487ffff
	v_lshrrev_b32_e32 v9, 20, v9
; %bb.40:                               ;   in Loop: Header=BB20_37 Depth=1
	s_or_saveexec_b32 s11, s0
                                        ; implicit-def: $sgpr0_sgpr1
	s_delay_alu instid0(SALU_CYCLE_1)
	s_xor_b32 exec_lo, exec_lo, s11
; %bb.41:                               ;   in Loop: Header=BB20_37 Depth=1
	v_add_f32_e64 v9, 0x46000000, |v12|
	s_and_not1_b32 s5, s5, exec_lo
	s_mov_b64 s[0:1], 0
	s_delay_alu instid0(VALU_DEP_1) | instskip(NEXT) | instid1(VALU_DEP_1)
	v_and_b32_e32 v9, 0xff, v9
	v_cmp_ne_u32_e32 vcc_lo, 0, v9
	s_and_b32 s12, vcc_lo, exec_lo
	s_delay_alu instid0(SALU_CYCLE_1)
	s_or_b32 s5, s5, s12
; %bb.42:                               ;   in Loop: Header=BB20_37 Depth=1
	s_or_b32 exec_lo, exec_lo, s11
	v_dual_mov_b32 v11, s1 :: v_dual_mov_b32 v10, s0
	s_and_saveexec_b32 s0, s5
; %bb.43:                               ;   in Loop: Header=BB20_37 Depth=1
	v_lshrrev_b32_e32 v10, 24, v12
	s_delay_alu instid0(VALU_DEP_1)
	v_and_or_b32 v10, 0x80, v10, v9
; %bb.44:                               ;   in Loop: Header=BB20_37 Depth=1
	s_or_b32 exec_lo, exec_lo, s0
.LBB20_45:                              ;   in Loop: Header=BB20_37 Depth=1
	s_delay_alu instid0(SALU_CYCLE_1) | instskip(SKIP_2) | instid1(VALU_DEP_1)
	s_or_b32 exec_lo, exec_lo, s4
	v_lshrrev_b32_e32 v0, 16, v0
	s_mov_b32 s4, exec_lo
	v_cvt_f32_f16_e32 v0, v0
	s_delay_alu instid0(VALU_DEP_1) | instskip(NEXT) | instid1(VALU_DEP_1)
	v_div_scale_f32 v9, null, v18, v18, v0
	v_rcp_f32_e32 v11, v9
	s_waitcnt_depctr 0xfff
	v_fma_f32 v12, -v9, v11, 1.0
	s_delay_alu instid0(VALU_DEP_1) | instskip(SKIP_1) | instid1(VALU_DEP_1)
	v_fmac_f32_e32 v11, v12, v11
	v_div_scale_f32 v12, vcc_lo, v0, v18, v0
	v_mul_f32_e32 v13, v12, v11
	s_delay_alu instid0(VALU_DEP_1) | instskip(NEXT) | instid1(VALU_DEP_1)
	v_fma_f32 v14, -v9, v13, v12
	v_fmac_f32_e32 v13, v14, v11
	s_delay_alu instid0(VALU_DEP_1) | instskip(NEXT) | instid1(VALU_DEP_1)
	v_fma_f32 v9, -v9, v13, v12
	v_div_fmas_f32 v9, v9, v11, v13
	s_delay_alu instid0(VALU_DEP_1) | instskip(NEXT) | instid1(VALU_DEP_1)
	v_div_fixup_f32 v0, v9, v18, v0
	v_maxmin_f32 v0, v0, v28, v29
	s_delay_alu instid0(VALU_DEP_1) | instskip(NEXT) | instid1(VALU_DEP_1)
	v_and_b32_e32 v9, 0x7fffffff, v0
	v_cmpx_gt_u32_e32 0x43800000, v9
	s_cbranch_execz .LBB20_53
; %bb.46:                               ;   in Loop: Header=BB20_37 Depth=1
	s_mov_b32 s5, 0
	s_mov_b32 s0, exec_lo
                                        ; implicit-def: $vgpr11
	v_cmpx_lt_u32_e32 0x3bffffff, v9
	s_xor_b32 s0, exec_lo, s0
; %bb.47:                               ;   in Loop: Header=BB20_37 Depth=1
	v_bfe_u32 v8, v0, 20, 1
	s_mov_b32 s5, exec_lo
	s_delay_alu instid0(VALU_DEP_1) | instskip(NEXT) | instid1(VALU_DEP_1)
	v_add3_u32 v8, v0, v8, 0x487ffff
	v_lshrrev_b32_e32 v11, 20, v8
; %bb.48:                               ;   in Loop: Header=BB20_37 Depth=1
	s_or_saveexec_b32 s11, s0
                                        ; implicit-def: $sgpr0_sgpr1
	s_delay_alu instid0(SALU_CYCLE_1)
	s_xor_b32 exec_lo, exec_lo, s11
; %bb.49:                               ;   in Loop: Header=BB20_37 Depth=1
	v_add_f32_e64 v8, 0x46000000, |v0|
	s_and_not1_b32 s5, s5, exec_lo
	s_mov_b64 s[0:1], 0
	s_delay_alu instid0(VALU_DEP_1) | instskip(NEXT) | instid1(VALU_DEP_1)
	v_and_b32_e32 v11, 0xff, v8
	v_cmp_ne_u32_e32 vcc_lo, 0, v11
	s_and_b32 s12, vcc_lo, exec_lo
	s_delay_alu instid0(SALU_CYCLE_1)
	s_or_b32 s5, s5, s12
; %bb.50:                               ;   in Loop: Header=BB20_37 Depth=1
	s_or_b32 exec_lo, exec_lo, s11
	v_dual_mov_b32 v9, s1 :: v_dual_mov_b32 v8, s0
	s_and_saveexec_b32 s0, s5
; %bb.51:                               ;   in Loop: Header=BB20_37 Depth=1
	v_lshrrev_b32_e32 v0, 24, v0
	s_delay_alu instid0(VALU_DEP_1)
	v_and_or_b32 v8, 0x80, v0, v11
; %bb.52:                               ;   in Loop: Header=BB20_37 Depth=1
	s_or_b32 exec_lo, exec_lo, s0
.LBB20_53:                              ;   in Loop: Header=BB20_37 Depth=1
	s_delay_alu instid0(SALU_CYCLE_1) | instskip(SKIP_2) | instid1(VALU_DEP_1)
	s_or_b32 exec_lo, exec_lo, s4
	v_cvt_f32_f16_e32 v0, v1
	s_mov_b32 s4, exec_lo
	v_div_scale_f32 v9, null, v18, v18, v0
	v_div_scale_f32 v13, vcc_lo, v0, v18, v0
	s_delay_alu instid0(VALU_DEP_2) | instskip(SKIP_2) | instid1(VALU_DEP_1)
	v_rcp_f32_e32 v11, v9
	s_waitcnt_depctr 0xfff
	v_fma_f32 v12, -v9, v11, 1.0
	v_fmac_f32_e32 v11, v12, v11
	s_delay_alu instid0(VALU_DEP_1) | instskip(NEXT) | instid1(VALU_DEP_1)
	v_mul_f32_e32 v12, v13, v11
	v_fma_f32 v14, -v9, v12, v13
	s_delay_alu instid0(VALU_DEP_1) | instskip(NEXT) | instid1(VALU_DEP_1)
	v_fmac_f32_e32 v12, v14, v11
	v_fma_f32 v9, -v9, v12, v13
	s_delay_alu instid0(VALU_DEP_1) | instskip(SKIP_2) | instid1(VALU_DEP_3)
	v_div_fmas_f32 v9, v9, v11, v12
	v_mov_b32_e32 v11, 0x80
	v_mov_b32_e32 v12, 0
	v_div_fixup_f32 v0, v9, v18, v0
	s_delay_alu instid0(VALU_DEP_2) | instskip(NEXT) | instid1(VALU_DEP_2)
	v_dual_mov_b32 v14, v12 :: v_dual_mov_b32 v13, v11
	v_maxmin_f32 v0, v0, v28, v29
	s_delay_alu instid0(VALU_DEP_1) | instskip(NEXT) | instid1(VALU_DEP_1)
	v_and_b32_e32 v9, 0x7fffffff, v0
	v_cmpx_gt_u32_e32 0x43800000, v9
	s_cbranch_execz .LBB20_61
; %bb.54:                               ;   in Loop: Header=BB20_37 Depth=1
	v_cmp_lt_u32_e32 vcc_lo, 0x3bffffff, v9
	s_mov_b32 s5, 0
                                        ; implicit-def: $vgpr9
	s_and_saveexec_b32 s0, vcc_lo
	s_delay_alu instid0(SALU_CYCLE_1)
	s_xor_b32 s0, exec_lo, s0
; %bb.55:                               ;   in Loop: Header=BB20_37 Depth=1
	v_bfe_u32 v9, v0, 20, 1
	s_mov_b32 s5, exec_lo
	s_delay_alu instid0(VALU_DEP_1) | instskip(NEXT) | instid1(VALU_DEP_1)
	v_add3_u32 v9, v0, v9, 0x487ffff
	v_lshrrev_b32_e32 v9, 20, v9
; %bb.56:                               ;   in Loop: Header=BB20_37 Depth=1
	s_or_saveexec_b32 s11, s0
                                        ; implicit-def: $sgpr0_sgpr1
	s_delay_alu instid0(SALU_CYCLE_1)
	s_xor_b32 exec_lo, exec_lo, s11
; %bb.57:                               ;   in Loop: Header=BB20_37 Depth=1
	v_add_f32_e64 v9, 0x46000000, |v0|
	s_and_not1_b32 s5, s5, exec_lo
	s_mov_b64 s[0:1], 0
	s_delay_alu instid0(VALU_DEP_1) | instskip(NEXT) | instid1(VALU_DEP_1)
	v_and_b32_e32 v9, 0xff, v9
	v_cmp_ne_u32_e32 vcc_lo, 0, v9
	s_and_b32 s12, vcc_lo, exec_lo
	s_delay_alu instid0(SALU_CYCLE_1)
	s_or_b32 s5, s5, s12
; %bb.58:                               ;   in Loop: Header=BB20_37 Depth=1
	s_or_b32 exec_lo, exec_lo, s11
	v_dual_mov_b32 v14, s1 :: v_dual_mov_b32 v13, s0
	s_and_saveexec_b32 s0, s5
; %bb.59:                               ;   in Loop: Header=BB20_37 Depth=1
	v_lshrrev_b32_e32 v0, 24, v0
	s_delay_alu instid0(VALU_DEP_1)
	v_and_or_b32 v13, 0x80, v0, v9
; %bb.60:                               ;   in Loop: Header=BB20_37 Depth=1
	s_or_b32 exec_lo, exec_lo, s0
.LBB20_61:                              ;   in Loop: Header=BB20_37 Depth=1
	s_delay_alu instid0(SALU_CYCLE_1) | instskip(SKIP_2) | instid1(VALU_DEP_1)
	s_or_b32 exec_lo, exec_lo, s4
	v_lshrrev_b32_e32 v0, 16, v1
	s_mov_b32 s4, exec_lo
	v_cvt_f32_f16_e32 v0, v0
	s_delay_alu instid0(VALU_DEP_1) | instskip(NEXT) | instid1(VALU_DEP_1)
	v_div_scale_f32 v1, null, v18, v18, v0
	v_rcp_f32_e32 v9, v1
	s_waitcnt_depctr 0xfff
	v_fma_f32 v12, -v1, v9, 1.0
	s_delay_alu instid0(VALU_DEP_1) | instskip(SKIP_1) | instid1(VALU_DEP_1)
	v_fmac_f32_e32 v9, v12, v9
	v_div_scale_f32 v12, vcc_lo, v0, v18, v0
	v_mul_f32_e32 v14, v12, v9
	s_delay_alu instid0(VALU_DEP_1) | instskip(NEXT) | instid1(VALU_DEP_1)
	v_fma_f32 v15, -v1, v14, v12
	v_fmac_f32_e32 v14, v15, v9
	s_delay_alu instid0(VALU_DEP_1) | instskip(NEXT) | instid1(VALU_DEP_1)
	v_fma_f32 v1, -v1, v14, v12
	v_div_fmas_f32 v1, v1, v9, v14
	s_delay_alu instid0(VALU_DEP_1) | instskip(NEXT) | instid1(VALU_DEP_1)
	v_div_fixup_f32 v0, v1, v18, v0
	v_maxmin_f32 v0, v0, v28, v29
	s_delay_alu instid0(VALU_DEP_1) | instskip(NEXT) | instid1(VALU_DEP_1)
	v_and_b32_e32 v1, 0x7fffffff, v0
	v_cmpx_gt_u32_e32 0x43800000, v1
	s_cbranch_execz .LBB20_69
; %bb.62:                               ;   in Loop: Header=BB20_37 Depth=1
	v_cmp_lt_u32_e32 vcc_lo, 0x3bffffff, v1
	s_mov_b32 s5, 0
                                        ; implicit-def: $vgpr1
	s_and_saveexec_b32 s0, vcc_lo
	s_delay_alu instid0(SALU_CYCLE_1)
	s_xor_b32 s0, exec_lo, s0
; %bb.63:                               ;   in Loop: Header=BB20_37 Depth=1
	v_bfe_u32 v1, v0, 20, 1
	s_mov_b32 s5, exec_lo
	s_delay_alu instid0(VALU_DEP_1) | instskip(NEXT) | instid1(VALU_DEP_1)
	v_add3_u32 v1, v0, v1, 0x487ffff
	v_lshrrev_b32_e32 v1, 20, v1
; %bb.64:                               ;   in Loop: Header=BB20_37 Depth=1
	s_or_saveexec_b32 s11, s0
                                        ; implicit-def: $sgpr0_sgpr1
	s_delay_alu instid0(SALU_CYCLE_1)
	s_xor_b32 exec_lo, exec_lo, s11
; %bb.65:                               ;   in Loop: Header=BB20_37 Depth=1
	v_add_f32_e64 v1, 0x46000000, |v0|
	s_and_not1_b32 s5, s5, exec_lo
	s_mov_b64 s[0:1], 0
	s_delay_alu instid0(VALU_DEP_1) | instskip(NEXT) | instid1(VALU_DEP_1)
	v_and_b32_e32 v1, 0xff, v1
	v_cmp_ne_u32_e32 vcc_lo, 0, v1
	s_and_b32 s12, vcc_lo, exec_lo
	s_delay_alu instid0(SALU_CYCLE_1)
	s_or_b32 s5, s5, s12
; %bb.66:                               ;   in Loop: Header=BB20_37 Depth=1
	s_or_b32 exec_lo, exec_lo, s11
	v_dual_mov_b32 v12, s1 :: v_dual_mov_b32 v11, s0
	s_and_saveexec_b32 s0, s5
; %bb.67:                               ;   in Loop: Header=BB20_37 Depth=1
	v_lshrrev_b32_e32 v0, 24, v0
	s_delay_alu instid0(VALU_DEP_1)
	v_and_or_b32 v11, 0x80, v0, v1
; %bb.68:                               ;   in Loop: Header=BB20_37 Depth=1
	s_or_b32 exec_lo, exec_lo, s0
.LBB20_69:                              ;   in Loop: Header=BB20_37 Depth=1
	s_delay_alu instid0(SALU_CYCLE_1) | instskip(SKIP_2) | instid1(VALU_DEP_1)
	s_or_b32 exec_lo, exec_lo, s4
	v_cvt_f32_f16_e32 v0, v2
	s_mov_b32 s4, exec_lo
	v_div_scale_f32 v1, null, v18, v18, v0
	v_div_scale_f32 v14, vcc_lo, v0, v18, v0
	s_delay_alu instid0(VALU_DEP_2) | instskip(SKIP_2) | instid1(VALU_DEP_1)
	v_rcp_f32_e32 v9, v1
	s_waitcnt_depctr 0xfff
	v_fma_f32 v12, -v1, v9, 1.0
	v_fmac_f32_e32 v9, v12, v9
	s_delay_alu instid0(VALU_DEP_1) | instskip(NEXT) | instid1(VALU_DEP_1)
	v_mul_f32_e32 v12, v14, v9
	v_fma_f32 v15, -v1, v12, v14
	s_delay_alu instid0(VALU_DEP_1) | instskip(NEXT) | instid1(VALU_DEP_1)
	v_fmac_f32_e32 v12, v15, v9
	v_fma_f32 v1, -v1, v12, v14
	v_mov_b32_e32 v14, 0x80
	v_mov_b32_e32 v15, 0
	s_delay_alu instid0(VALU_DEP_3) | instskip(NEXT) | instid1(VALU_DEP_1)
	v_div_fmas_f32 v1, v1, v9, v12
	v_div_fixup_f32 v0, v1, v18, v0
	s_delay_alu instid0(VALU_DEP_1) | instskip(NEXT) | instid1(VALU_DEP_4)
	v_maxmin_f32 v9, v0, v28, v29
	v_dual_mov_b32 v0, v14 :: v_dual_mov_b32 v1, v15
	s_delay_alu instid0(VALU_DEP_2) | instskip(NEXT) | instid1(VALU_DEP_1)
	v_and_b32_e32 v12, 0x7fffffff, v9
	v_cmpx_gt_u32_e32 0x43800000, v12
	s_cbranch_execz .LBB20_77
; %bb.70:                               ;   in Loop: Header=BB20_37 Depth=1
	v_cmp_lt_u32_e32 vcc_lo, 0x3bffffff, v12
	s_mov_b32 s5, 0
                                        ; implicit-def: $vgpr12
	s_and_saveexec_b32 s0, vcc_lo
	s_delay_alu instid0(SALU_CYCLE_1)
	s_xor_b32 s0, exec_lo, s0
; %bb.71:                               ;   in Loop: Header=BB20_37 Depth=1
	v_bfe_u32 v0, v9, 20, 1
	s_mov_b32 s5, exec_lo
	s_delay_alu instid0(VALU_DEP_1) | instskip(NEXT) | instid1(VALU_DEP_1)
	v_add3_u32 v0, v9, v0, 0x487ffff
	v_lshrrev_b32_e32 v12, 20, v0
; %bb.72:                               ;   in Loop: Header=BB20_37 Depth=1
	s_or_saveexec_b32 s11, s0
                                        ; implicit-def: $sgpr0_sgpr1
	s_delay_alu instid0(SALU_CYCLE_1)
	s_xor_b32 exec_lo, exec_lo, s11
; %bb.73:                               ;   in Loop: Header=BB20_37 Depth=1
	v_add_f32_e64 v0, 0x46000000, |v9|
	s_and_not1_b32 s5, s5, exec_lo
	s_mov_b64 s[0:1], 0
	s_delay_alu instid0(VALU_DEP_1) | instskip(NEXT) | instid1(VALU_DEP_1)
	v_and_b32_e32 v12, 0xff, v0
	v_cmp_ne_u32_e32 vcc_lo, 0, v12
	s_and_b32 s12, vcc_lo, exec_lo
	s_delay_alu instid0(SALU_CYCLE_1)
	s_or_b32 s5, s5, s12
; %bb.74:                               ;   in Loop: Header=BB20_37 Depth=1
	s_or_b32 exec_lo, exec_lo, s11
	v_dual_mov_b32 v0, s0 :: v_dual_mov_b32 v1, s1
	s_and_saveexec_b32 s0, s5
; %bb.75:                               ;   in Loop: Header=BB20_37 Depth=1
	v_lshrrev_b32_e32 v0, 24, v9
	s_delay_alu instid0(VALU_DEP_1)
	v_and_or_b32 v0, 0x80, v0, v12
; %bb.76:                               ;   in Loop: Header=BB20_37 Depth=1
	s_or_b32 exec_lo, exec_lo, s0
.LBB20_77:                              ;   in Loop: Header=BB20_37 Depth=1
	s_delay_alu instid0(SALU_CYCLE_1) | instskip(SKIP_2) | instid1(VALU_DEP_1)
	s_or_b32 exec_lo, exec_lo, s4
	v_lshrrev_b32_e32 v1, 16, v2
	s_mov_b32 s4, exec_lo
	v_cvt_f32_f16_e32 v1, v1
	s_delay_alu instid0(VALU_DEP_1) | instskip(NEXT) | instid1(VALU_DEP_1)
	v_div_scale_f32 v2, null, v18, v18, v1
	v_rcp_f32_e32 v9, v2
	s_waitcnt_depctr 0xfff
	v_fma_f32 v12, -v2, v9, 1.0
	s_delay_alu instid0(VALU_DEP_1) | instskip(SKIP_1) | instid1(VALU_DEP_1)
	v_fmac_f32_e32 v9, v12, v9
	v_div_scale_f32 v12, vcc_lo, v1, v18, v1
	v_mul_f32_e32 v15, v12, v9
	s_delay_alu instid0(VALU_DEP_1) | instskip(NEXT) | instid1(VALU_DEP_1)
	v_fma_f32 v16, -v2, v15, v12
	v_fmac_f32_e32 v15, v16, v9
	s_delay_alu instid0(VALU_DEP_1) | instskip(NEXT) | instid1(VALU_DEP_1)
	v_fma_f32 v2, -v2, v15, v12
	v_div_fmas_f32 v2, v2, v9, v15
	s_delay_alu instid0(VALU_DEP_1) | instskip(NEXT) | instid1(VALU_DEP_1)
	v_div_fixup_f32 v1, v2, v18, v1
	v_maxmin_f32 v1, v1, v28, v29
	s_delay_alu instid0(VALU_DEP_1) | instskip(NEXT) | instid1(VALU_DEP_1)
	v_and_b32_e32 v2, 0x7fffffff, v1
	v_cmpx_gt_u32_e32 0x43800000, v2
	s_cbranch_execz .LBB20_85
; %bb.78:                               ;   in Loop: Header=BB20_37 Depth=1
	v_cmp_lt_u32_e32 vcc_lo, 0x3bffffff, v2
	s_mov_b32 s5, 0
                                        ; implicit-def: $vgpr2
	s_and_saveexec_b32 s0, vcc_lo
	s_delay_alu instid0(SALU_CYCLE_1)
	s_xor_b32 s0, exec_lo, s0
; %bb.79:                               ;   in Loop: Header=BB20_37 Depth=1
	v_bfe_u32 v2, v1, 20, 1
	s_mov_b32 s5, exec_lo
	s_delay_alu instid0(VALU_DEP_1) | instskip(NEXT) | instid1(VALU_DEP_1)
	v_add3_u32 v2, v1, v2, 0x487ffff
	v_lshrrev_b32_e32 v2, 20, v2
; %bb.80:                               ;   in Loop: Header=BB20_37 Depth=1
	s_or_saveexec_b32 s11, s0
                                        ; implicit-def: $sgpr0_sgpr1
	s_delay_alu instid0(SALU_CYCLE_1)
	s_xor_b32 exec_lo, exec_lo, s11
; %bb.81:                               ;   in Loop: Header=BB20_37 Depth=1
	v_add_f32_e64 v2, 0x46000000, |v1|
	s_and_not1_b32 s5, s5, exec_lo
	s_mov_b64 s[0:1], 0
	s_delay_alu instid0(VALU_DEP_1) | instskip(NEXT) | instid1(VALU_DEP_1)
	v_and_b32_e32 v2, 0xff, v2
	v_cmp_ne_u32_e32 vcc_lo, 0, v2
	s_and_b32 s12, vcc_lo, exec_lo
	s_delay_alu instid0(SALU_CYCLE_1)
	s_or_b32 s5, s5, s12
; %bb.82:                               ;   in Loop: Header=BB20_37 Depth=1
	s_or_b32 exec_lo, exec_lo, s11
	v_dual_mov_b32 v15, s1 :: v_dual_mov_b32 v14, s0
	s_and_saveexec_b32 s0, s5
; %bb.83:                               ;   in Loop: Header=BB20_37 Depth=1
	v_lshrrev_b32_e32 v1, 24, v1
	s_delay_alu instid0(VALU_DEP_1)
	v_and_or_b32 v14, 0x80, v1, v2
; %bb.84:                               ;   in Loop: Header=BB20_37 Depth=1
	s_or_b32 exec_lo, exec_lo, s0
.LBB20_85:                              ;   in Loop: Header=BB20_37 Depth=1
	s_delay_alu instid0(SALU_CYCLE_1) | instskip(SKIP_2) | instid1(VALU_DEP_1)
	s_or_b32 exec_lo, exec_lo, s4
	v_cvt_f32_f16_e32 v1, v3
	s_mov_b32 s4, exec_lo
	v_div_scale_f32 v2, null, v18, v18, v1
	v_div_scale_f32 v15, vcc_lo, v1, v18, v1
	s_delay_alu instid0(VALU_DEP_2) | instskip(SKIP_2) | instid1(VALU_DEP_1)
	v_rcp_f32_e32 v9, v2
	s_waitcnt_depctr 0xfff
	v_fma_f32 v12, -v2, v9, 1.0
	v_fmac_f32_e32 v9, v12, v9
	s_delay_alu instid0(VALU_DEP_1) | instskip(NEXT) | instid1(VALU_DEP_1)
	v_mul_f32_e32 v12, v15, v9
	v_fma_f32 v16, -v2, v12, v15
	s_delay_alu instid0(VALU_DEP_1) | instskip(NEXT) | instid1(VALU_DEP_1)
	v_fmac_f32_e32 v12, v16, v9
	v_fma_f32 v2, -v2, v12, v15
	s_delay_alu instid0(VALU_DEP_1) | instskip(NEXT) | instid1(VALU_DEP_1)
	v_div_fmas_f32 v2, v2, v9, v12
	v_div_fixup_f32 v1, v2, v18, v1
	s_delay_alu instid0(VALU_DEP_1) | instskip(SKIP_2) | instid1(VALU_DEP_3)
	v_maxmin_f32 v9, v1, v28, v29
	v_mov_b32_e32 v1, 0x80
	v_mov_b32_e32 v2, 0
	v_and_b32_e32 v12, 0x7fffffff, v9
	s_delay_alu instid0(VALU_DEP_2) | instskip(NEXT) | instid1(VALU_DEP_2)
	v_dual_mov_b32 v16, v2 :: v_dual_mov_b32 v15, v1
	v_cmpx_gt_u32_e32 0x43800000, v12
	s_cbranch_execz .LBB20_93
; %bb.86:                               ;   in Loop: Header=BB20_37 Depth=1
	s_mov_b32 s5, 0
	s_mov_b32 s0, exec_lo
                                        ; implicit-def: $vgpr2
	v_cmpx_lt_u32_e32 0x3bffffff, v12
	s_xor_b32 s0, exec_lo, s0
; %bb.87:                               ;   in Loop: Header=BB20_37 Depth=1
	v_bfe_u32 v2, v9, 20, 1
	s_mov_b32 s5, exec_lo
	s_delay_alu instid0(VALU_DEP_1) | instskip(NEXT) | instid1(VALU_DEP_1)
	v_add3_u32 v2, v9, v2, 0x487ffff
	v_lshrrev_b32_e32 v2, 20, v2
; %bb.88:                               ;   in Loop: Header=BB20_37 Depth=1
	s_or_saveexec_b32 s11, s0
                                        ; implicit-def: $sgpr0_sgpr1
	s_delay_alu instid0(SALU_CYCLE_1)
	s_xor_b32 exec_lo, exec_lo, s11
; %bb.89:                               ;   in Loop: Header=BB20_37 Depth=1
	v_add_f32_e64 v2, 0x46000000, |v9|
	s_and_not1_b32 s5, s5, exec_lo
	s_mov_b64 s[0:1], 0
	s_delay_alu instid0(VALU_DEP_1) | instskip(NEXT) | instid1(VALU_DEP_1)
	v_and_b32_e32 v2, 0xff, v2
	v_cmp_ne_u32_e32 vcc_lo, 0, v2
	s_and_b32 s12, vcc_lo, exec_lo
	s_delay_alu instid0(SALU_CYCLE_1)
	s_or_b32 s5, s5, s12
; %bb.90:                               ;   in Loop: Header=BB20_37 Depth=1
	s_or_b32 exec_lo, exec_lo, s11
	v_dual_mov_b32 v16, s1 :: v_dual_mov_b32 v15, s0
	s_and_saveexec_b32 s0, s5
; %bb.91:                               ;   in Loop: Header=BB20_37 Depth=1
	v_lshrrev_b32_e32 v9, 24, v9
	s_delay_alu instid0(VALU_DEP_1)
	v_and_or_b32 v15, 0x80, v9, v2
; %bb.92:                               ;   in Loop: Header=BB20_37 Depth=1
	s_or_b32 exec_lo, exec_lo, s0
.LBB20_93:                              ;   in Loop: Header=BB20_37 Depth=1
	s_delay_alu instid0(SALU_CYCLE_1) | instskip(SKIP_2) | instid1(VALU_DEP_1)
	s_or_b32 exec_lo, exec_lo, s4
	v_lshrrev_b32_e32 v2, 16, v3
	s_mov_b32 s4, exec_lo
	v_cvt_f32_f16_e32 v2, v2
	s_delay_alu instid0(VALU_DEP_1) | instskip(NEXT) | instid1(VALU_DEP_1)
	v_div_scale_f32 v3, null, v18, v18, v2
	v_rcp_f32_e32 v9, v3
	s_waitcnt_depctr 0xfff
	v_fma_f32 v12, -v3, v9, 1.0
	s_delay_alu instid0(VALU_DEP_1) | instskip(SKIP_1) | instid1(VALU_DEP_1)
	v_fmac_f32_e32 v9, v12, v9
	v_div_scale_f32 v12, vcc_lo, v2, v18, v2
	v_mul_f32_e32 v16, v12, v9
	s_delay_alu instid0(VALU_DEP_1) | instskip(NEXT) | instid1(VALU_DEP_1)
	v_fma_f32 v31, -v3, v16, v12
	v_fmac_f32_e32 v16, v31, v9
	s_delay_alu instid0(VALU_DEP_1) | instskip(NEXT) | instid1(VALU_DEP_1)
	v_fma_f32 v3, -v3, v16, v12
	v_div_fmas_f32 v3, v3, v9, v16
	s_delay_alu instid0(VALU_DEP_1) | instskip(NEXT) | instid1(VALU_DEP_1)
	v_div_fixup_f32 v2, v3, v18, v2
	v_maxmin_f32 v3, v2, v28, v29
	s_delay_alu instid0(VALU_DEP_1) | instskip(NEXT) | instid1(VALU_DEP_1)
	v_and_b32_e32 v2, 0x7fffffff, v3
	v_cmpx_gt_u32_e32 0x43800000, v2
	s_cbranch_execz .LBB20_36
; %bb.94:                               ;   in Loop: Header=BB20_37 Depth=1
	s_mov_b32 s5, 0
	s_mov_b32 s0, exec_lo
                                        ; implicit-def: $vgpr9
	v_cmpx_lt_u32_e32 0x3bffffff, v2
	s_xor_b32 s0, exec_lo, s0
; %bb.95:                               ;   in Loop: Header=BB20_37 Depth=1
	v_bfe_u32 v1, v3, 20, 1
	s_mov_b32 s5, exec_lo
	s_delay_alu instid0(VALU_DEP_1) | instskip(NEXT) | instid1(VALU_DEP_1)
	v_add3_u32 v1, v3, v1, 0x487ffff
	v_lshrrev_b32_e32 v9, 20, v1
; %bb.96:                               ;   in Loop: Header=BB20_37 Depth=1
	s_or_saveexec_b32 s11, s0
                                        ; implicit-def: $sgpr0_sgpr1
	s_delay_alu instid0(SALU_CYCLE_1)
	s_xor_b32 exec_lo, exec_lo, s11
; %bb.97:                               ;   in Loop: Header=BB20_37 Depth=1
	v_add_f32_e64 v1, 0x46000000, |v3|
	s_and_not1_b32 s5, s5, exec_lo
	s_mov_b64 s[0:1], 0
	s_delay_alu instid0(VALU_DEP_1) | instskip(NEXT) | instid1(VALU_DEP_1)
	v_and_b32_e32 v9, 0xff, v1
	v_cmp_ne_u32_e32 vcc_lo, 0, v9
	s_and_b32 s12, vcc_lo, exec_lo
	s_delay_alu instid0(SALU_CYCLE_1)
	s_or_b32 s5, s5, s12
; %bb.98:                               ;   in Loop: Header=BB20_37 Depth=1
	s_or_b32 exec_lo, exec_lo, s11
	v_dual_mov_b32 v2, s1 :: v_dual_mov_b32 v1, s0
	s_and_saveexec_b32 s0, s5
	s_cbranch_execz .LBB20_35
; %bb.99:                               ;   in Loop: Header=BB20_37 Depth=1
	v_lshrrev_b32_e32 v1, 24, v3
	s_delay_alu instid0(VALU_DEP_1)
	v_and_or_b32 v1, 0x80, v1, v9
	s_branch .LBB20_35
.LBB20_100:
	s_or_b32 exec_lo, exec_lo, s2
	v_lshlrev_b32_e32 v2, 3, v26
	s_mov_b32 s11, exec_lo
	s_delay_alu instid0(VALU_DEP_1) | instskip(NEXT) | instid1(VALU_DEP_1)
	v_add_nc_u32_e32 v0, v2, v17
	v_cmpx_lt_i32_e64 v0, v20
	s_cbranch_execz .LBB20_118
; %bb.101:
	v_add_nc_u32_e32 v1, 16, v0
	s_mov_b32 s0, 0
	s_mov_b32 s1, exec_lo
	s_delay_alu instid0(VALU_DEP_1) | instskip(NEXT) | instid1(VALU_DEP_1)
	v_max_i32_e32 v3, v1, v20
	v_xad_u32 v3, v17, -1, v3
	s_delay_alu instid0(VALU_DEP_1) | instskip(NEXT) | instid1(VALU_DEP_1)
	v_sub_nc_u32_e32 v2, v3, v2
                                        ; implicit-def: $vgpr3
	v_cmpx_lt_u32_e32 15, v2
	s_xor_b32 s12, exec_lo, s1
	s_cbranch_execnz .LBB20_104
; %bb.102:
	s_and_not1_saveexec_b32 s1, s12
	s_cbranch_execnz .LBB20_107
.LBB20_103:
	s_or_b32 exec_lo, exec_lo, s1
	s_delay_alu instid0(SALU_CYCLE_1)
	s_and_b32 exec_lo, exec_lo, s0
	s_cbranch_execnz .LBB20_108
	s_branch .LBB20_118
.LBB20_104:
	v_lshrrev_b32_e32 v2, 4, v2
	v_dual_mov_b32 v10, v18 :: v_dual_lshlrev_b32 v3, 1, v19
	v_lshlrev_b32_e32 v23, 1, v21
	v_add_co_u32 v8, vcc_lo, v24, v21
	s_delay_alu instid0(VALU_DEP_4)
	v_add_nc_u32_e32 v6, 1, v2
	s_mov_b32 s0, s6
	s_mov_b32 s1, s6
	;; [unrolled: 1-line block ×4, first 2 shown]
	v_and_b32_e32 v7, 0x1ffffffe, v6
	v_lshlrev_b32_e32 v11, 4, v26
	v_add_co_ci_u32_e32 v9, vcc_lo, v25, v22, vcc_lo
	v_max_f32_e64 v12, s0, s0
	s_delay_alu instid0(VALU_DEP_4) | instskip(NEXT) | instid1(VALU_DEP_4)
	v_mov_b32_e32 v16, v7
	v_add3_u32 v2, v3, v11, v23
	v_lshlrev_b32_e32 v11, 1, v17
	v_max_f32_e64 v13, s1, s1
	v_max_f32_e64 v14, s3, s3
	;; [unrolled: 1-line block ×3, first 2 shown]
	s_mov_b32 s13, 0
	v_add3_u32 v11, v2, v11, 0
	v_mov_b32_e32 v2, v1
	v_mov_b32_e32 v1, v0
.LBB20_105:                             ; =>This Inner Loop Header: Depth=1
	ds_load_u16 v17, v11
	ds_load_u16 v19, v11 offset:32
	v_ashrrev_i32_e32 v25, 31, v1
	v_add_co_u32 v24, vcc_lo, v8, v1
	v_ashrrev_i32_e32 v27, 31, v2
	v_dual_mov_b32 v26, v2 :: v_dual_add_nc_u32 v1, 32, v1
	s_delay_alu instid0(VALU_DEP_4) | instskip(SKIP_1) | instid1(VALU_DEP_3)
	v_add_co_ci_u32_e32 v25, vcc_lo, v9, v25, vcc_lo
	v_add_nc_u32_e32 v11, 64, v11
	v_add_co_u32 v26, s0, v8, v26
	s_delay_alu instid0(VALU_DEP_1) | instskip(SKIP_4) | instid1(VALU_DEP_2)
	v_add_co_ci_u32_e64 v27, s0, v9, v27, s0
	s_waitcnt lgkmcnt(1)
	v_cvt_f32_f16_e32 v17, v17
	s_waitcnt lgkmcnt(0)
	v_cvt_f32_f16_e32 v19, v19
	v_div_scale_f32 v28, null, v18, v18, v17
	s_delay_alu instid0(VALU_DEP_2) | instskip(SKIP_1) | instid1(VALU_DEP_3)
	v_div_scale_f32 v29, null, v10, v10, v19
	v_div_scale_f32 v30, vcc_lo, v17, v18, v17
	v_rcp_f32_e32 v31, v28
	s_delay_alu instid0(VALU_DEP_2) | instskip(SKIP_4) | instid1(VALU_DEP_2)
	v_rcp_f32_e32 v32, v29
	v_div_scale_f32 v33, s1, v19, v10, v19
	s_waitcnt_depctr 0xfff
	v_fma_f32 v34, -v28, v31, 1.0
	v_fma_f32 v35, -v29, v32, 1.0
	v_dual_fmac_f32 v31, v34, v31 :: v_dual_add_nc_u32 v2, 32, v2
	s_delay_alu instid0(VALU_DEP_2) | instskip(NEXT) | instid1(VALU_DEP_1)
	v_fmac_f32_e32 v32, v35, v32
	v_dual_mul_f32 v34, v30, v31 :: v_dual_mul_f32 v35, v33, v32
	s_delay_alu instid0(VALU_DEP_1) | instskip(NEXT) | instid1(VALU_DEP_2)
	v_fma_f32 v36, -v28, v34, v30
	v_fma_f32 v37, -v29, v35, v33
	s_delay_alu instid0(VALU_DEP_1) | instskip(NEXT) | instid1(VALU_DEP_1)
	v_dual_fmac_f32 v34, v36, v31 :: v_dual_fmac_f32 v35, v37, v32
	v_fma_f32 v28, -v28, v34, v30
	s_delay_alu instid0(VALU_DEP_2) | instskip(NEXT) | instid1(VALU_DEP_2)
	v_fma_f32 v29, -v29, v35, v33
	v_div_fmas_f32 v28, v28, v31, v34
	s_mov_b32 vcc_lo, s1
	s_delay_alu instid0(VALU_DEP_2) | instskip(NEXT) | instid1(VALU_DEP_2)
	v_div_fmas_f32 v29, v29, v32, v35
	v_div_fixup_f32 v17, v28, v18, v17
	s_delay_alu instid0(VALU_DEP_2) | instskip(NEXT) | instid1(VALU_DEP_2)
	v_div_fixup_f32 v19, v29, v10, v19
	v_maxmin_f32 v17, v17, v12, v15
	s_delay_alu instid0(VALU_DEP_2) | instskip(NEXT) | instid1(VALU_DEP_2)
	v_maxmin_f32 v19, v19, v13, v14
	v_bfe_u32 v29, v17, 20, 1
	v_and_b32_e32 v28, 0x7fffffff, v17
	v_add_f32_e64 v30, 0x46000000, |v17|
	s_delay_alu instid0(VALU_DEP_4)
	v_bfe_u32 v33, v19, 20, 1
	v_and_b32_e32 v32, 0x7fffffff, v19
	v_lshrrev_b32_e32 v31, 24, v17
	v_add3_u32 v17, v17, v29, 0x487ffff
	v_add_f32_e64 v34, 0x46000000, |v19|
	v_lshrrev_b32_e32 v35, 24, v19
	v_add3_u32 v19, v19, v33, 0x487ffff
	v_cmp_gt_u32_e32 vcc_lo, 0x43800000, v28
	v_cmp_gt_u32_e64 s1, 0x3c000000, v28
	v_cmp_gt_u32_e64 s2, 0x43800000, v32
	;; [unrolled: 1-line block ×3, first 2 shown]
	v_lshrrev_b32_e32 v17, 20, v17
	v_lshrrev_b32_e32 v19, 20, v19
	s_xor_b32 s4, s1, vcc_lo
	v_and_b32_e32 v28, 0xff, v30
	s_xor_b32 s5, s3, s2
	v_cndmask_b32_e64 v17, v30, v17, s4
	v_cndmask_b32_e64 v19, v34, v19, s5
	v_and_b32_e32 v29, 0xff, v34
	v_cmp_eq_u32_e64 s0, 0, v28
	s_delay_alu instid0(VALU_DEP_4) | instskip(NEXT) | instid1(VALU_DEP_4)
	v_and_or_b32 v17, 0x80, v31, v17
	v_and_or_b32 v19, 0x80, v35, v19
	v_add_nc_u32_e32 v16, -2, v16
	v_cmp_eq_u32_e64 s4, 0, v29
	s_and_b32 s0, s1, s0
	v_cndmask_b32_e32 v17, 0xffffff80, v17, vcc_lo
	v_cndmask_b32_e64 v19, 0xffffff80, v19, s2
	v_cmp_eq_u32_e32 vcc_lo, 0, v16
	s_and_b32 s1, s3, s4
	s_delay_alu instid0(VALU_DEP_3) | instskip(NEXT) | instid1(VALU_DEP_3)
	v_cndmask_b32_e64 v17, v17, 0, s0
	v_cndmask_b32_e64 v19, v19, 0, s1
	s_or_b32 s13, vcc_lo, s13
	s_clause 0x1
	global_store_b8 v[24:25], v17, off
	global_store_b8 v[26:27], v19, off
	s_and_not1_b32 exec_lo, exec_lo, s13
	s_cbranch_execnz .LBB20_105
; %bb.106:
	s_or_b32 exec_lo, exec_lo, s13
	v_cmp_ne_u32_e32 vcc_lo, v6, v7
	v_lshl_add_u32 v0, v7, 4, v0
                                        ; implicit-def: $vgpr19
	s_and_b32 s0, vcc_lo, exec_lo
	s_and_not1_saveexec_b32 s1, s12
	s_cbranch_execz .LBB20_103
.LBB20_107:
	v_lshlrev_b32_e32 v3, 1, v19
	s_or_b32 s0, s0, exec_lo
	s_or_b32 exec_lo, exec_lo, s1
	s_delay_alu instid0(SALU_CYCLE_1)
	s_and_b32 exec_lo, exec_lo, s0
	s_cbranch_execz .LBB20_118
.LBB20_108:
	v_add_co_u32 v1, vcc_lo, v21, v4
	v_add_co_ci_u32_e32 v2, vcc_lo, v22, v5, vcc_lo
	v_ashrrev_i32_e32 v4, 31, v0
	s_delay_alu instid0(VALU_DEP_3) | instskip(SKIP_2) | instid1(VALU_DEP_4)
	v_add_co_u32 v1, vcc_lo, v1, v0
	v_lshl_add_u32 v3, v0, 1, v3
	v_max_f32_e64 v5, s7, s7
	v_add_co_ci_u32_e32 v2, vcc_lo, v2, v4, vcc_lo
	s_delay_alu instid0(VALU_DEP_4) | instskip(NEXT) | instid1(VALU_DEP_4)
	v_add_co_u32 v1, vcc_lo, s8, v1
	v_add3_u32 v3, v3, v23, 0
	s_delay_alu instid0(VALU_DEP_3)
	v_add_co_ci_u32_e32 v2, vcc_lo, s9, v2, vcc_lo
	v_max_f32_e64 v4, s6, s6
	s_mov_b32 s1, 0
	s_branch .LBB20_111
.LBB20_109:                             ;   in Loop: Header=BB20_111 Depth=1
	s_or_b32 exec_lo, exec_lo, s3
.LBB20_110:                             ;   in Loop: Header=BB20_111 Depth=1
	s_delay_alu instid0(SALU_CYCLE_1)
	s_or_b32 exec_lo, exec_lo, s0
	v_add_nc_u32_e32 v0, 16, v0
	global_store_b8 v[1:2], v8, off
	v_add_co_u32 v1, s0, v1, 16
	v_add_nc_u32_e32 v3, 32, v3
	v_cmp_ge_i32_e32 vcc_lo, v0, v20
	v_add_co_ci_u32_e64 v2, s0, 0, v2, s0
	s_or_b32 s1, vcc_lo, s1
	s_delay_alu instid0(SALU_CYCLE_1)
	s_and_not1_b32 exec_lo, exec_lo, s1
	s_cbranch_execz .LBB20_118
.LBB20_111:                             ; =>This Inner Loop Header: Depth=1
	ds_load_u16 v6, v3
	s_mov_b32 s0, exec_lo
	s_waitcnt lgkmcnt(0)
	v_cvt_f32_f16_e32 v6, v6
	s_delay_alu instid0(VALU_DEP_1) | instskip(SKIP_1) | instid1(VALU_DEP_2)
	v_div_scale_f32 v7, null, v18, v18, v6
	v_div_scale_f32 v10, vcc_lo, v6, v18, v6
	v_rcp_f32_e32 v8, v7
	s_waitcnt_depctr 0xfff
	v_fma_f32 v9, -v7, v8, 1.0
	s_delay_alu instid0(VALU_DEP_1) | instskip(NEXT) | instid1(VALU_DEP_1)
	v_fmac_f32_e32 v8, v9, v8
	v_mul_f32_e32 v9, v10, v8
	s_delay_alu instid0(VALU_DEP_1) | instskip(NEXT) | instid1(VALU_DEP_1)
	v_fma_f32 v11, -v7, v9, v10
	v_fmac_f32_e32 v9, v11, v8
	s_delay_alu instid0(VALU_DEP_1) | instskip(NEXT) | instid1(VALU_DEP_1)
	v_fma_f32 v7, -v7, v9, v10
	v_div_fmas_f32 v7, v7, v8, v9
	v_mov_b32_e32 v8, 0x80
	s_delay_alu instid0(VALU_DEP_2) | instskip(NEXT) | instid1(VALU_DEP_1)
	v_div_fixup_f32 v6, v7, v18, v6
	v_maxmin_f32 v6, v6, v4, v5
	s_delay_alu instid0(VALU_DEP_1) | instskip(NEXT) | instid1(VALU_DEP_1)
	v_and_b32_e32 v7, 0x7fffffff, v6
	v_cmpx_gt_u32_e32 0x43800000, v7
	s_cbranch_execz .LBB20_110
; %bb.112:                              ;   in Loop: Header=BB20_111 Depth=1
	v_cmp_lt_u32_e32 vcc_lo, 0x3bffffff, v7
	s_mov_b32 s2, 0
                                        ; implicit-def: $vgpr7
	s_and_saveexec_b32 s3, vcc_lo
	s_delay_alu instid0(SALU_CYCLE_1)
	s_xor_b32 s3, exec_lo, s3
	s_cbranch_execnz .LBB20_115
; %bb.113:                              ;   in Loop: Header=BB20_111 Depth=1
	s_or_saveexec_b32 s3, s3
                                        ; implicit-def: $sgpr4
	s_delay_alu instid0(SALU_CYCLE_1)
	s_xor_b32 exec_lo, exec_lo, s3
	s_cbranch_execnz .LBB20_116
.LBB20_114:                             ;   in Loop: Header=BB20_111 Depth=1
	s_or_b32 exec_lo, exec_lo, s3
	v_mov_b32_e32 v8, s4
	s_and_saveexec_b32 s3, s2
	s_cbranch_execz .LBB20_109
	s_branch .LBB20_117
.LBB20_115:                             ;   in Loop: Header=BB20_111 Depth=1
	v_bfe_u32 v7, v6, 20, 1
	s_mov_b32 s2, exec_lo
	s_delay_alu instid0(VALU_DEP_1) | instskip(NEXT) | instid1(VALU_DEP_1)
	v_add3_u32 v7, v6, v7, 0x487ffff
	v_lshrrev_b32_e32 v7, 20, v7
	s_or_saveexec_b32 s3, s3
                                        ; implicit-def: $sgpr4
	s_delay_alu instid0(SALU_CYCLE_1)
	s_xor_b32 exec_lo, exec_lo, s3
	s_cbranch_execz .LBB20_114
.LBB20_116:                             ;   in Loop: Header=BB20_111 Depth=1
	v_add_f32_e64 v7, 0x46000000, |v6|
	s_and_not1_b32 s2, s2, exec_lo
	s_mov_b32 s4, 0
	s_delay_alu instid0(VALU_DEP_1) | instskip(NEXT) | instid1(VALU_DEP_1)
	v_and_b32_e32 v7, 0xff, v7
	v_cmp_ne_u32_e32 vcc_lo, 0, v7
	s_and_b32 s5, vcc_lo, exec_lo
	s_delay_alu instid0(SALU_CYCLE_1)
	s_or_b32 s2, s2, s5
	s_or_b32 exec_lo, exec_lo, s3
	v_mov_b32_e32 v8, s4
	s_and_saveexec_b32 s3, s2
	s_cbranch_execz .LBB20_109
.LBB20_117:                             ;   in Loop: Header=BB20_111 Depth=1
	v_lshrrev_b32_e32 v6, 24, v6
	s_delay_alu instid0(VALU_DEP_1)
	v_and_or_b32 v8, 0x80, v6, v7
	s_branch .LBB20_109
.LBB20_118:
	s_or_b32 exec_lo, exec_lo, s11
                                        ; implicit-def: $vgpr17
                                        ; implicit-def: $vgpr18
                                        ; implicit-def: $vgpr19
                                        ; implicit-def: $vgpr4_vgpr5
.LBB20_119:
	s_and_not1_saveexec_b32 s0, s10
	s_cbranch_execz .LBB20_187
; %bb.120:
	s_ashr_i32 s2, s14, 3
	s_mov_b32 s0, exec_lo
	v_cmpx_gt_i32_e64 s2, v17
	s_cbranch_execz .LBB20_187
; %bb.121:
	v_lshlrev_b32_e32 v0, 3, v17
	v_lshlrev_b32_e32 v1, 1, v19
	;; [unrolled: 1-line block ×3, first 2 shown]
	v_max_f32_e64 v16, s6, s6
	v_max_f32_e64 v19, s7, s7
	v_add_co_u32 v0, vcc_lo, v4, v0
	v_add_co_ci_u32_e32 v3, vcc_lo, 0, v5, vcc_lo
	v_add3_u32 v15, v1, v2, 0
	s_delay_alu instid0(VALU_DEP_3) | instskip(NEXT) | instid1(VALU_DEP_3)
	v_add_co_u32 v4, vcc_lo, s8, v0
	v_add_co_ci_u32_e32 v5, vcc_lo, s9, v3, vcc_lo
	s_mov_b32 s3, 0
	s_branch .LBB20_124
.LBB20_122:                             ;   in Loop: Header=BB20_124 Depth=1
	s_or_b32 exec_lo, exec_lo, s0
.LBB20_123:                             ;   in Loop: Header=BB20_124 Depth=1
	s_delay_alu instid0(SALU_CYCLE_1)
	s_or_b32 exec_lo, exec_lo, s4
	v_lshlrev_b32_e32 v2, 16, v13
	v_lshlrev_b32_e32 v3, 16, v11
	;; [unrolled: 1-line block ×5, first 2 shown]
	v_and_b32_e32 v2, 0xff0000, v2
	v_perm_b32 v3, v9, v3, 0x4020c0c
	v_and_b32_e32 v0, 0xff, v0
	v_and_b32_e32 v8, 0xff, v8
	;; [unrolled: 1-line block ×3, first 2 shown]
	v_or_b32_e32 v1, v1, v2
	v_and_or_b32 v2, 0xff00, v6, v3
	v_add_nc_u32_e32 v17, 16, v17
	v_add_nc_u32_e32 v15, 0x100, v15
	s_delay_alu instid0(VALU_DEP_4) | instskip(NEXT) | instid1(VALU_DEP_4)
	v_or3_b32 v1, v1, v7, v0
	v_or_b32_e32 v0, v2, v8
	s_delay_alu instid0(VALU_DEP_4) | instskip(SKIP_2) | instid1(VALU_DEP_1)
	v_cmp_le_i32_e32 vcc_lo, s2, v17
	global_store_b64 v[4:5], v[0:1], off
	v_add_co_u32 v4, s0, 0x80, v4
	v_add_co_ci_u32_e64 v5, s0, 0, v5, s0
	s_or_b32 s3, vcc_lo, s3
	s_delay_alu instid0(SALU_CYCLE_1)
	s_and_not1_b32 exec_lo, exec_lo, s3
	s_cbranch_execz .LBB20_187
.LBB20_124:                             ; =>This Inner Loop Header: Depth=1
	ds_load_b128 v[0:3], v15
	s_mov_b32 s4, exec_lo
	s_waitcnt lgkmcnt(0)
	v_cvt_f32_f16_e32 v6, v0
	s_delay_alu instid0(VALU_DEP_1) | instskip(SKIP_1) | instid1(VALU_DEP_2)
	v_div_scale_f32 v7, null, v18, v18, v6
	v_div_scale_f32 v10, vcc_lo, v6, v18, v6
	v_rcp_f32_e32 v8, v7
	s_waitcnt_depctr 0xfff
	v_fma_f32 v9, -v7, v8, 1.0
	s_delay_alu instid0(VALU_DEP_1) | instskip(NEXT) | instid1(VALU_DEP_1)
	v_fmac_f32_e32 v8, v9, v8
	v_mul_f32_e32 v9, v10, v8
	s_delay_alu instid0(VALU_DEP_1) | instskip(NEXT) | instid1(VALU_DEP_1)
	v_fma_f32 v11, -v7, v9, v10
	v_fmac_f32_e32 v9, v11, v8
	s_delay_alu instid0(VALU_DEP_1) | instskip(NEXT) | instid1(VALU_DEP_1)
	v_fma_f32 v7, -v7, v9, v10
	v_div_fmas_f32 v7, v7, v8, v9
	s_delay_alu instid0(VALU_DEP_1) | instskip(NEXT) | instid1(VALU_DEP_1)
	v_div_fixup_f32 v6, v7, v18, v6
	v_maxmin_f32 v10, v6, v16, v19
	v_mov_b32_e32 v6, 0x80
	v_mov_b32_e32 v7, 0
	s_delay_alu instid0(VALU_DEP_3) | instskip(NEXT) | instid1(VALU_DEP_2)
	v_and_b32_e32 v11, 0x7fffffff, v10
	v_dual_mov_b32 v9, v7 :: v_dual_mov_b32 v8, v6
	s_delay_alu instid0(VALU_DEP_2)
	v_cmpx_gt_u32_e32 0x43800000, v11
	s_cbranch_execz .LBB20_132
; %bb.125:                              ;   in Loop: Header=BB20_124 Depth=1
	s_mov_b32 s5, 0
	s_mov_b32 s0, exec_lo
                                        ; implicit-def: $vgpr7
	v_cmpx_lt_u32_e32 0x3bffffff, v11
	s_xor_b32 s0, exec_lo, s0
; %bb.126:                              ;   in Loop: Header=BB20_124 Depth=1
	v_bfe_u32 v7, v10, 20, 1
	s_mov_b32 s5, exec_lo
	s_delay_alu instid0(VALU_DEP_1) | instskip(NEXT) | instid1(VALU_DEP_1)
	v_add3_u32 v7, v10, v7, 0x487ffff
	v_lshrrev_b32_e32 v7, 20, v7
; %bb.127:                              ;   in Loop: Header=BB20_124 Depth=1
	s_or_saveexec_b32 s6, s0
                                        ; implicit-def: $sgpr0_sgpr1
	s_delay_alu instid0(SALU_CYCLE_1)
	s_xor_b32 exec_lo, exec_lo, s6
; %bb.128:                              ;   in Loop: Header=BB20_124 Depth=1
	v_add_f32_e64 v7, 0x46000000, |v10|
	s_and_not1_b32 s5, s5, exec_lo
	s_mov_b64 s[0:1], 0
	s_delay_alu instid0(VALU_DEP_1) | instskip(NEXT) | instid1(VALU_DEP_1)
	v_and_b32_e32 v7, 0xff, v7
	v_cmp_ne_u32_e32 vcc_lo, 0, v7
	s_and_b32 s7, vcc_lo, exec_lo
	s_delay_alu instid0(SALU_CYCLE_1)
	s_or_b32 s5, s5, s7
; %bb.129:                              ;   in Loop: Header=BB20_124 Depth=1
	s_or_b32 exec_lo, exec_lo, s6
	v_dual_mov_b32 v9, s1 :: v_dual_mov_b32 v8, s0
	s_and_saveexec_b32 s0, s5
; %bb.130:                              ;   in Loop: Header=BB20_124 Depth=1
	v_lshrrev_b32_e32 v8, 24, v10
	s_delay_alu instid0(VALU_DEP_1)
	v_and_or_b32 v8, 0x80, v8, v7
; %bb.131:                              ;   in Loop: Header=BB20_124 Depth=1
	s_or_b32 exec_lo, exec_lo, s0
.LBB20_132:                             ;   in Loop: Header=BB20_124 Depth=1
	s_delay_alu instid0(SALU_CYCLE_1) | instskip(SKIP_2) | instid1(VALU_DEP_1)
	s_or_b32 exec_lo, exec_lo, s4
	v_lshrrev_b32_e32 v0, 16, v0
	s_mov_b32 s4, exec_lo
	v_cvt_f32_f16_e32 v0, v0
	s_delay_alu instid0(VALU_DEP_1) | instskip(NEXT) | instid1(VALU_DEP_1)
	v_div_scale_f32 v7, null, v18, v18, v0
	v_rcp_f32_e32 v9, v7
	s_waitcnt_depctr 0xfff
	v_fma_f32 v10, -v7, v9, 1.0
	s_delay_alu instid0(VALU_DEP_1) | instskip(SKIP_1) | instid1(VALU_DEP_1)
	v_fmac_f32_e32 v9, v10, v9
	v_div_scale_f32 v10, vcc_lo, v0, v18, v0
	v_mul_f32_e32 v11, v10, v9
	s_delay_alu instid0(VALU_DEP_1) | instskip(NEXT) | instid1(VALU_DEP_1)
	v_fma_f32 v12, -v7, v11, v10
	v_fmac_f32_e32 v11, v12, v9
	s_delay_alu instid0(VALU_DEP_1) | instskip(NEXT) | instid1(VALU_DEP_1)
	v_fma_f32 v7, -v7, v11, v10
	v_div_fmas_f32 v7, v7, v9, v11
	s_delay_alu instid0(VALU_DEP_1) | instskip(NEXT) | instid1(VALU_DEP_1)
	v_div_fixup_f32 v0, v7, v18, v0
	v_maxmin_f32 v0, v0, v16, v19
	s_delay_alu instid0(VALU_DEP_1) | instskip(NEXT) | instid1(VALU_DEP_1)
	v_and_b32_e32 v7, 0x7fffffff, v0
	v_cmpx_gt_u32_e32 0x43800000, v7
	s_cbranch_execz .LBB20_140
; %bb.133:                              ;   in Loop: Header=BB20_124 Depth=1
	s_mov_b32 s5, 0
	s_mov_b32 s0, exec_lo
                                        ; implicit-def: $vgpr9
	v_cmpx_lt_u32_e32 0x3bffffff, v7
	s_xor_b32 s0, exec_lo, s0
; %bb.134:                              ;   in Loop: Header=BB20_124 Depth=1
	v_bfe_u32 v6, v0, 20, 1
	s_mov_b32 s5, exec_lo
	s_delay_alu instid0(VALU_DEP_1) | instskip(NEXT) | instid1(VALU_DEP_1)
	v_add3_u32 v6, v0, v6, 0x487ffff
	v_lshrrev_b32_e32 v9, 20, v6
; %bb.135:                              ;   in Loop: Header=BB20_124 Depth=1
	s_or_saveexec_b32 s6, s0
                                        ; implicit-def: $sgpr0_sgpr1
	s_delay_alu instid0(SALU_CYCLE_1)
	s_xor_b32 exec_lo, exec_lo, s6
; %bb.136:                              ;   in Loop: Header=BB20_124 Depth=1
	v_add_f32_e64 v6, 0x46000000, |v0|
	s_and_not1_b32 s5, s5, exec_lo
	s_mov_b64 s[0:1], 0
	s_delay_alu instid0(VALU_DEP_1) | instskip(NEXT) | instid1(VALU_DEP_1)
	v_and_b32_e32 v9, 0xff, v6
	v_cmp_ne_u32_e32 vcc_lo, 0, v9
	s_and_b32 s7, vcc_lo, exec_lo
	s_delay_alu instid0(SALU_CYCLE_1)
	s_or_b32 s5, s5, s7
; %bb.137:                              ;   in Loop: Header=BB20_124 Depth=1
	s_or_b32 exec_lo, exec_lo, s6
	v_dual_mov_b32 v7, s1 :: v_dual_mov_b32 v6, s0
	s_and_saveexec_b32 s0, s5
; %bb.138:                              ;   in Loop: Header=BB20_124 Depth=1
	v_lshrrev_b32_e32 v0, 24, v0
	s_delay_alu instid0(VALU_DEP_1)
	v_and_or_b32 v6, 0x80, v0, v9
; %bb.139:                              ;   in Loop: Header=BB20_124 Depth=1
	s_or_b32 exec_lo, exec_lo, s0
.LBB20_140:                             ;   in Loop: Header=BB20_124 Depth=1
	s_delay_alu instid0(SALU_CYCLE_1) | instskip(SKIP_2) | instid1(VALU_DEP_1)
	s_or_b32 exec_lo, exec_lo, s4
	v_cvt_f32_f16_e32 v0, v1
	s_mov_b32 s4, exec_lo
	v_div_scale_f32 v7, null, v18, v18, v0
	v_div_scale_f32 v11, vcc_lo, v0, v18, v0
	s_delay_alu instid0(VALU_DEP_2) | instskip(SKIP_2) | instid1(VALU_DEP_1)
	v_rcp_f32_e32 v9, v7
	s_waitcnt_depctr 0xfff
	v_fma_f32 v10, -v7, v9, 1.0
	v_fmac_f32_e32 v9, v10, v9
	s_delay_alu instid0(VALU_DEP_1) | instskip(NEXT) | instid1(VALU_DEP_1)
	v_mul_f32_e32 v10, v11, v9
	v_fma_f32 v12, -v7, v10, v11
	s_delay_alu instid0(VALU_DEP_1) | instskip(NEXT) | instid1(VALU_DEP_1)
	v_fmac_f32_e32 v10, v12, v9
	v_fma_f32 v7, -v7, v10, v11
	s_delay_alu instid0(VALU_DEP_1) | instskip(SKIP_2) | instid1(VALU_DEP_3)
	v_div_fmas_f32 v7, v7, v9, v10
	v_mov_b32_e32 v9, 0x80
	v_mov_b32_e32 v10, 0
	v_div_fixup_f32 v0, v7, v18, v0
	s_delay_alu instid0(VALU_DEP_2) | instskip(NEXT) | instid1(VALU_DEP_2)
	v_dual_mov_b32 v12, v10 :: v_dual_mov_b32 v11, v9
	v_maxmin_f32 v0, v0, v16, v19
	s_delay_alu instid0(VALU_DEP_1) | instskip(NEXT) | instid1(VALU_DEP_1)
	v_and_b32_e32 v7, 0x7fffffff, v0
	v_cmpx_gt_u32_e32 0x43800000, v7
	s_cbranch_execz .LBB20_148
; %bb.141:                              ;   in Loop: Header=BB20_124 Depth=1
	v_cmp_lt_u32_e32 vcc_lo, 0x3bffffff, v7
	s_mov_b32 s5, 0
                                        ; implicit-def: $vgpr7
	s_and_saveexec_b32 s0, vcc_lo
	s_delay_alu instid0(SALU_CYCLE_1)
	s_xor_b32 s0, exec_lo, s0
; %bb.142:                              ;   in Loop: Header=BB20_124 Depth=1
	v_bfe_u32 v7, v0, 20, 1
	s_mov_b32 s5, exec_lo
	s_delay_alu instid0(VALU_DEP_1) | instskip(NEXT) | instid1(VALU_DEP_1)
	v_add3_u32 v7, v0, v7, 0x487ffff
	v_lshrrev_b32_e32 v7, 20, v7
; %bb.143:                              ;   in Loop: Header=BB20_124 Depth=1
	s_or_saveexec_b32 s6, s0
                                        ; implicit-def: $sgpr0_sgpr1
	s_delay_alu instid0(SALU_CYCLE_1)
	s_xor_b32 exec_lo, exec_lo, s6
; %bb.144:                              ;   in Loop: Header=BB20_124 Depth=1
	v_add_f32_e64 v7, 0x46000000, |v0|
	s_and_not1_b32 s5, s5, exec_lo
	s_mov_b64 s[0:1], 0
	s_delay_alu instid0(VALU_DEP_1) | instskip(NEXT) | instid1(VALU_DEP_1)
	v_and_b32_e32 v7, 0xff, v7
	v_cmp_ne_u32_e32 vcc_lo, 0, v7
	s_and_b32 s7, vcc_lo, exec_lo
	s_delay_alu instid0(SALU_CYCLE_1)
	s_or_b32 s5, s5, s7
; %bb.145:                              ;   in Loop: Header=BB20_124 Depth=1
	s_or_b32 exec_lo, exec_lo, s6
	v_dual_mov_b32 v12, s1 :: v_dual_mov_b32 v11, s0
	s_and_saveexec_b32 s0, s5
; %bb.146:                              ;   in Loop: Header=BB20_124 Depth=1
	v_lshrrev_b32_e32 v0, 24, v0
	s_delay_alu instid0(VALU_DEP_1)
	v_and_or_b32 v11, 0x80, v0, v7
; %bb.147:                              ;   in Loop: Header=BB20_124 Depth=1
	s_or_b32 exec_lo, exec_lo, s0
.LBB20_148:                             ;   in Loop: Header=BB20_124 Depth=1
	s_delay_alu instid0(SALU_CYCLE_1) | instskip(SKIP_2) | instid1(VALU_DEP_1)
	s_or_b32 exec_lo, exec_lo, s4
	v_lshrrev_b32_e32 v0, 16, v1
	s_mov_b32 s4, exec_lo
	v_cvt_f32_f16_e32 v0, v0
	s_delay_alu instid0(VALU_DEP_1) | instskip(NEXT) | instid1(VALU_DEP_1)
	v_div_scale_f32 v1, null, v18, v18, v0
	v_rcp_f32_e32 v7, v1
	s_waitcnt_depctr 0xfff
	v_fma_f32 v10, -v1, v7, 1.0
	s_delay_alu instid0(VALU_DEP_1) | instskip(SKIP_1) | instid1(VALU_DEP_1)
	v_fmac_f32_e32 v7, v10, v7
	v_div_scale_f32 v10, vcc_lo, v0, v18, v0
	v_mul_f32_e32 v12, v10, v7
	s_delay_alu instid0(VALU_DEP_1) | instskip(NEXT) | instid1(VALU_DEP_1)
	v_fma_f32 v13, -v1, v12, v10
	v_fmac_f32_e32 v12, v13, v7
	s_delay_alu instid0(VALU_DEP_1) | instskip(NEXT) | instid1(VALU_DEP_1)
	v_fma_f32 v1, -v1, v12, v10
	v_div_fmas_f32 v1, v1, v7, v12
	s_delay_alu instid0(VALU_DEP_1) | instskip(NEXT) | instid1(VALU_DEP_1)
	v_div_fixup_f32 v0, v1, v18, v0
	v_maxmin_f32 v0, v0, v16, v19
	s_delay_alu instid0(VALU_DEP_1) | instskip(NEXT) | instid1(VALU_DEP_1)
	v_and_b32_e32 v1, 0x7fffffff, v0
	v_cmpx_gt_u32_e32 0x43800000, v1
	s_cbranch_execz .LBB20_156
; %bb.149:                              ;   in Loop: Header=BB20_124 Depth=1
	v_cmp_lt_u32_e32 vcc_lo, 0x3bffffff, v1
	s_mov_b32 s5, 0
                                        ; implicit-def: $vgpr1
	s_and_saveexec_b32 s0, vcc_lo
	s_delay_alu instid0(SALU_CYCLE_1)
	s_xor_b32 s0, exec_lo, s0
; %bb.150:                              ;   in Loop: Header=BB20_124 Depth=1
	v_bfe_u32 v1, v0, 20, 1
	s_mov_b32 s5, exec_lo
	s_delay_alu instid0(VALU_DEP_1) | instskip(NEXT) | instid1(VALU_DEP_1)
	v_add3_u32 v1, v0, v1, 0x487ffff
	v_lshrrev_b32_e32 v1, 20, v1
; %bb.151:                              ;   in Loop: Header=BB20_124 Depth=1
	s_or_saveexec_b32 s6, s0
                                        ; implicit-def: $sgpr0_sgpr1
	s_delay_alu instid0(SALU_CYCLE_1)
	s_xor_b32 exec_lo, exec_lo, s6
; %bb.152:                              ;   in Loop: Header=BB20_124 Depth=1
	v_add_f32_e64 v1, 0x46000000, |v0|
	s_and_not1_b32 s5, s5, exec_lo
	s_mov_b64 s[0:1], 0
	s_delay_alu instid0(VALU_DEP_1) | instskip(NEXT) | instid1(VALU_DEP_1)
	v_and_b32_e32 v1, 0xff, v1
	v_cmp_ne_u32_e32 vcc_lo, 0, v1
	s_and_b32 s7, vcc_lo, exec_lo
	s_delay_alu instid0(SALU_CYCLE_1)
	s_or_b32 s5, s5, s7
; %bb.153:                              ;   in Loop: Header=BB20_124 Depth=1
	s_or_b32 exec_lo, exec_lo, s6
	v_dual_mov_b32 v10, s1 :: v_dual_mov_b32 v9, s0
	s_and_saveexec_b32 s0, s5
; %bb.154:                              ;   in Loop: Header=BB20_124 Depth=1
	v_lshrrev_b32_e32 v0, 24, v0
	s_delay_alu instid0(VALU_DEP_1)
	v_and_or_b32 v9, 0x80, v0, v1
; %bb.155:                              ;   in Loop: Header=BB20_124 Depth=1
	s_or_b32 exec_lo, exec_lo, s0
.LBB20_156:                             ;   in Loop: Header=BB20_124 Depth=1
	s_delay_alu instid0(SALU_CYCLE_1) | instskip(SKIP_2) | instid1(VALU_DEP_1)
	s_or_b32 exec_lo, exec_lo, s4
	v_cvt_f32_f16_e32 v0, v2
	s_mov_b32 s4, exec_lo
	v_div_scale_f32 v1, null, v18, v18, v0
	v_div_scale_f32 v12, vcc_lo, v0, v18, v0
	s_delay_alu instid0(VALU_DEP_2) | instskip(SKIP_2) | instid1(VALU_DEP_1)
	v_rcp_f32_e32 v7, v1
	s_waitcnt_depctr 0xfff
	v_fma_f32 v10, -v1, v7, 1.0
	v_fmac_f32_e32 v7, v10, v7
	s_delay_alu instid0(VALU_DEP_1) | instskip(NEXT) | instid1(VALU_DEP_1)
	v_mul_f32_e32 v10, v12, v7
	v_fma_f32 v13, -v1, v10, v12
	s_delay_alu instid0(VALU_DEP_1) | instskip(NEXT) | instid1(VALU_DEP_1)
	v_fmac_f32_e32 v10, v13, v7
	v_fma_f32 v1, -v1, v10, v12
	v_mov_b32_e32 v12, 0x80
	v_mov_b32_e32 v13, 0
	s_delay_alu instid0(VALU_DEP_3) | instskip(NEXT) | instid1(VALU_DEP_1)
	v_div_fmas_f32 v1, v1, v7, v10
	v_div_fixup_f32 v0, v1, v18, v0
	s_delay_alu instid0(VALU_DEP_1) | instskip(NEXT) | instid1(VALU_DEP_4)
	v_maxmin_f32 v7, v0, v16, v19
	v_dual_mov_b32 v0, v12 :: v_dual_mov_b32 v1, v13
	s_delay_alu instid0(VALU_DEP_2) | instskip(NEXT) | instid1(VALU_DEP_1)
	v_and_b32_e32 v10, 0x7fffffff, v7
	v_cmpx_gt_u32_e32 0x43800000, v10
	s_cbranch_execz .LBB20_164
; %bb.157:                              ;   in Loop: Header=BB20_124 Depth=1
	v_cmp_lt_u32_e32 vcc_lo, 0x3bffffff, v10
	s_mov_b32 s5, 0
                                        ; implicit-def: $vgpr10
	s_and_saveexec_b32 s0, vcc_lo
	s_delay_alu instid0(SALU_CYCLE_1)
	s_xor_b32 s0, exec_lo, s0
; %bb.158:                              ;   in Loop: Header=BB20_124 Depth=1
	v_bfe_u32 v0, v7, 20, 1
	s_mov_b32 s5, exec_lo
	s_delay_alu instid0(VALU_DEP_1) | instskip(NEXT) | instid1(VALU_DEP_1)
	v_add3_u32 v0, v7, v0, 0x487ffff
	v_lshrrev_b32_e32 v10, 20, v0
; %bb.159:                              ;   in Loop: Header=BB20_124 Depth=1
	s_or_saveexec_b32 s6, s0
                                        ; implicit-def: $sgpr0_sgpr1
	s_delay_alu instid0(SALU_CYCLE_1)
	s_xor_b32 exec_lo, exec_lo, s6
; %bb.160:                              ;   in Loop: Header=BB20_124 Depth=1
	v_add_f32_e64 v0, 0x46000000, |v7|
	s_and_not1_b32 s5, s5, exec_lo
	s_mov_b64 s[0:1], 0
	s_delay_alu instid0(VALU_DEP_1) | instskip(NEXT) | instid1(VALU_DEP_1)
	v_and_b32_e32 v10, 0xff, v0
	v_cmp_ne_u32_e32 vcc_lo, 0, v10
	s_and_b32 s7, vcc_lo, exec_lo
	s_delay_alu instid0(SALU_CYCLE_1)
	s_or_b32 s5, s5, s7
; %bb.161:                              ;   in Loop: Header=BB20_124 Depth=1
	s_or_b32 exec_lo, exec_lo, s6
	v_dual_mov_b32 v0, s0 :: v_dual_mov_b32 v1, s1
	s_and_saveexec_b32 s0, s5
; %bb.162:                              ;   in Loop: Header=BB20_124 Depth=1
	v_lshrrev_b32_e32 v0, 24, v7
	s_delay_alu instid0(VALU_DEP_1)
	v_and_or_b32 v0, 0x80, v0, v10
; %bb.163:                              ;   in Loop: Header=BB20_124 Depth=1
	s_or_b32 exec_lo, exec_lo, s0
.LBB20_164:                             ;   in Loop: Header=BB20_124 Depth=1
	s_delay_alu instid0(SALU_CYCLE_1) | instskip(SKIP_2) | instid1(VALU_DEP_1)
	s_or_b32 exec_lo, exec_lo, s4
	v_lshrrev_b32_e32 v1, 16, v2
	s_mov_b32 s4, exec_lo
	v_cvt_f32_f16_e32 v1, v1
	s_delay_alu instid0(VALU_DEP_1) | instskip(NEXT) | instid1(VALU_DEP_1)
	v_div_scale_f32 v2, null, v18, v18, v1
	v_rcp_f32_e32 v7, v2
	s_waitcnt_depctr 0xfff
	v_fma_f32 v10, -v2, v7, 1.0
	s_delay_alu instid0(VALU_DEP_1) | instskip(SKIP_1) | instid1(VALU_DEP_1)
	v_fmac_f32_e32 v7, v10, v7
	v_div_scale_f32 v10, vcc_lo, v1, v18, v1
	v_mul_f32_e32 v13, v10, v7
	s_delay_alu instid0(VALU_DEP_1) | instskip(NEXT) | instid1(VALU_DEP_1)
	v_fma_f32 v14, -v2, v13, v10
	v_fmac_f32_e32 v13, v14, v7
	s_delay_alu instid0(VALU_DEP_1) | instskip(NEXT) | instid1(VALU_DEP_1)
	v_fma_f32 v2, -v2, v13, v10
	v_div_fmas_f32 v2, v2, v7, v13
	s_delay_alu instid0(VALU_DEP_1) | instskip(NEXT) | instid1(VALU_DEP_1)
	v_div_fixup_f32 v1, v2, v18, v1
	v_maxmin_f32 v1, v1, v16, v19
	s_delay_alu instid0(VALU_DEP_1) | instskip(NEXT) | instid1(VALU_DEP_1)
	v_and_b32_e32 v2, 0x7fffffff, v1
	v_cmpx_gt_u32_e32 0x43800000, v2
	s_cbranch_execz .LBB20_172
; %bb.165:                              ;   in Loop: Header=BB20_124 Depth=1
	v_cmp_lt_u32_e32 vcc_lo, 0x3bffffff, v2
	s_mov_b32 s5, 0
                                        ; implicit-def: $vgpr2
	s_and_saveexec_b32 s0, vcc_lo
	s_delay_alu instid0(SALU_CYCLE_1)
	s_xor_b32 s0, exec_lo, s0
; %bb.166:                              ;   in Loop: Header=BB20_124 Depth=1
	v_bfe_u32 v2, v1, 20, 1
	s_mov_b32 s5, exec_lo
	s_delay_alu instid0(VALU_DEP_1) | instskip(NEXT) | instid1(VALU_DEP_1)
	v_add3_u32 v2, v1, v2, 0x487ffff
	v_lshrrev_b32_e32 v2, 20, v2
; %bb.167:                              ;   in Loop: Header=BB20_124 Depth=1
	s_or_saveexec_b32 s6, s0
                                        ; implicit-def: $sgpr0_sgpr1
	s_delay_alu instid0(SALU_CYCLE_1)
	s_xor_b32 exec_lo, exec_lo, s6
; %bb.168:                              ;   in Loop: Header=BB20_124 Depth=1
	v_add_f32_e64 v2, 0x46000000, |v1|
	s_and_not1_b32 s5, s5, exec_lo
	s_mov_b64 s[0:1], 0
	s_delay_alu instid0(VALU_DEP_1) | instskip(NEXT) | instid1(VALU_DEP_1)
	v_and_b32_e32 v2, 0xff, v2
	v_cmp_ne_u32_e32 vcc_lo, 0, v2
	s_and_b32 s7, vcc_lo, exec_lo
	s_delay_alu instid0(SALU_CYCLE_1)
	s_or_b32 s5, s5, s7
; %bb.169:                              ;   in Loop: Header=BB20_124 Depth=1
	s_or_b32 exec_lo, exec_lo, s6
	v_dual_mov_b32 v13, s1 :: v_dual_mov_b32 v12, s0
	s_and_saveexec_b32 s0, s5
; %bb.170:                              ;   in Loop: Header=BB20_124 Depth=1
	v_lshrrev_b32_e32 v1, 24, v1
	s_delay_alu instid0(VALU_DEP_1)
	v_and_or_b32 v12, 0x80, v1, v2
; %bb.171:                              ;   in Loop: Header=BB20_124 Depth=1
	s_or_b32 exec_lo, exec_lo, s0
.LBB20_172:                             ;   in Loop: Header=BB20_124 Depth=1
	s_delay_alu instid0(SALU_CYCLE_1) | instskip(SKIP_2) | instid1(VALU_DEP_1)
	s_or_b32 exec_lo, exec_lo, s4
	v_cvt_f32_f16_e32 v1, v3
	s_mov_b32 s4, exec_lo
	v_div_scale_f32 v2, null, v18, v18, v1
	v_div_scale_f32 v13, vcc_lo, v1, v18, v1
	s_delay_alu instid0(VALU_DEP_2) | instskip(SKIP_2) | instid1(VALU_DEP_1)
	v_rcp_f32_e32 v7, v2
	s_waitcnt_depctr 0xfff
	v_fma_f32 v10, -v2, v7, 1.0
	v_fmac_f32_e32 v7, v10, v7
	s_delay_alu instid0(VALU_DEP_1) | instskip(NEXT) | instid1(VALU_DEP_1)
	v_mul_f32_e32 v10, v13, v7
	v_fma_f32 v14, -v2, v10, v13
	s_delay_alu instid0(VALU_DEP_1) | instskip(NEXT) | instid1(VALU_DEP_1)
	v_fmac_f32_e32 v10, v14, v7
	v_fma_f32 v2, -v2, v10, v13
	s_delay_alu instid0(VALU_DEP_1) | instskip(NEXT) | instid1(VALU_DEP_1)
	v_div_fmas_f32 v2, v2, v7, v10
	v_div_fixup_f32 v1, v2, v18, v1
	s_delay_alu instid0(VALU_DEP_1) | instskip(SKIP_2) | instid1(VALU_DEP_3)
	v_maxmin_f32 v7, v1, v16, v19
	v_mov_b32_e32 v1, 0x80
	v_mov_b32_e32 v2, 0
	v_and_b32_e32 v10, 0x7fffffff, v7
	s_delay_alu instid0(VALU_DEP_2) | instskip(NEXT) | instid1(VALU_DEP_2)
	v_dual_mov_b32 v14, v2 :: v_dual_mov_b32 v13, v1
	v_cmpx_gt_u32_e32 0x43800000, v10
	s_cbranch_execz .LBB20_180
; %bb.173:                              ;   in Loop: Header=BB20_124 Depth=1
	s_mov_b32 s5, 0
	s_mov_b32 s0, exec_lo
                                        ; implicit-def: $vgpr2
	v_cmpx_lt_u32_e32 0x3bffffff, v10
	s_xor_b32 s0, exec_lo, s0
; %bb.174:                              ;   in Loop: Header=BB20_124 Depth=1
	v_bfe_u32 v2, v7, 20, 1
	s_mov_b32 s5, exec_lo
	s_delay_alu instid0(VALU_DEP_1) | instskip(NEXT) | instid1(VALU_DEP_1)
	v_add3_u32 v2, v7, v2, 0x487ffff
	v_lshrrev_b32_e32 v2, 20, v2
; %bb.175:                              ;   in Loop: Header=BB20_124 Depth=1
	s_or_saveexec_b32 s6, s0
                                        ; implicit-def: $sgpr0_sgpr1
	s_delay_alu instid0(SALU_CYCLE_1)
	s_xor_b32 exec_lo, exec_lo, s6
; %bb.176:                              ;   in Loop: Header=BB20_124 Depth=1
	v_add_f32_e64 v2, 0x46000000, |v7|
	s_and_not1_b32 s5, s5, exec_lo
	s_mov_b64 s[0:1], 0
	s_delay_alu instid0(VALU_DEP_1) | instskip(NEXT) | instid1(VALU_DEP_1)
	v_and_b32_e32 v2, 0xff, v2
	v_cmp_ne_u32_e32 vcc_lo, 0, v2
	s_and_b32 s7, vcc_lo, exec_lo
	s_delay_alu instid0(SALU_CYCLE_1)
	s_or_b32 s5, s5, s7
; %bb.177:                              ;   in Loop: Header=BB20_124 Depth=1
	s_or_b32 exec_lo, exec_lo, s6
	v_dual_mov_b32 v14, s1 :: v_dual_mov_b32 v13, s0
	s_and_saveexec_b32 s0, s5
; %bb.178:                              ;   in Loop: Header=BB20_124 Depth=1
	v_lshrrev_b32_e32 v7, 24, v7
	s_delay_alu instid0(VALU_DEP_1)
	v_and_or_b32 v13, 0x80, v7, v2
; %bb.179:                              ;   in Loop: Header=BB20_124 Depth=1
	s_or_b32 exec_lo, exec_lo, s0
.LBB20_180:                             ;   in Loop: Header=BB20_124 Depth=1
	s_delay_alu instid0(SALU_CYCLE_1) | instskip(SKIP_2) | instid1(VALU_DEP_1)
	s_or_b32 exec_lo, exec_lo, s4
	v_lshrrev_b32_e32 v2, 16, v3
	s_mov_b32 s4, exec_lo
	v_cvt_f32_f16_e32 v2, v2
	s_delay_alu instid0(VALU_DEP_1) | instskip(NEXT) | instid1(VALU_DEP_1)
	v_div_scale_f32 v3, null, v18, v18, v2
	v_rcp_f32_e32 v7, v3
	s_waitcnt_depctr 0xfff
	v_fma_f32 v10, -v3, v7, 1.0
	s_delay_alu instid0(VALU_DEP_1) | instskip(SKIP_1) | instid1(VALU_DEP_1)
	v_fmac_f32_e32 v7, v10, v7
	v_div_scale_f32 v10, vcc_lo, v2, v18, v2
	v_mul_f32_e32 v14, v10, v7
	s_delay_alu instid0(VALU_DEP_1) | instskip(NEXT) | instid1(VALU_DEP_1)
	v_fma_f32 v20, -v3, v14, v10
	v_fmac_f32_e32 v14, v20, v7
	s_delay_alu instid0(VALU_DEP_1) | instskip(NEXT) | instid1(VALU_DEP_1)
	v_fma_f32 v3, -v3, v14, v10
	v_div_fmas_f32 v3, v3, v7, v14
	s_delay_alu instid0(VALU_DEP_1) | instskip(NEXT) | instid1(VALU_DEP_1)
	v_div_fixup_f32 v2, v3, v18, v2
	v_maxmin_f32 v3, v2, v16, v19
	s_delay_alu instid0(VALU_DEP_1) | instskip(NEXT) | instid1(VALU_DEP_1)
	v_and_b32_e32 v2, 0x7fffffff, v3
	v_cmpx_gt_u32_e32 0x43800000, v2
	s_cbranch_execz .LBB20_123
; %bb.181:                              ;   in Loop: Header=BB20_124 Depth=1
	s_mov_b32 s5, 0
	s_mov_b32 s0, exec_lo
                                        ; implicit-def: $vgpr7
	v_cmpx_lt_u32_e32 0x3bffffff, v2
	s_xor_b32 s0, exec_lo, s0
; %bb.182:                              ;   in Loop: Header=BB20_124 Depth=1
	v_bfe_u32 v1, v3, 20, 1
	s_mov_b32 s5, exec_lo
	s_delay_alu instid0(VALU_DEP_1) | instskip(NEXT) | instid1(VALU_DEP_1)
	v_add3_u32 v1, v3, v1, 0x487ffff
	v_lshrrev_b32_e32 v7, 20, v1
; %bb.183:                              ;   in Loop: Header=BB20_124 Depth=1
	s_or_saveexec_b32 s6, s0
                                        ; implicit-def: $sgpr0_sgpr1
	s_delay_alu instid0(SALU_CYCLE_1)
	s_xor_b32 exec_lo, exec_lo, s6
; %bb.184:                              ;   in Loop: Header=BB20_124 Depth=1
	v_add_f32_e64 v1, 0x46000000, |v3|
	s_and_not1_b32 s5, s5, exec_lo
	s_mov_b64 s[0:1], 0
	s_delay_alu instid0(VALU_DEP_1) | instskip(NEXT) | instid1(VALU_DEP_1)
	v_and_b32_e32 v7, 0xff, v1
	v_cmp_ne_u32_e32 vcc_lo, 0, v7
	s_and_b32 s7, vcc_lo, exec_lo
	s_delay_alu instid0(SALU_CYCLE_1)
	s_or_b32 s5, s5, s7
; %bb.185:                              ;   in Loop: Header=BB20_124 Depth=1
	s_or_b32 exec_lo, exec_lo, s6
	v_dual_mov_b32 v2, s1 :: v_dual_mov_b32 v1, s0
	s_and_saveexec_b32 s0, s5
	s_cbranch_execz .LBB20_122
; %bb.186:                              ;   in Loop: Header=BB20_124 Depth=1
	v_lshrrev_b32_e32 v1, 24, v3
	s_delay_alu instid0(VALU_DEP_1)
	v_and_or_b32 v1, 0x80, v1, v7
	s_branch .LBB20_122
.LBB20_187:
	s_nop 0
	s_sendmsg sendmsg(MSG_DEALLOC_VGPRS)
	s_endpgm
.LBB20_188:
	v_bfe_u32 v1, v0, 20, 1
	s_mov_b32 s2, exec_lo
	s_delay_alu instid0(VALU_DEP_1) | instskip(NEXT) | instid1(VALU_DEP_1)
	v_add3_u32 v1, v0, v1, 0x487ffff
	v_lshrrev_b32_e32 v1, 20, v1
	s_or_saveexec_b32 s3, s3
                                        ; implicit-def: $sgpr4
	s_delay_alu instid0(SALU_CYCLE_1)
	s_xor_b32 exec_lo, exec_lo, s3
	s_cbranch_execz .LBB20_29
.LBB20_189:
	v_add_f32_e64 v1, 0x46000000, |v0|
	s_and_not1_b32 s2, s2, exec_lo
	s_mov_b32 s4, 0
	s_delay_alu instid0(VALU_DEP_1) | instskip(NEXT) | instid1(VALU_DEP_1)
	v_and_b32_e32 v1, 0xff, v1
	v_cmp_ne_u32_e32 vcc_lo, 0, v1
	s_and_b32 s5, vcc_lo, exec_lo
	s_delay_alu instid0(SALU_CYCLE_1)
	s_or_b32 s2, s2, s5
	s_or_b32 exec_lo, exec_lo, s3
	v_mov_b32_e32 v2, s4
	s_and_saveexec_b32 s3, s2
	s_cbranch_execnz .LBB20_30
	s_branch .LBB20_31
	.section	.rodata,"a",@progbits
	.p2align	6, 0x0
	.amdhsa_kernel _Z33per_token_group_quant_8bit_kernelIN3c104HalfENS0_15Float8_e4m3fnuzELb1ELb1EfEvPKT_PvPT3_iiifffii
		.amdhsa_group_segment_fixed_size 0
		.amdhsa_private_segment_fixed_size 0
		.amdhsa_kernarg_size 56
		.amdhsa_user_sgpr_count 15
		.amdhsa_user_sgpr_dispatch_ptr 0
		.amdhsa_user_sgpr_queue_ptr 0
		.amdhsa_user_sgpr_kernarg_segment_ptr 1
		.amdhsa_user_sgpr_dispatch_id 0
		.amdhsa_user_sgpr_private_segment_size 0
		.amdhsa_wavefront_size32 1
		.amdhsa_uses_dynamic_stack 0
		.amdhsa_enable_private_segment 0
		.amdhsa_system_sgpr_workgroup_id_x 1
		.amdhsa_system_sgpr_workgroup_id_y 0
		.amdhsa_system_sgpr_workgroup_id_z 0
		.amdhsa_system_sgpr_workgroup_info 0
		.amdhsa_system_vgpr_workitem_id 0
		.amdhsa_next_free_vgpr 38
		.amdhsa_next_free_sgpr 17
		.amdhsa_reserve_vcc 1
		.amdhsa_float_round_mode_32 0
		.amdhsa_float_round_mode_16_64 0
		.amdhsa_float_denorm_mode_32 3
		.amdhsa_float_denorm_mode_16_64 3
		.amdhsa_dx10_clamp 1
		.amdhsa_ieee_mode 1
		.amdhsa_fp16_overflow 0
		.amdhsa_workgroup_processor_mode 1
		.amdhsa_memory_ordered 1
		.amdhsa_forward_progress 0
		.amdhsa_shared_vgpr_count 0
		.amdhsa_exception_fp_ieee_invalid_op 0
		.amdhsa_exception_fp_denorm_src 0
		.amdhsa_exception_fp_ieee_div_zero 0
		.amdhsa_exception_fp_ieee_overflow 0
		.amdhsa_exception_fp_ieee_underflow 0
		.amdhsa_exception_fp_ieee_inexact 0
		.amdhsa_exception_int_div_zero 0
	.end_amdhsa_kernel
	.section	.text._Z33per_token_group_quant_8bit_kernelIN3c104HalfENS0_15Float8_e4m3fnuzELb1ELb1EfEvPKT_PvPT3_iiifffii,"axG",@progbits,_Z33per_token_group_quant_8bit_kernelIN3c104HalfENS0_15Float8_e4m3fnuzELb1ELb1EfEvPKT_PvPT3_iiifffii,comdat
.Lfunc_end20:
	.size	_Z33per_token_group_quant_8bit_kernelIN3c104HalfENS0_15Float8_e4m3fnuzELb1ELb1EfEvPKT_PvPT3_iiifffii, .Lfunc_end20-_Z33per_token_group_quant_8bit_kernelIN3c104HalfENS0_15Float8_e4m3fnuzELb1ELb1EfEvPKT_PvPT3_iiifffii
                                        ; -- End function
	.section	.AMDGPU.csdata,"",@progbits
; Kernel info:
; codeLenInByte = 10192
; NumSgprs: 19
; NumVgprs: 38
; ScratchSize: 0
; MemoryBound: 0
; FloatMode: 240
; IeeeMode: 1
; LDSByteSize: 0 bytes/workgroup (compile time only)
; SGPRBlocks: 2
; VGPRBlocks: 4
; NumSGPRsForWavesPerEU: 19
; NumVGPRsForWavesPerEU: 38
; Occupancy: 16
; WaveLimiterHint : 0
; COMPUTE_PGM_RSRC2:SCRATCH_EN: 0
; COMPUTE_PGM_RSRC2:USER_SGPR: 15
; COMPUTE_PGM_RSRC2:TRAP_HANDLER: 0
; COMPUTE_PGM_RSRC2:TGID_X_EN: 1
; COMPUTE_PGM_RSRC2:TGID_Y_EN: 0
; COMPUTE_PGM_RSRC2:TGID_Z_EN: 0
; COMPUTE_PGM_RSRC2:TIDIG_COMP_CNT: 0
	.section	.text._Z33per_token_group_quant_8bit_kernelIN3c104HalfENS0_15Float8_e4m3fnuzELb1ELb0EfEvPKT_PvPT3_iiifffii,"axG",@progbits,_Z33per_token_group_quant_8bit_kernelIN3c104HalfENS0_15Float8_e4m3fnuzELb1ELb0EfEvPKT_PvPT3_iiifffii,comdat
	.protected	_Z33per_token_group_quant_8bit_kernelIN3c104HalfENS0_15Float8_e4m3fnuzELb1ELb0EfEvPKT_PvPT3_iiifffii ; -- Begin function _Z33per_token_group_quant_8bit_kernelIN3c104HalfENS0_15Float8_e4m3fnuzELb1ELb0EfEvPKT_PvPT3_iiifffii
	.globl	_Z33per_token_group_quant_8bit_kernelIN3c104HalfENS0_15Float8_e4m3fnuzELb1ELb0EfEvPKT_PvPT3_iiifffii
	.p2align	8
	.type	_Z33per_token_group_quant_8bit_kernelIN3c104HalfENS0_15Float8_e4m3fnuzELb1ELb0EfEvPKT_PvPT3_iiifffii,@function
_Z33per_token_group_quant_8bit_kernelIN3c104HalfENS0_15Float8_e4m3fnuzELb1ELb0EfEvPKT_PvPT3_iiifffii: ; @_Z33per_token_group_quant_8bit_kernelIN3c104HalfENS0_15Float8_e4m3fnuzELb1ELb0EfEvPKT_PvPT3_iiifffii
; %bb.0:
	s_clause 0x1
	s_load_b128 s[4:7], s[0:1], 0x20
	s_load_b32 s14, s[0:1], 0x18
	v_lshrrev_b32_e32 v3, 4, v0
	s_clause 0x1
	s_load_b64 s[2:3], s[0:1], 0x30
	s_load_b64 s[8:9], s[0:1], 0x0
	v_and_b32_e32 v17, 15, v0
                                        ; implicit-def: $vgpr12
	s_waitcnt lgkmcnt(0)
	s_mul_i32 s15, s15, s4
	v_mul_lo_u32 v19, v3, s14
	v_add_co_u32 v10, s4, s15, v3
	s_delay_alu instid0(VALU_DEP_1) | instskip(SKIP_1) | instid1(VALU_DEP_2)
	v_add_co_ci_u32_e64 v11, null, 0, 0, s4
	s_ashr_i32 s4, s14, 31
	v_mad_u64_u32 v[4:5], null, v10, s14, 0
	s_delay_alu instid0(VALU_DEP_2)
	v_mul_lo_u32 v1, v11, s14
	v_mul_lo_u32 v2, v10, s4
	s_and_b32 s4, s14, 7
	v_lshl_add_u32 v3, v19, 1, 0
	s_cmp_eq_u32 s4, 0
	s_cselect_b32 s15, -1, 0
	s_cmp_lg_u32 s4, 0
	s_delay_alu instid0(VALU_DEP_2) | instskip(SKIP_1) | instid1(VALU_DEP_1)
	v_add3_u32 v5, v5, v2, v1
	s_cselect_b32 s4, -1, 0
	v_lshlrev_b64 v[1:2], 1, v[4:5]
	s_delay_alu instid0(VALU_DEP_1) | instskip(SKIP_1) | instid1(VALU_DEP_3)
	v_add_co_u32 v6, vcc_lo, s8, v1
	v_mov_b32_e32 v9, 0
	v_add_co_ci_u32_e32 v7, vcc_lo, s9, v2, vcc_lo
	s_delay_alu instid0(VALU_DEP_3) | instskip(NEXT) | instid1(VALU_DEP_1)
	v_and_b32_e32 v8, 15, v6
	v_cmp_ne_u64_e32 vcc_lo, 0, v[8:9]
	s_or_b32 s4, s4, vcc_lo
	s_delay_alu instid0(SALU_CYCLE_1) | instskip(NEXT) | instid1(SALU_CYCLE_1)
	s_and_saveexec_b32 s10, s4
	s_xor_b32 s4, exec_lo, s10
	s_cbranch_execz .LBB21_12
; %bb.1:
	v_sub_nc_u32_e32 v0, 0, v6
	v_mov_b32_e32 v12, s5
	s_mov_b32 s10, exec_lo
	s_delay_alu instid0(VALU_DEP_2) | instskip(NEXT) | instid1(VALU_DEP_1)
	v_bfe_u32 v0, v0, 1, 3
	v_min_i32_e32 v8, s14, v0
	s_delay_alu instid0(VALU_DEP_1)
	v_cmpx_gt_i32_e64 v8, v17
	s_cbranch_execz .LBB21_3
; %bb.2:
	v_lshlrev_b32_e32 v0, 1, v17
	v_max_f32_e64 v9, s5, s5
	s_delay_alu instid0(VALU_DEP_2)
	v_add_co_u32 v6, vcc_lo, v6, v0
	v_add_co_ci_u32_e32 v7, vcc_lo, 0, v7, vcc_lo
	v_add_nc_u32_e32 v0, v3, v0
	global_load_u16 v6, v[6:7], off
	s_waitcnt vmcnt(0)
	v_cvt_f32_f16_e64 v7, |v6|
	ds_store_b16 v0, v6
	v_max_f32_e32 v12, v9, v7
.LBB21_3:
	s_or_b32 exec_lo, exec_lo, s10
	v_sub_nc_u32_e32 v13, s14, v8
	v_ashrrev_i32_e32 v9, 31, v8
	s_mov_b32 s10, exec_lo
	s_delay_alu instid0(VALU_DEP_2) | instskip(NEXT) | instid1(VALU_DEP_2)
	v_ashrrev_i32_e32 v0, 31, v13
	v_lshlrev_b64 v[6:7], 1, v[8:9]
	s_delay_alu instid0(VALU_DEP_2) | instskip(NEXT) | instid1(VALU_DEP_1)
	v_lshrrev_b32_e32 v0, 29, v0
	v_add_nc_u32_e32 v0, v13, v0
	s_delay_alu instid0(VALU_DEP_1) | instskip(SKIP_1) | instid1(VALU_DEP_2)
	v_ashrrev_i32_e32 v14, 3, v0
	v_lshlrev_b32_e32 v0, 1, v8
	v_cmpx_gt_i32_e64 v14, v17
	s_cbranch_execz .LBB21_7
; %bb.4:
	v_lshlrev_b32_e32 v8, 4, v17
	s_mov_b32 s11, 0
	s_delay_alu instid0(VALU_DEP_1) | instskip(SKIP_2) | instid1(VALU_DEP_3)
	v_add_co_u32 v9, vcc_lo, v1, v8
	v_add_co_ci_u32_e32 v15, vcc_lo, 0, v2, vcc_lo
	v_lshl_add_u32 v8, v19, 1, v8
	v_add_co_u32 v9, vcc_lo, v9, v6
	s_delay_alu instid0(VALU_DEP_3) | instskip(NEXT) | instid1(VALU_DEP_2)
	v_add_co_ci_u32_e32 v15, vcc_lo, v15, v7, vcc_lo
	v_add_co_u32 v9, vcc_lo, v9, s8
	s_delay_alu instid0(VALU_DEP_2) | instskip(SKIP_1) | instid1(VALU_DEP_3)
	v_add_co_ci_u32_e32 v16, vcc_lo, s9, v15, vcc_lo
	v_add3_u32 v15, v8, v0, 0
	v_add_co_u32 v8, vcc_lo, v9, 8
	s_delay_alu instid0(VALU_DEP_3)
	v_add_co_ci_u32_e32 v9, vcc_lo, 0, v16, vcc_lo
	v_mov_b32_e32 v16, v17
	s_set_inst_prefetch_distance 0x1
	.p2align	6
.LBB21_5:                               ; =>This Inner Loop Header: Depth=1
	global_load_b128 v[20:23], v[8:9], off offset:-8
	v_add_nc_u32_e32 v16, 16, v16
	v_add_co_u32 v8, vcc_lo, 0x100, v8
	v_add_co_ci_u32_e32 v9, vcc_lo, 0, v9, vcc_lo
	s_delay_alu instid0(VALU_DEP_3)
	v_cmp_ge_i32_e32 vcc_lo, v16, v14
	s_or_b32 s11, vcc_lo, s11
	s_waitcnt vmcnt(0)
	v_lshrrev_b32_e32 v18, 16, v20
	v_cvt_f32_f16_e64 v24, |v20|
	v_lshrrev_b32_e32 v25, 16, v21
	v_cvt_f32_f16_e64 v26, |v21|
	;; [unrolled: 2-line block ×3, first 2 shown]
	ds_store_b128 v15, v[20:23]
	v_cvt_f32_f16_e64 v25, |v25|
	v_add_nc_u32_e32 v15, 0x100, v15
	v_cvt_f32_f16_e64 v27, |v27|
	v_max3_f32 v12, v12, v24, v18
	v_cvt_f32_f16_e64 v18, |v22|
	v_lshrrev_b32_e32 v24, 16, v23
	s_delay_alu instid0(VALU_DEP_3) | instskip(SKIP_1) | instid1(VALU_DEP_3)
	v_max3_f32 v12, v12, v26, v25
	v_cvt_f32_f16_e64 v25, |v23|
	v_cvt_f32_f16_e64 v24, |v24|
	s_delay_alu instid0(VALU_DEP_3) | instskip(NEXT) | instid1(VALU_DEP_1)
	v_max3_f32 v12, v12, v18, v27
	v_max3_f32 v12, v12, v25, v24
	s_and_not1_b32 exec_lo, exec_lo, s11
	s_cbranch_execnz .LBB21_5
; %bb.6:
	s_set_inst_prefetch_distance 0x2
	s_or_b32 exec_lo, exec_lo, s11
.LBB21_7:
	s_delay_alu instid0(SALU_CYCLE_1) | instskip(SKIP_2) | instid1(VALU_DEP_1)
	s_or_b32 exec_lo, exec_lo, s10
	v_lshl_add_u32 v8, v14, 3, v17
	s_mov_b32 s10, exec_lo
	v_cmpx_lt_i32_e64 v8, v13
	s_cbranch_execz .LBB21_11
; %bb.8:
	v_ashrrev_i32_e32 v9, 31, v8
	v_lshlrev_b32_e32 v18, 4, v14
	v_lshlrev_b32_e32 v16, 1, v19
	v_add_co_u32 v1, vcc_lo, v1, v6
	s_delay_alu instid0(VALU_DEP_4) | instskip(SKIP_4) | instid1(VALU_DEP_4)
	v_lshlrev_b64 v[14:15], 1, v[8:9]
	v_add_co_ci_u32_e32 v2, vcc_lo, v2, v7, vcc_lo
	v_lshlrev_b32_e32 v20, 1, v17
	v_add3_u32 v0, v16, v18, v0
	s_mov_b32 s11, 0
	v_add_co_u32 v1, vcc_lo, v1, v14
	v_add_co_ci_u32_e32 v6, vcc_lo, v2, v15, vcc_lo
	s_delay_alu instid0(VALU_DEP_3) | instskip(NEXT) | instid1(VALU_DEP_3)
	v_add3_u32 v2, v0, v20, 0
	v_add_co_u32 v0, vcc_lo, s8, v1
	s_delay_alu instid0(VALU_DEP_3)
	v_add_co_ci_u32_e32 v1, vcc_lo, s9, v6, vcc_lo
	.p2align	6
.LBB21_9:                               ; =>This Inner Loop Header: Depth=1
	global_load_u16 v6, v[0:1], off
	v_add_nc_u32_e32 v8, 16, v8
	v_max_f32_e32 v7, v12, v12
	v_add_co_u32 v0, vcc_lo, v0, 32
	v_add_co_ci_u32_e32 v1, vcc_lo, 0, v1, vcc_lo
	s_delay_alu instid0(VALU_DEP_4)
	v_cmp_ge_i32_e32 vcc_lo, v8, v13
	s_or_b32 s11, vcc_lo, s11
	s_waitcnt vmcnt(0)
	v_cvt_f32_f16_e64 v9, |v6|
	ds_store_b16 v2, v6
	v_add_nc_u32_e32 v2, 32, v2
	v_max_f32_e32 v12, v7, v9
	s_and_not1_b32 exec_lo, exec_lo, s11
	s_cbranch_execnz .LBB21_9
; %bb.10:
	s_or_b32 exec_lo, exec_lo, s11
.LBB21_11:
	s_delay_alu instid0(SALU_CYCLE_1)
	s_or_b32 exec_lo, exec_lo, s10
                                        ; implicit-def: $vgpr1_vgpr2
.LBB21_12:
	s_and_not1_saveexec_b32 s4, s4
	s_cbranch_execz .LBB21_18
; %bb.13:
	v_mov_b32_e32 v12, s5
	s_ashr_i32 s11, s14, 3
	s_mov_b32 s10, exec_lo
	v_cmpx_gt_i32_e64 s11, v17
	s_cbranch_execz .LBB21_17
; %bb.14:
	v_lshlrev_b32_e32 v0, 4, v17
	v_lshlrev_b32_e32 v6, 1, v19
	v_mov_b32_e32 v12, s5
	s_mov_b32 s5, 0
	s_delay_alu instid0(VALU_DEP_3) | instskip(SKIP_1) | instid1(VALU_DEP_2)
	v_add_co_u32 v1, vcc_lo, v1, v0
	v_add_co_ci_u32_e32 v2, vcc_lo, 0, v2, vcc_lo
	v_add_co_u32 v1, vcc_lo, v1, s8
	s_delay_alu instid0(VALU_DEP_2) | instskip(SKIP_1) | instid1(VALU_DEP_3)
	v_add_co_ci_u32_e32 v7, vcc_lo, s9, v2, vcc_lo
	v_add3_u32 v2, v6, v0, 0
	v_add_co_u32 v0, vcc_lo, v1, 8
	s_delay_alu instid0(VALU_DEP_3)
	v_add_co_ci_u32_e32 v1, vcc_lo, 0, v7, vcc_lo
	v_mov_b32_e32 v6, v17
	s_set_inst_prefetch_distance 0x1
	.p2align	6
.LBB21_15:                              ; =>This Inner Loop Header: Depth=1
	global_load_b128 v[13:16], v[0:1], off offset:-8
	v_add_nc_u32_e32 v6, 16, v6
	v_add_co_u32 v0, vcc_lo, 0x100, v0
	v_add_co_ci_u32_e32 v1, vcc_lo, 0, v1, vcc_lo
	s_delay_alu instid0(VALU_DEP_3)
	v_cmp_le_i32_e32 vcc_lo, s11, v6
	s_or_b32 s5, vcc_lo, s5
	s_waitcnt vmcnt(0)
	v_lshrrev_b32_e32 v7, 16, v13
	v_cvt_f32_f16_e64 v8, |v13|
	v_lshrrev_b32_e32 v9, 16, v14
	v_cvt_f32_f16_e64 v18, |v14|
	;; [unrolled: 2-line block ×3, first 2 shown]
	ds_store_b128 v2, v[13:16]
	v_cvt_f32_f16_e64 v9, |v9|
	v_add_nc_u32_e32 v2, 0x100, v2
	v_cvt_f32_f16_e64 v20, |v20|
	v_max3_f32 v7, v12, v8, v7
	v_cvt_f32_f16_e64 v8, |v15|
	v_lshrrev_b32_e32 v12, 16, v16
	s_delay_alu instid0(VALU_DEP_3) | instskip(SKIP_1) | instid1(VALU_DEP_3)
	v_max3_f32 v7, v7, v18, v9
	v_cvt_f32_f16_e64 v9, |v16|
	v_cvt_f32_f16_e64 v12, |v12|
	s_delay_alu instid0(VALU_DEP_3) | instskip(NEXT) | instid1(VALU_DEP_1)
	v_max3_f32 v7, v7, v8, v20
	v_max3_f32 v12, v7, v9, v12
	s_and_not1_b32 exec_lo, exec_lo, s5
	s_cbranch_execnz .LBB21_15
; %bb.16:
	s_set_inst_prefetch_distance 0x2
	s_or_b32 exec_lo, exec_lo, s5
.LBB21_17:
	s_delay_alu instid0(SALU_CYCLE_1)
	s_or_b32 exec_lo, exec_lo, s10
.LBB21_18:
	s_delay_alu instid0(SALU_CYCLE_1) | instskip(SKIP_4) | instid1(VALU_DEP_2)
	s_or_b32 exec_lo, exec_lo, s4
	v_mbcnt_lo_u32_b32 v0, -1, 0
	s_load_b64 s[8:9], s[0:1], 0x8
	s_mov_b32 s16, exec_lo
	v_max_f32_e32 v7, v12, v12
	v_xor_b32_e32 v2, 8, v0
	v_and_b32_e32 v1, 16, v0
	v_xor_b32_e32 v6, 4, v0
	s_delay_alu instid0(VALU_DEP_2) | instskip(NEXT) | instid1(VALU_DEP_1)
	v_add_nc_u32_e32 v1, 16, v1
	v_cmp_lt_i32_e32 vcc_lo, v2, v1
	v_cndmask_b32_e32 v2, v0, v2, vcc_lo
	s_delay_alu instid0(VALU_DEP_4) | instskip(NEXT) | instid1(VALU_DEP_2)
	v_cmp_lt_i32_e32 vcc_lo, v6, v1
	v_lshlrev_b32_e32 v2, 2, v2
	v_cndmask_b32_e32 v6, v0, v6, vcc_lo
	ds_bpermute_b32 v2, v2, v12
	v_lshlrev_b32_e32 v6, 2, v6
	s_waitcnt lgkmcnt(0)
	v_max_f32_e32 v2, v2, v2
	s_delay_alu instid0(VALU_DEP_1) | instskip(SKIP_1) | instid1(VALU_DEP_1)
	v_max_f32_e32 v2, v7, v2
	v_xor_b32_e32 v7, 2, v0
	v_cmp_lt_i32_e32 vcc_lo, v7, v1
	v_cndmask_b32_e32 v7, v0, v7, vcc_lo
	s_delay_alu instid0(VALU_DEP_1) | instskip(SKIP_3) | instid1(VALU_DEP_1)
	v_lshlrev_b32_e32 v7, 2, v7
	ds_bpermute_b32 v6, v6, v2
	s_waitcnt lgkmcnt(0)
	v_max_f32_e32 v6, v6, v6
	v_max_f32_e32 v2, v2, v6
	ds_bpermute_b32 v6, v7, v2
	v_xor_b32_e32 v7, 1, v0
	s_delay_alu instid0(VALU_DEP_1) | instskip(SKIP_2) | instid1(VALU_DEP_1)
	v_cmp_lt_i32_e32 vcc_lo, v7, v1
	s_waitcnt lgkmcnt(0)
	v_dual_cndmask_b32 v0, v0, v7 :: v_dual_max_f32 v1, v6, v6
	v_dual_max_f32 v1, v2, v1 :: v_dual_lshlrev_b32 v0, 2, v0
	ds_bpermute_b32 v0, v0, v1
	s_waitcnt lgkmcnt(0)
	v_max_f32_e32 v0, v0, v0
	s_delay_alu instid0(VALU_DEP_1) | instskip(NEXT) | instid1(VALU_DEP_1)
	v_max_f32_e32 v0, v1, v0
	v_div_scale_f32 v1, null, s7, s7, v0
	v_div_scale_f32 v7, vcc_lo, v0, s7, v0
	s_delay_alu instid0(VALU_DEP_2) | instskip(SKIP_2) | instid1(VALU_DEP_1)
	v_rcp_f32_e32 v2, v1
	s_waitcnt_depctr 0xfff
	v_fma_f32 v6, -v1, v2, 1.0
	v_fmac_f32_e32 v2, v6, v2
	s_delay_alu instid0(VALU_DEP_1) | instskip(NEXT) | instid1(VALU_DEP_1)
	v_mul_f32_e32 v6, v7, v2
	v_fma_f32 v8, -v1, v6, v7
	s_delay_alu instid0(VALU_DEP_1) | instskip(NEXT) | instid1(VALU_DEP_1)
	v_fmac_f32_e32 v6, v8, v2
	v_fma_f32 v1, -v1, v6, v7
	s_delay_alu instid0(VALU_DEP_1) | instskip(NEXT) | instid1(VALU_DEP_1)
	v_div_fmas_f32 v1, v1, v2, v6
	v_div_fixup_f32 v18, v1, s7, v0
	v_cmpx_eq_u32_e32 0, v17
	s_cbranch_execz .LBB21_24
; %bb.19:
	s_load_b64 s[4:5], s[0:1], 0x10
	s_ashr_i32 s0, s2, 31
	v_mov_b32_e32 v0, 0
	v_or_b32_e32 v1, s0, v11
	s_mov_b32 s1, s2
	s_delay_alu instid0(VALU_DEP_1) | instskip(SKIP_1) | instid1(SALU_CYCLE_1)
	v_cmp_ne_u64_e32 vcc_lo, 0, v[0:1]
                                        ; implicit-def: $vgpr0_vgpr1
	s_and_saveexec_b32 s2, vcc_lo
	s_xor_b32 s2, exec_lo, s2
	s_cbranch_execz .LBB21_21
; %bb.20:
	s_add_u32 s12, s1, s0
	s_mov_b32 s10, s0
	s_mov_b32 s11, s0
	s_addc_u32 s13, s0, s0
	s_delay_alu instid0(SALU_CYCLE_1) | instskip(NEXT) | instid1(SALU_CYCLE_1)
	s_xor_b64 s[12:13], s[12:13], s[10:11]
	v_cvt_f32_u32_e32 v0, s12
	v_cvt_f32_u32_e32 v1, s13
	s_sub_u32 s0, 0, s12
	s_subb_u32 s11, 0, s13
	s_delay_alu instid0(VALU_DEP_1) | instskip(NEXT) | instid1(VALU_DEP_1)
	v_fmamk_f32 v0, v1, 0x4f800000, v0
	v_rcp_f32_e32 v0, v0
	s_waitcnt_depctr 0xfff
	v_mul_f32_e32 v0, 0x5f7ffffc, v0
	s_delay_alu instid0(VALU_DEP_1) | instskip(NEXT) | instid1(VALU_DEP_1)
	v_mul_f32_e32 v1, 0x2f800000, v0
	v_trunc_f32_e32 v1, v1
	s_delay_alu instid0(VALU_DEP_1) | instskip(SKIP_1) | instid1(VALU_DEP_2)
	v_fmamk_f32 v0, v1, 0xcf800000, v0
	v_cvt_u32_f32_e32 v1, v1
	v_cvt_u32_f32_e32 v0, v0
	s_delay_alu instid0(VALU_DEP_2) | instskip(NEXT) | instid1(VALU_DEP_2)
	v_mul_lo_u32 v2, s0, v1
	v_mul_hi_u32 v6, s0, v0
	v_mul_lo_u32 v7, s11, v0
	s_delay_alu instid0(VALU_DEP_2) | instskip(SKIP_1) | instid1(VALU_DEP_2)
	v_add_nc_u32_e32 v2, v6, v2
	v_mul_lo_u32 v6, s0, v0
	v_add_nc_u32_e32 v2, v2, v7
	s_delay_alu instid0(VALU_DEP_2) | instskip(NEXT) | instid1(VALU_DEP_2)
	v_mul_hi_u32 v7, v0, v6
	v_mul_lo_u32 v8, v0, v2
	v_mul_hi_u32 v9, v0, v2
	v_mul_hi_u32 v12, v1, v6
	v_mul_lo_u32 v6, v1, v6
	v_mul_hi_u32 v13, v1, v2
	v_mul_lo_u32 v2, v1, v2
	v_add_co_u32 v7, vcc_lo, v7, v8
	v_add_co_ci_u32_e32 v8, vcc_lo, 0, v9, vcc_lo
	s_delay_alu instid0(VALU_DEP_2) | instskip(NEXT) | instid1(VALU_DEP_2)
	v_add_co_u32 v6, vcc_lo, v7, v6
	v_add_co_ci_u32_e32 v6, vcc_lo, v8, v12, vcc_lo
	v_add_co_ci_u32_e32 v7, vcc_lo, 0, v13, vcc_lo
	s_delay_alu instid0(VALU_DEP_2) | instskip(NEXT) | instid1(VALU_DEP_2)
	v_add_co_u32 v2, vcc_lo, v6, v2
	v_add_co_ci_u32_e32 v6, vcc_lo, 0, v7, vcc_lo
	s_delay_alu instid0(VALU_DEP_2) | instskip(NEXT) | instid1(VALU_DEP_2)
	v_add_co_u32 v0, vcc_lo, v0, v2
	v_add_co_ci_u32_e32 v1, vcc_lo, v1, v6, vcc_lo
	s_delay_alu instid0(VALU_DEP_2) | instskip(SKIP_1) | instid1(VALU_DEP_3)
	v_mul_hi_u32 v2, s0, v0
	v_mul_lo_u32 v7, s11, v0
	v_mul_lo_u32 v6, s0, v1
	s_delay_alu instid0(VALU_DEP_1) | instskip(SKIP_1) | instid1(VALU_DEP_2)
	v_add_nc_u32_e32 v2, v2, v6
	v_mul_lo_u32 v6, s0, v0
	v_add_nc_u32_e32 v2, v2, v7
	s_delay_alu instid0(VALU_DEP_2) | instskip(NEXT) | instid1(VALU_DEP_2)
	v_mul_hi_u32 v7, v0, v6
	v_mul_lo_u32 v8, v0, v2
	v_mul_hi_u32 v9, v0, v2
	v_mul_hi_u32 v12, v1, v6
	v_mul_lo_u32 v6, v1, v6
	v_mul_hi_u32 v13, v1, v2
	v_mul_lo_u32 v2, v1, v2
	v_add_co_u32 v7, vcc_lo, v7, v8
	v_add_co_ci_u32_e32 v8, vcc_lo, 0, v9, vcc_lo
	s_delay_alu instid0(VALU_DEP_2) | instskip(NEXT) | instid1(VALU_DEP_2)
	v_add_co_u32 v6, vcc_lo, v7, v6
	v_add_co_ci_u32_e32 v6, vcc_lo, v8, v12, vcc_lo
	v_add_co_ci_u32_e32 v7, vcc_lo, 0, v13, vcc_lo
	s_delay_alu instid0(VALU_DEP_2) | instskip(NEXT) | instid1(VALU_DEP_2)
	v_add_co_u32 v2, vcc_lo, v6, v2
	v_add_co_ci_u32_e32 v6, vcc_lo, 0, v7, vcc_lo
	s_delay_alu instid0(VALU_DEP_2) | instskip(NEXT) | instid1(VALU_DEP_2)
	v_add_co_u32 v2, vcc_lo, v0, v2
	v_add_co_ci_u32_e32 v12, vcc_lo, v1, v6, vcc_lo
	s_delay_alu instid0(VALU_DEP_2) | instskip(SKIP_1) | instid1(VALU_DEP_3)
	v_mul_hi_u32 v13, v10, v2
	v_mad_u64_u32 v[6:7], null, v11, v2, 0
	v_mad_u64_u32 v[0:1], null, v10, v12, 0
	;; [unrolled: 1-line block ×3, first 2 shown]
	s_delay_alu instid0(VALU_DEP_2) | instskip(NEXT) | instid1(VALU_DEP_3)
	v_add_co_u32 v0, vcc_lo, v13, v0
	v_add_co_ci_u32_e32 v1, vcc_lo, 0, v1, vcc_lo
	s_delay_alu instid0(VALU_DEP_2) | instskip(NEXT) | instid1(VALU_DEP_2)
	v_add_co_u32 v0, vcc_lo, v0, v6
	v_add_co_ci_u32_e32 v0, vcc_lo, v1, v7, vcc_lo
	v_add_co_ci_u32_e32 v1, vcc_lo, 0, v9, vcc_lo
	s_delay_alu instid0(VALU_DEP_2) | instskip(NEXT) | instid1(VALU_DEP_2)
	v_add_co_u32 v2, vcc_lo, v0, v8
	v_add_co_ci_u32_e32 v6, vcc_lo, 0, v1, vcc_lo
	s_delay_alu instid0(VALU_DEP_2) | instskip(SKIP_1) | instid1(VALU_DEP_3)
	v_mul_lo_u32 v7, s13, v2
	v_mad_u64_u32 v[0:1], null, s12, v2, 0
	v_mul_lo_u32 v6, s12, v6
	s_delay_alu instid0(VALU_DEP_2) | instskip(NEXT) | instid1(VALU_DEP_2)
	v_sub_co_u32 v0, vcc_lo, v10, v0
	v_add3_u32 v1, v1, v6, v7
	v_add_co_u32 v7, s0, v2, 2
	s_delay_alu instid0(VALU_DEP_2) | instskip(NEXT) | instid1(VALU_DEP_1)
	v_sub_nc_u32_e32 v6, v11, v1
	v_subrev_co_ci_u32_e64 v6, s0, s13, v6, vcc_lo
	v_sub_co_u32 v8, s0, v0, s12
	v_sub_co_ci_u32_e32 v1, vcc_lo, v11, v1, vcc_lo
	s_delay_alu instid0(VALU_DEP_3) | instskip(NEXT) | instid1(VALU_DEP_3)
	v_subrev_co_ci_u32_e64 v6, s0, 0, v6, s0
	v_cmp_le_u32_e32 vcc_lo, s12, v8
	v_cndmask_b32_e64 v8, 0, -1, vcc_lo
	s_delay_alu instid0(VALU_DEP_3)
	v_cmp_le_u32_e32 vcc_lo, s13, v6
	v_cndmask_b32_e64 v9, 0, -1, vcc_lo
	v_cmp_le_u32_e32 vcc_lo, s12, v0
	v_cndmask_b32_e64 v0, 0, -1, vcc_lo
	;; [unrolled: 2-line block ×3, first 2 shown]
	v_cmp_eq_u32_e32 vcc_lo, s13, v6
	v_cndmask_b32_e32 v6, v9, v8, vcc_lo
	v_add_co_u32 v8, vcc_lo, v2, 1
	v_cmp_eq_u32_e32 vcc_lo, s13, v1
	v_cndmask_b32_e32 v0, v11, v0, vcc_lo
	s_delay_alu instid0(VALU_DEP_4) | instskip(NEXT) | instid1(VALU_DEP_4)
	v_cmp_ne_u32_e32 vcc_lo, 0, v6
	v_cndmask_b32_e32 v1, v8, v7, vcc_lo
	s_delay_alu instid0(VALU_DEP_3) | instskip(NEXT) | instid1(VALU_DEP_2)
	v_cmp_ne_u32_e32 vcc_lo, 0, v0
	v_cndmask_b32_e32 v0, v2, v1, vcc_lo
	s_delay_alu instid0(VALU_DEP_1) | instskip(NEXT) | instid1(VALU_DEP_1)
	v_xor_b32_e32 v0, s10, v0
	v_sub_co_u32 v0, vcc_lo, v0, s10
.LBB21_21:
	s_and_not1_saveexec_b32 s0, s2
	s_cbranch_execz .LBB21_23
; %bb.22:
	v_cvt_f32_u32_e32 v0, s1
	s_sub_i32 s2, 0, s1
	s_delay_alu instid0(VALU_DEP_1) | instskip(SKIP_2) | instid1(VALU_DEP_1)
	v_rcp_iflag_f32_e32 v0, v0
	s_waitcnt_depctr 0xfff
	v_mul_f32_e32 v0, 0x4f7ffffe, v0
	v_cvt_u32_f32_e32 v0, v0
	s_delay_alu instid0(VALU_DEP_1) | instskip(NEXT) | instid1(VALU_DEP_1)
	v_mul_lo_u32 v1, s2, v0
	v_mul_hi_u32 v1, v0, v1
	s_delay_alu instid0(VALU_DEP_1) | instskip(NEXT) | instid1(VALU_DEP_1)
	v_add_nc_u32_e32 v0, v0, v1
	v_mul_hi_u32 v0, v10, v0
	s_delay_alu instid0(VALU_DEP_1) | instskip(SKIP_1) | instid1(VALU_DEP_2)
	v_mul_lo_u32 v1, v0, s1
	v_add_nc_u32_e32 v2, 1, v0
	v_sub_nc_u32_e32 v1, v10, v1
	s_delay_alu instid0(VALU_DEP_1) | instskip(SKIP_1) | instid1(VALU_DEP_2)
	v_subrev_nc_u32_e32 v6, s1, v1
	v_cmp_le_u32_e32 vcc_lo, s1, v1
	v_cndmask_b32_e32 v1, v1, v6, vcc_lo
	v_cndmask_b32_e32 v0, v0, v2, vcc_lo
	s_delay_alu instid0(VALU_DEP_2) | instskip(NEXT) | instid1(VALU_DEP_2)
	v_cmp_le_u32_e32 vcc_lo, s1, v1
	v_add_nc_u32_e32 v2, 1, v0
	s_delay_alu instid0(VALU_DEP_1)
	v_cndmask_b32_e32 v0, v0, v2, vcc_lo
.LBB21_23:
	s_or_b32 exec_lo, exec_lo, s0
	s_delay_alu instid0(VALU_DEP_1) | instskip(NEXT) | instid1(VALU_DEP_1)
	v_mul_lo_u32 v1, v0, s1
	v_sub_nc_u32_e32 v6, v10, v1
	s_delay_alu instid0(VALU_DEP_1) | instskip(NEXT) | instid1(VALU_DEP_1)
	v_mad_u64_u32 v[1:2], null, v6, s3, v[0:1]
	v_ashrrev_i32_e32 v2, 31, v1
	s_delay_alu instid0(VALU_DEP_1) | instskip(SKIP_1) | instid1(VALU_DEP_1)
	v_lshlrev_b64 v[0:1], 2, v[1:2]
	s_waitcnt lgkmcnt(0)
	v_add_co_u32 v0, vcc_lo, s4, v0
	s_delay_alu instid0(VALU_DEP_2)
	v_add_co_ci_u32_e32 v1, vcc_lo, s5, v1, vcc_lo
	global_store_b32 v[0:1], v18, off
.LBB21_24:
	s_or_b32 exec_lo, exec_lo, s16
	v_dual_mov_b32 v1, 0 :: v_dual_and_b32 v0, 15, v3
	s_xor_b32 s0, s15, -1
	s_waitcnt_vscnt null, 0x0
	s_barrier
	buffer_gl0_inv
	v_cmp_ne_u64_e32 vcc_lo, 0, v[0:1]
	s_or_b32 s0, s0, vcc_lo
	s_delay_alu instid0(SALU_CYCLE_1) | instskip(NEXT) | instid1(SALU_CYCLE_1)
	s_and_saveexec_b32 s1, s0
	s_xor_b32 s10, exec_lo, s1
	s_cbranch_execz .LBB21_119
; %bb.25:
	v_sub_nc_u32_e32 v0, 0, v3
	v_add_co_u32 v24, vcc_lo, s8, v4
	v_add_co_ci_u32_e32 v25, vcc_lo, s9, v5, vcc_lo
	s_delay_alu instid0(VALU_DEP_3) | instskip(SKIP_1) | instid1(VALU_DEP_1)
	v_bfe_u32 v0, v0, 1, 3
	s_mov_b32 s0, exec_lo
	v_min_i32_e32 v21, s14, v0
	s_delay_alu instid0(VALU_DEP_1)
	v_cmpx_gt_i32_e64 v21, v17
	s_cbranch_execz .LBB21_33
; %bb.26:
	v_lshl_add_u32 v0, v17, 1, v3
	s_mov_b32 s1, exec_lo
	ds_load_u16 v0, v0
	s_waitcnt lgkmcnt(0)
	v_cvt_f32_f16_e32 v0, v0
	s_delay_alu instid0(VALU_DEP_1) | instskip(SKIP_1) | instid1(VALU_DEP_2)
	v_div_scale_f32 v1, null, v18, v18, v0
	v_div_scale_f32 v6, vcc_lo, v0, v18, v0
	v_rcp_f32_e32 v2, v1
	s_waitcnt_depctr 0xfff
	v_fma_f32 v3, -v1, v2, 1.0
	s_delay_alu instid0(VALU_DEP_1) | instskip(NEXT) | instid1(VALU_DEP_1)
	v_fmac_f32_e32 v2, v3, v2
	v_mul_f32_e32 v3, v6, v2
	s_delay_alu instid0(VALU_DEP_1) | instskip(NEXT) | instid1(VALU_DEP_1)
	v_fma_f32 v7, -v1, v3, v6
	v_fmac_f32_e32 v3, v7, v2
	s_delay_alu instid0(VALU_DEP_1) | instskip(NEXT) | instid1(VALU_DEP_1)
	v_fma_f32 v1, -v1, v3, v6
	v_div_fmas_f32 v1, v1, v2, v3
	v_max_f32_e64 v2, s6, s6
	v_max_f32_e64 v3, s7, s7
	s_delay_alu instid0(VALU_DEP_3) | instskip(NEXT) | instid1(VALU_DEP_1)
	v_div_fixup_f32 v0, v1, v18, v0
	v_maxmin_f32 v0, v0, v2, v3
	v_mov_b32_e32 v2, 0x80
	s_delay_alu instid0(VALU_DEP_2) | instskip(NEXT) | instid1(VALU_DEP_1)
	v_and_b32_e32 v1, 0x7fffffff, v0
	v_cmpx_gt_u32_e32 0x43800000, v1
	s_cbranch_execz .LBB21_32
; %bb.27:
	v_cmp_lt_u32_e32 vcc_lo, 0x3bffffff, v1
	s_mov_b32 s2, 0
                                        ; implicit-def: $vgpr1
	s_and_saveexec_b32 s3, vcc_lo
	s_delay_alu instid0(SALU_CYCLE_1)
	s_xor_b32 s3, exec_lo, s3
	s_cbranch_execnz .LBB21_188
; %bb.28:
	s_or_saveexec_b32 s3, s3
                                        ; implicit-def: $sgpr4
	s_delay_alu instid0(SALU_CYCLE_1)
	s_xor_b32 exec_lo, exec_lo, s3
	s_cbranch_execnz .LBB21_189
.LBB21_29:
	s_or_b32 exec_lo, exec_lo, s3
	v_mov_b32_e32 v2, s4
	s_and_saveexec_b32 s3, s2
.LBB21_30:
	v_lshrrev_b32_e32 v0, 24, v0
	s_delay_alu instid0(VALU_DEP_1)
	v_and_or_b32 v2, 0x80, v0, v1
.LBB21_31:
	s_or_b32 exec_lo, exec_lo, s3
.LBB21_32:
	s_delay_alu instid0(SALU_CYCLE_1)
	s_or_b32 exec_lo, exec_lo, s1
	v_add_co_u32 v0, vcc_lo, v24, v17
	v_add_co_ci_u32_e32 v1, vcc_lo, 0, v25, vcc_lo
	global_store_b8 v[0:1], v2, off
.LBB21_33:
	s_or_b32 exec_lo, exec_lo, s0
	v_sub_nc_u32_e32 v20, s14, v21
	v_ashrrev_i32_e32 v22, 31, v21
	v_lshlrev_b32_e32 v23, 1, v21
	s_mov_b32 s2, exec_lo
	s_delay_alu instid0(VALU_DEP_3) | instskip(NEXT) | instid1(VALU_DEP_1)
	v_ashrrev_i32_e32 v0, 31, v20
	v_lshrrev_b32_e32 v0, 29, v0
	s_delay_alu instid0(VALU_DEP_1) | instskip(NEXT) | instid1(VALU_DEP_1)
	v_add_nc_u32_e32 v0, v20, v0
	v_ashrrev_i32_e32 v26, 3, v0
	s_delay_alu instid0(VALU_DEP_1)
	v_cmpx_gt_i32_e64 v26, v17
	s_cbranch_execz .LBB21_100
; %bb.34:
	v_lshlrev_b32_e32 v0, 4, v17
	v_dual_mov_b32 v30, v17 :: v_dual_lshlrev_b32 v1, 3, v17
	v_add_co_u32 v2, vcc_lo, v21, v4
	v_add_co_ci_u32_e32 v3, vcc_lo, v22, v5, vcc_lo
	s_delay_alu instid0(VALU_DEP_4) | instskip(SKIP_1) | instid1(VALU_DEP_4)
	v_lshl_add_u32 v0, v19, 1, v0
	v_lshlrev_b32_e32 v6, 1, v21
	v_add_co_u32 v1, vcc_lo, v2, v1
	s_delay_alu instid0(VALU_DEP_4) | instskip(NEXT) | instid1(VALU_DEP_3)
	v_add_co_ci_u32_e32 v2, vcc_lo, 0, v3, vcc_lo
	v_add3_u32 v27, v0, v6, 0
	s_delay_alu instid0(VALU_DEP_3) | instskip(NEXT) | instid1(VALU_DEP_3)
	v_add_co_u32 v6, vcc_lo, s8, v1
	v_add_co_ci_u32_e32 v7, vcc_lo, s9, v2, vcc_lo
	v_max_f32_e64 v28, s6, s6
	v_max_f32_e64 v29, s7, s7
	s_mov_b32 s3, 0
	s_branch .LBB21_37
.LBB21_35:                              ;   in Loop: Header=BB21_37 Depth=1
	s_or_b32 exec_lo, exec_lo, s0
.LBB21_36:                              ;   in Loop: Header=BB21_37 Depth=1
	s_delay_alu instid0(SALU_CYCLE_1)
	s_or_b32 exec_lo, exec_lo, s4
	v_lshlrev_b32_e32 v2, 16, v15
	v_lshlrev_b32_e32 v3, 16, v13
	v_lshlrev_b32_e32 v1, 24, v1
	v_lshlrev_b32_e32 v9, 8, v14
	v_lshlrev_b32_e32 v8, 8, v8
	v_and_b32_e32 v2, 0xff0000, v2
	v_perm_b32 v3, v11, v3, 0x4020c0c
	v_and_b32_e32 v0, 0xff, v0
	v_and_b32_e32 v10, 0xff, v10
	;; [unrolled: 1-line block ×3, first 2 shown]
	v_or_b32_e32 v1, v1, v2
	v_and_or_b32 v2, 0xff00, v8, v3
	v_add_nc_u32_e32 v30, 16, v30
	v_add_nc_u32_e32 v27, 0x100, v27
	s_delay_alu instid0(VALU_DEP_4) | instskip(NEXT) | instid1(VALU_DEP_4)
	v_or3_b32 v1, v1, v9, v0
	v_or_b32_e32 v0, v2, v10
	s_delay_alu instid0(VALU_DEP_4) | instskip(SKIP_2) | instid1(VALU_DEP_1)
	v_cmp_ge_i32_e32 vcc_lo, v30, v26
	global_store_b64 v[6:7], v[0:1], off
	v_add_co_u32 v6, s0, 0x80, v6
	v_add_co_ci_u32_e64 v7, s0, 0, v7, s0
	s_or_b32 s3, vcc_lo, s3
	s_delay_alu instid0(SALU_CYCLE_1)
	s_and_not1_b32 exec_lo, exec_lo, s3
	s_cbranch_execz .LBB21_100
.LBB21_37:                              ; =>This Inner Loop Header: Depth=1
	ds_load_b128 v[0:3], v27
	s_mov_b32 s4, exec_lo
	s_waitcnt lgkmcnt(0)
	v_cvt_f32_f16_e32 v8, v0
	s_delay_alu instid0(VALU_DEP_1) | instskip(SKIP_1) | instid1(VALU_DEP_2)
	v_div_scale_f32 v9, null, v18, v18, v8
	v_div_scale_f32 v12, vcc_lo, v8, v18, v8
	v_rcp_f32_e32 v10, v9
	s_waitcnt_depctr 0xfff
	v_fma_f32 v11, -v9, v10, 1.0
	s_delay_alu instid0(VALU_DEP_1) | instskip(NEXT) | instid1(VALU_DEP_1)
	v_fmac_f32_e32 v10, v11, v10
	v_mul_f32_e32 v11, v12, v10
	s_delay_alu instid0(VALU_DEP_1) | instskip(NEXT) | instid1(VALU_DEP_1)
	v_fma_f32 v13, -v9, v11, v12
	v_fmac_f32_e32 v11, v13, v10
	s_delay_alu instid0(VALU_DEP_1) | instskip(NEXT) | instid1(VALU_DEP_1)
	v_fma_f32 v9, -v9, v11, v12
	v_div_fmas_f32 v9, v9, v10, v11
	s_delay_alu instid0(VALU_DEP_1) | instskip(NEXT) | instid1(VALU_DEP_1)
	v_div_fixup_f32 v8, v9, v18, v8
	v_maxmin_f32 v12, v8, v28, v29
	v_mov_b32_e32 v8, 0x80
	v_mov_b32_e32 v9, 0
	s_delay_alu instid0(VALU_DEP_3) | instskip(NEXT) | instid1(VALU_DEP_2)
	v_and_b32_e32 v13, 0x7fffffff, v12
	v_dual_mov_b32 v11, v9 :: v_dual_mov_b32 v10, v8
	s_delay_alu instid0(VALU_DEP_2)
	v_cmpx_gt_u32_e32 0x43800000, v13
	s_cbranch_execz .LBB21_45
; %bb.38:                               ;   in Loop: Header=BB21_37 Depth=1
	s_mov_b32 s5, 0
	s_mov_b32 s0, exec_lo
                                        ; implicit-def: $vgpr9
	v_cmpx_lt_u32_e32 0x3bffffff, v13
	s_xor_b32 s0, exec_lo, s0
; %bb.39:                               ;   in Loop: Header=BB21_37 Depth=1
	v_bfe_u32 v9, v12, 20, 1
	s_mov_b32 s5, exec_lo
	s_delay_alu instid0(VALU_DEP_1) | instskip(NEXT) | instid1(VALU_DEP_1)
	v_add3_u32 v9, v12, v9, 0x487ffff
	v_lshrrev_b32_e32 v9, 20, v9
; %bb.40:                               ;   in Loop: Header=BB21_37 Depth=1
	s_or_saveexec_b32 s11, s0
                                        ; implicit-def: $sgpr0_sgpr1
	s_delay_alu instid0(SALU_CYCLE_1)
	s_xor_b32 exec_lo, exec_lo, s11
; %bb.41:                               ;   in Loop: Header=BB21_37 Depth=1
	v_add_f32_e64 v9, 0x46000000, |v12|
	s_and_not1_b32 s5, s5, exec_lo
	s_mov_b64 s[0:1], 0
	s_delay_alu instid0(VALU_DEP_1) | instskip(NEXT) | instid1(VALU_DEP_1)
	v_and_b32_e32 v9, 0xff, v9
	v_cmp_ne_u32_e32 vcc_lo, 0, v9
	s_and_b32 s12, vcc_lo, exec_lo
	s_delay_alu instid0(SALU_CYCLE_1)
	s_or_b32 s5, s5, s12
; %bb.42:                               ;   in Loop: Header=BB21_37 Depth=1
	s_or_b32 exec_lo, exec_lo, s11
	v_dual_mov_b32 v11, s1 :: v_dual_mov_b32 v10, s0
	s_and_saveexec_b32 s0, s5
; %bb.43:                               ;   in Loop: Header=BB21_37 Depth=1
	v_lshrrev_b32_e32 v10, 24, v12
	s_delay_alu instid0(VALU_DEP_1)
	v_and_or_b32 v10, 0x80, v10, v9
; %bb.44:                               ;   in Loop: Header=BB21_37 Depth=1
	s_or_b32 exec_lo, exec_lo, s0
.LBB21_45:                              ;   in Loop: Header=BB21_37 Depth=1
	s_delay_alu instid0(SALU_CYCLE_1) | instskip(SKIP_2) | instid1(VALU_DEP_1)
	s_or_b32 exec_lo, exec_lo, s4
	v_lshrrev_b32_e32 v0, 16, v0
	s_mov_b32 s4, exec_lo
	v_cvt_f32_f16_e32 v0, v0
	s_delay_alu instid0(VALU_DEP_1) | instskip(NEXT) | instid1(VALU_DEP_1)
	v_div_scale_f32 v9, null, v18, v18, v0
	v_rcp_f32_e32 v11, v9
	s_waitcnt_depctr 0xfff
	v_fma_f32 v12, -v9, v11, 1.0
	s_delay_alu instid0(VALU_DEP_1) | instskip(SKIP_1) | instid1(VALU_DEP_1)
	v_fmac_f32_e32 v11, v12, v11
	v_div_scale_f32 v12, vcc_lo, v0, v18, v0
	v_mul_f32_e32 v13, v12, v11
	s_delay_alu instid0(VALU_DEP_1) | instskip(NEXT) | instid1(VALU_DEP_1)
	v_fma_f32 v14, -v9, v13, v12
	v_fmac_f32_e32 v13, v14, v11
	s_delay_alu instid0(VALU_DEP_1) | instskip(NEXT) | instid1(VALU_DEP_1)
	v_fma_f32 v9, -v9, v13, v12
	v_div_fmas_f32 v9, v9, v11, v13
	s_delay_alu instid0(VALU_DEP_1) | instskip(NEXT) | instid1(VALU_DEP_1)
	v_div_fixup_f32 v0, v9, v18, v0
	v_maxmin_f32 v0, v0, v28, v29
	s_delay_alu instid0(VALU_DEP_1) | instskip(NEXT) | instid1(VALU_DEP_1)
	v_and_b32_e32 v9, 0x7fffffff, v0
	v_cmpx_gt_u32_e32 0x43800000, v9
	s_cbranch_execz .LBB21_53
; %bb.46:                               ;   in Loop: Header=BB21_37 Depth=1
	s_mov_b32 s5, 0
	s_mov_b32 s0, exec_lo
                                        ; implicit-def: $vgpr11
	v_cmpx_lt_u32_e32 0x3bffffff, v9
	s_xor_b32 s0, exec_lo, s0
; %bb.47:                               ;   in Loop: Header=BB21_37 Depth=1
	v_bfe_u32 v8, v0, 20, 1
	s_mov_b32 s5, exec_lo
	s_delay_alu instid0(VALU_DEP_1) | instskip(NEXT) | instid1(VALU_DEP_1)
	v_add3_u32 v8, v0, v8, 0x487ffff
	v_lshrrev_b32_e32 v11, 20, v8
; %bb.48:                               ;   in Loop: Header=BB21_37 Depth=1
	s_or_saveexec_b32 s11, s0
                                        ; implicit-def: $sgpr0_sgpr1
	s_delay_alu instid0(SALU_CYCLE_1)
	s_xor_b32 exec_lo, exec_lo, s11
; %bb.49:                               ;   in Loop: Header=BB21_37 Depth=1
	v_add_f32_e64 v8, 0x46000000, |v0|
	s_and_not1_b32 s5, s5, exec_lo
	s_mov_b64 s[0:1], 0
	s_delay_alu instid0(VALU_DEP_1) | instskip(NEXT) | instid1(VALU_DEP_1)
	v_and_b32_e32 v11, 0xff, v8
	v_cmp_ne_u32_e32 vcc_lo, 0, v11
	s_and_b32 s12, vcc_lo, exec_lo
	s_delay_alu instid0(SALU_CYCLE_1)
	s_or_b32 s5, s5, s12
; %bb.50:                               ;   in Loop: Header=BB21_37 Depth=1
	s_or_b32 exec_lo, exec_lo, s11
	v_dual_mov_b32 v9, s1 :: v_dual_mov_b32 v8, s0
	s_and_saveexec_b32 s0, s5
; %bb.51:                               ;   in Loop: Header=BB21_37 Depth=1
	v_lshrrev_b32_e32 v0, 24, v0
	s_delay_alu instid0(VALU_DEP_1)
	v_and_or_b32 v8, 0x80, v0, v11
; %bb.52:                               ;   in Loop: Header=BB21_37 Depth=1
	s_or_b32 exec_lo, exec_lo, s0
.LBB21_53:                              ;   in Loop: Header=BB21_37 Depth=1
	s_delay_alu instid0(SALU_CYCLE_1) | instskip(SKIP_2) | instid1(VALU_DEP_1)
	s_or_b32 exec_lo, exec_lo, s4
	v_cvt_f32_f16_e32 v0, v1
	s_mov_b32 s4, exec_lo
	v_div_scale_f32 v9, null, v18, v18, v0
	v_div_scale_f32 v13, vcc_lo, v0, v18, v0
	s_delay_alu instid0(VALU_DEP_2) | instskip(SKIP_2) | instid1(VALU_DEP_1)
	v_rcp_f32_e32 v11, v9
	s_waitcnt_depctr 0xfff
	v_fma_f32 v12, -v9, v11, 1.0
	v_fmac_f32_e32 v11, v12, v11
	s_delay_alu instid0(VALU_DEP_1) | instskip(NEXT) | instid1(VALU_DEP_1)
	v_mul_f32_e32 v12, v13, v11
	v_fma_f32 v14, -v9, v12, v13
	s_delay_alu instid0(VALU_DEP_1) | instskip(NEXT) | instid1(VALU_DEP_1)
	v_fmac_f32_e32 v12, v14, v11
	v_fma_f32 v9, -v9, v12, v13
	s_delay_alu instid0(VALU_DEP_1) | instskip(SKIP_2) | instid1(VALU_DEP_3)
	v_div_fmas_f32 v9, v9, v11, v12
	v_mov_b32_e32 v11, 0x80
	v_mov_b32_e32 v12, 0
	v_div_fixup_f32 v0, v9, v18, v0
	s_delay_alu instid0(VALU_DEP_2) | instskip(NEXT) | instid1(VALU_DEP_2)
	v_dual_mov_b32 v14, v12 :: v_dual_mov_b32 v13, v11
	v_maxmin_f32 v0, v0, v28, v29
	s_delay_alu instid0(VALU_DEP_1) | instskip(NEXT) | instid1(VALU_DEP_1)
	v_and_b32_e32 v9, 0x7fffffff, v0
	v_cmpx_gt_u32_e32 0x43800000, v9
	s_cbranch_execz .LBB21_61
; %bb.54:                               ;   in Loop: Header=BB21_37 Depth=1
	v_cmp_lt_u32_e32 vcc_lo, 0x3bffffff, v9
	s_mov_b32 s5, 0
                                        ; implicit-def: $vgpr9
	s_and_saveexec_b32 s0, vcc_lo
	s_delay_alu instid0(SALU_CYCLE_1)
	s_xor_b32 s0, exec_lo, s0
; %bb.55:                               ;   in Loop: Header=BB21_37 Depth=1
	v_bfe_u32 v9, v0, 20, 1
	s_mov_b32 s5, exec_lo
	s_delay_alu instid0(VALU_DEP_1) | instskip(NEXT) | instid1(VALU_DEP_1)
	v_add3_u32 v9, v0, v9, 0x487ffff
	v_lshrrev_b32_e32 v9, 20, v9
; %bb.56:                               ;   in Loop: Header=BB21_37 Depth=1
	s_or_saveexec_b32 s11, s0
                                        ; implicit-def: $sgpr0_sgpr1
	s_delay_alu instid0(SALU_CYCLE_1)
	s_xor_b32 exec_lo, exec_lo, s11
; %bb.57:                               ;   in Loop: Header=BB21_37 Depth=1
	v_add_f32_e64 v9, 0x46000000, |v0|
	s_and_not1_b32 s5, s5, exec_lo
	s_mov_b64 s[0:1], 0
	s_delay_alu instid0(VALU_DEP_1) | instskip(NEXT) | instid1(VALU_DEP_1)
	v_and_b32_e32 v9, 0xff, v9
	v_cmp_ne_u32_e32 vcc_lo, 0, v9
	s_and_b32 s12, vcc_lo, exec_lo
	s_delay_alu instid0(SALU_CYCLE_1)
	s_or_b32 s5, s5, s12
; %bb.58:                               ;   in Loop: Header=BB21_37 Depth=1
	s_or_b32 exec_lo, exec_lo, s11
	v_dual_mov_b32 v14, s1 :: v_dual_mov_b32 v13, s0
	s_and_saveexec_b32 s0, s5
; %bb.59:                               ;   in Loop: Header=BB21_37 Depth=1
	v_lshrrev_b32_e32 v0, 24, v0
	s_delay_alu instid0(VALU_DEP_1)
	v_and_or_b32 v13, 0x80, v0, v9
; %bb.60:                               ;   in Loop: Header=BB21_37 Depth=1
	s_or_b32 exec_lo, exec_lo, s0
.LBB21_61:                              ;   in Loop: Header=BB21_37 Depth=1
	s_delay_alu instid0(SALU_CYCLE_1) | instskip(SKIP_2) | instid1(VALU_DEP_1)
	s_or_b32 exec_lo, exec_lo, s4
	v_lshrrev_b32_e32 v0, 16, v1
	s_mov_b32 s4, exec_lo
	v_cvt_f32_f16_e32 v0, v0
	s_delay_alu instid0(VALU_DEP_1) | instskip(NEXT) | instid1(VALU_DEP_1)
	v_div_scale_f32 v1, null, v18, v18, v0
	v_rcp_f32_e32 v9, v1
	s_waitcnt_depctr 0xfff
	v_fma_f32 v12, -v1, v9, 1.0
	s_delay_alu instid0(VALU_DEP_1) | instskip(SKIP_1) | instid1(VALU_DEP_1)
	v_fmac_f32_e32 v9, v12, v9
	v_div_scale_f32 v12, vcc_lo, v0, v18, v0
	v_mul_f32_e32 v14, v12, v9
	s_delay_alu instid0(VALU_DEP_1) | instskip(NEXT) | instid1(VALU_DEP_1)
	v_fma_f32 v15, -v1, v14, v12
	v_fmac_f32_e32 v14, v15, v9
	s_delay_alu instid0(VALU_DEP_1) | instskip(NEXT) | instid1(VALU_DEP_1)
	v_fma_f32 v1, -v1, v14, v12
	v_div_fmas_f32 v1, v1, v9, v14
	s_delay_alu instid0(VALU_DEP_1) | instskip(NEXT) | instid1(VALU_DEP_1)
	v_div_fixup_f32 v0, v1, v18, v0
	v_maxmin_f32 v0, v0, v28, v29
	s_delay_alu instid0(VALU_DEP_1) | instskip(NEXT) | instid1(VALU_DEP_1)
	v_and_b32_e32 v1, 0x7fffffff, v0
	v_cmpx_gt_u32_e32 0x43800000, v1
	s_cbranch_execz .LBB21_69
; %bb.62:                               ;   in Loop: Header=BB21_37 Depth=1
	v_cmp_lt_u32_e32 vcc_lo, 0x3bffffff, v1
	s_mov_b32 s5, 0
                                        ; implicit-def: $vgpr1
	s_and_saveexec_b32 s0, vcc_lo
	s_delay_alu instid0(SALU_CYCLE_1)
	s_xor_b32 s0, exec_lo, s0
; %bb.63:                               ;   in Loop: Header=BB21_37 Depth=1
	v_bfe_u32 v1, v0, 20, 1
	s_mov_b32 s5, exec_lo
	s_delay_alu instid0(VALU_DEP_1) | instskip(NEXT) | instid1(VALU_DEP_1)
	v_add3_u32 v1, v0, v1, 0x487ffff
	v_lshrrev_b32_e32 v1, 20, v1
; %bb.64:                               ;   in Loop: Header=BB21_37 Depth=1
	s_or_saveexec_b32 s11, s0
                                        ; implicit-def: $sgpr0_sgpr1
	s_delay_alu instid0(SALU_CYCLE_1)
	s_xor_b32 exec_lo, exec_lo, s11
; %bb.65:                               ;   in Loop: Header=BB21_37 Depth=1
	v_add_f32_e64 v1, 0x46000000, |v0|
	s_and_not1_b32 s5, s5, exec_lo
	s_mov_b64 s[0:1], 0
	s_delay_alu instid0(VALU_DEP_1) | instskip(NEXT) | instid1(VALU_DEP_1)
	v_and_b32_e32 v1, 0xff, v1
	v_cmp_ne_u32_e32 vcc_lo, 0, v1
	s_and_b32 s12, vcc_lo, exec_lo
	s_delay_alu instid0(SALU_CYCLE_1)
	s_or_b32 s5, s5, s12
; %bb.66:                               ;   in Loop: Header=BB21_37 Depth=1
	s_or_b32 exec_lo, exec_lo, s11
	v_dual_mov_b32 v12, s1 :: v_dual_mov_b32 v11, s0
	s_and_saveexec_b32 s0, s5
; %bb.67:                               ;   in Loop: Header=BB21_37 Depth=1
	v_lshrrev_b32_e32 v0, 24, v0
	s_delay_alu instid0(VALU_DEP_1)
	v_and_or_b32 v11, 0x80, v0, v1
; %bb.68:                               ;   in Loop: Header=BB21_37 Depth=1
	s_or_b32 exec_lo, exec_lo, s0
.LBB21_69:                              ;   in Loop: Header=BB21_37 Depth=1
	s_delay_alu instid0(SALU_CYCLE_1) | instskip(SKIP_2) | instid1(VALU_DEP_1)
	s_or_b32 exec_lo, exec_lo, s4
	v_cvt_f32_f16_e32 v0, v2
	s_mov_b32 s4, exec_lo
	v_div_scale_f32 v1, null, v18, v18, v0
	v_div_scale_f32 v14, vcc_lo, v0, v18, v0
	s_delay_alu instid0(VALU_DEP_2) | instskip(SKIP_2) | instid1(VALU_DEP_1)
	v_rcp_f32_e32 v9, v1
	s_waitcnt_depctr 0xfff
	v_fma_f32 v12, -v1, v9, 1.0
	v_fmac_f32_e32 v9, v12, v9
	s_delay_alu instid0(VALU_DEP_1) | instskip(NEXT) | instid1(VALU_DEP_1)
	v_mul_f32_e32 v12, v14, v9
	v_fma_f32 v15, -v1, v12, v14
	s_delay_alu instid0(VALU_DEP_1) | instskip(NEXT) | instid1(VALU_DEP_1)
	v_fmac_f32_e32 v12, v15, v9
	v_fma_f32 v1, -v1, v12, v14
	v_mov_b32_e32 v14, 0x80
	v_mov_b32_e32 v15, 0
	s_delay_alu instid0(VALU_DEP_3) | instskip(NEXT) | instid1(VALU_DEP_1)
	v_div_fmas_f32 v1, v1, v9, v12
	v_div_fixup_f32 v0, v1, v18, v0
	s_delay_alu instid0(VALU_DEP_1) | instskip(NEXT) | instid1(VALU_DEP_4)
	v_maxmin_f32 v9, v0, v28, v29
	v_dual_mov_b32 v0, v14 :: v_dual_mov_b32 v1, v15
	s_delay_alu instid0(VALU_DEP_2) | instskip(NEXT) | instid1(VALU_DEP_1)
	v_and_b32_e32 v12, 0x7fffffff, v9
	v_cmpx_gt_u32_e32 0x43800000, v12
	s_cbranch_execz .LBB21_77
; %bb.70:                               ;   in Loop: Header=BB21_37 Depth=1
	v_cmp_lt_u32_e32 vcc_lo, 0x3bffffff, v12
	s_mov_b32 s5, 0
                                        ; implicit-def: $vgpr12
	s_and_saveexec_b32 s0, vcc_lo
	s_delay_alu instid0(SALU_CYCLE_1)
	s_xor_b32 s0, exec_lo, s0
; %bb.71:                               ;   in Loop: Header=BB21_37 Depth=1
	v_bfe_u32 v0, v9, 20, 1
	s_mov_b32 s5, exec_lo
	s_delay_alu instid0(VALU_DEP_1) | instskip(NEXT) | instid1(VALU_DEP_1)
	v_add3_u32 v0, v9, v0, 0x487ffff
	v_lshrrev_b32_e32 v12, 20, v0
; %bb.72:                               ;   in Loop: Header=BB21_37 Depth=1
	s_or_saveexec_b32 s11, s0
                                        ; implicit-def: $sgpr0_sgpr1
	s_delay_alu instid0(SALU_CYCLE_1)
	s_xor_b32 exec_lo, exec_lo, s11
; %bb.73:                               ;   in Loop: Header=BB21_37 Depth=1
	v_add_f32_e64 v0, 0x46000000, |v9|
	s_and_not1_b32 s5, s5, exec_lo
	s_mov_b64 s[0:1], 0
	s_delay_alu instid0(VALU_DEP_1) | instskip(NEXT) | instid1(VALU_DEP_1)
	v_and_b32_e32 v12, 0xff, v0
	v_cmp_ne_u32_e32 vcc_lo, 0, v12
	s_and_b32 s12, vcc_lo, exec_lo
	s_delay_alu instid0(SALU_CYCLE_1)
	s_or_b32 s5, s5, s12
; %bb.74:                               ;   in Loop: Header=BB21_37 Depth=1
	s_or_b32 exec_lo, exec_lo, s11
	v_dual_mov_b32 v0, s0 :: v_dual_mov_b32 v1, s1
	s_and_saveexec_b32 s0, s5
; %bb.75:                               ;   in Loop: Header=BB21_37 Depth=1
	v_lshrrev_b32_e32 v0, 24, v9
	s_delay_alu instid0(VALU_DEP_1)
	v_and_or_b32 v0, 0x80, v0, v12
; %bb.76:                               ;   in Loop: Header=BB21_37 Depth=1
	s_or_b32 exec_lo, exec_lo, s0
.LBB21_77:                              ;   in Loop: Header=BB21_37 Depth=1
	s_delay_alu instid0(SALU_CYCLE_1) | instskip(SKIP_2) | instid1(VALU_DEP_1)
	s_or_b32 exec_lo, exec_lo, s4
	v_lshrrev_b32_e32 v1, 16, v2
	s_mov_b32 s4, exec_lo
	v_cvt_f32_f16_e32 v1, v1
	s_delay_alu instid0(VALU_DEP_1) | instskip(NEXT) | instid1(VALU_DEP_1)
	v_div_scale_f32 v2, null, v18, v18, v1
	v_rcp_f32_e32 v9, v2
	s_waitcnt_depctr 0xfff
	v_fma_f32 v12, -v2, v9, 1.0
	s_delay_alu instid0(VALU_DEP_1) | instskip(SKIP_1) | instid1(VALU_DEP_1)
	v_fmac_f32_e32 v9, v12, v9
	v_div_scale_f32 v12, vcc_lo, v1, v18, v1
	v_mul_f32_e32 v15, v12, v9
	s_delay_alu instid0(VALU_DEP_1) | instskip(NEXT) | instid1(VALU_DEP_1)
	v_fma_f32 v16, -v2, v15, v12
	v_fmac_f32_e32 v15, v16, v9
	s_delay_alu instid0(VALU_DEP_1) | instskip(NEXT) | instid1(VALU_DEP_1)
	v_fma_f32 v2, -v2, v15, v12
	v_div_fmas_f32 v2, v2, v9, v15
	s_delay_alu instid0(VALU_DEP_1) | instskip(NEXT) | instid1(VALU_DEP_1)
	v_div_fixup_f32 v1, v2, v18, v1
	v_maxmin_f32 v1, v1, v28, v29
	s_delay_alu instid0(VALU_DEP_1) | instskip(NEXT) | instid1(VALU_DEP_1)
	v_and_b32_e32 v2, 0x7fffffff, v1
	v_cmpx_gt_u32_e32 0x43800000, v2
	s_cbranch_execz .LBB21_85
; %bb.78:                               ;   in Loop: Header=BB21_37 Depth=1
	v_cmp_lt_u32_e32 vcc_lo, 0x3bffffff, v2
	s_mov_b32 s5, 0
                                        ; implicit-def: $vgpr2
	s_and_saveexec_b32 s0, vcc_lo
	s_delay_alu instid0(SALU_CYCLE_1)
	s_xor_b32 s0, exec_lo, s0
; %bb.79:                               ;   in Loop: Header=BB21_37 Depth=1
	v_bfe_u32 v2, v1, 20, 1
	s_mov_b32 s5, exec_lo
	s_delay_alu instid0(VALU_DEP_1) | instskip(NEXT) | instid1(VALU_DEP_1)
	v_add3_u32 v2, v1, v2, 0x487ffff
	v_lshrrev_b32_e32 v2, 20, v2
; %bb.80:                               ;   in Loop: Header=BB21_37 Depth=1
	s_or_saveexec_b32 s11, s0
                                        ; implicit-def: $sgpr0_sgpr1
	s_delay_alu instid0(SALU_CYCLE_1)
	s_xor_b32 exec_lo, exec_lo, s11
; %bb.81:                               ;   in Loop: Header=BB21_37 Depth=1
	v_add_f32_e64 v2, 0x46000000, |v1|
	s_and_not1_b32 s5, s5, exec_lo
	s_mov_b64 s[0:1], 0
	s_delay_alu instid0(VALU_DEP_1) | instskip(NEXT) | instid1(VALU_DEP_1)
	v_and_b32_e32 v2, 0xff, v2
	v_cmp_ne_u32_e32 vcc_lo, 0, v2
	s_and_b32 s12, vcc_lo, exec_lo
	s_delay_alu instid0(SALU_CYCLE_1)
	s_or_b32 s5, s5, s12
; %bb.82:                               ;   in Loop: Header=BB21_37 Depth=1
	s_or_b32 exec_lo, exec_lo, s11
	v_dual_mov_b32 v15, s1 :: v_dual_mov_b32 v14, s0
	s_and_saveexec_b32 s0, s5
; %bb.83:                               ;   in Loop: Header=BB21_37 Depth=1
	v_lshrrev_b32_e32 v1, 24, v1
	s_delay_alu instid0(VALU_DEP_1)
	v_and_or_b32 v14, 0x80, v1, v2
; %bb.84:                               ;   in Loop: Header=BB21_37 Depth=1
	s_or_b32 exec_lo, exec_lo, s0
.LBB21_85:                              ;   in Loop: Header=BB21_37 Depth=1
	s_delay_alu instid0(SALU_CYCLE_1) | instskip(SKIP_2) | instid1(VALU_DEP_1)
	s_or_b32 exec_lo, exec_lo, s4
	v_cvt_f32_f16_e32 v1, v3
	s_mov_b32 s4, exec_lo
	v_div_scale_f32 v2, null, v18, v18, v1
	v_div_scale_f32 v15, vcc_lo, v1, v18, v1
	s_delay_alu instid0(VALU_DEP_2) | instskip(SKIP_2) | instid1(VALU_DEP_1)
	v_rcp_f32_e32 v9, v2
	s_waitcnt_depctr 0xfff
	v_fma_f32 v12, -v2, v9, 1.0
	v_fmac_f32_e32 v9, v12, v9
	s_delay_alu instid0(VALU_DEP_1) | instskip(NEXT) | instid1(VALU_DEP_1)
	v_mul_f32_e32 v12, v15, v9
	v_fma_f32 v16, -v2, v12, v15
	s_delay_alu instid0(VALU_DEP_1) | instskip(NEXT) | instid1(VALU_DEP_1)
	v_fmac_f32_e32 v12, v16, v9
	v_fma_f32 v2, -v2, v12, v15
	s_delay_alu instid0(VALU_DEP_1) | instskip(NEXT) | instid1(VALU_DEP_1)
	v_div_fmas_f32 v2, v2, v9, v12
	v_div_fixup_f32 v1, v2, v18, v1
	s_delay_alu instid0(VALU_DEP_1) | instskip(SKIP_2) | instid1(VALU_DEP_3)
	v_maxmin_f32 v9, v1, v28, v29
	v_mov_b32_e32 v1, 0x80
	v_mov_b32_e32 v2, 0
	v_and_b32_e32 v12, 0x7fffffff, v9
	s_delay_alu instid0(VALU_DEP_2) | instskip(NEXT) | instid1(VALU_DEP_2)
	v_dual_mov_b32 v16, v2 :: v_dual_mov_b32 v15, v1
	v_cmpx_gt_u32_e32 0x43800000, v12
	s_cbranch_execz .LBB21_93
; %bb.86:                               ;   in Loop: Header=BB21_37 Depth=1
	s_mov_b32 s5, 0
	s_mov_b32 s0, exec_lo
                                        ; implicit-def: $vgpr2
	v_cmpx_lt_u32_e32 0x3bffffff, v12
	s_xor_b32 s0, exec_lo, s0
; %bb.87:                               ;   in Loop: Header=BB21_37 Depth=1
	v_bfe_u32 v2, v9, 20, 1
	s_mov_b32 s5, exec_lo
	s_delay_alu instid0(VALU_DEP_1) | instskip(NEXT) | instid1(VALU_DEP_1)
	v_add3_u32 v2, v9, v2, 0x487ffff
	v_lshrrev_b32_e32 v2, 20, v2
; %bb.88:                               ;   in Loop: Header=BB21_37 Depth=1
	s_or_saveexec_b32 s11, s0
                                        ; implicit-def: $sgpr0_sgpr1
	s_delay_alu instid0(SALU_CYCLE_1)
	s_xor_b32 exec_lo, exec_lo, s11
; %bb.89:                               ;   in Loop: Header=BB21_37 Depth=1
	v_add_f32_e64 v2, 0x46000000, |v9|
	s_and_not1_b32 s5, s5, exec_lo
	s_mov_b64 s[0:1], 0
	s_delay_alu instid0(VALU_DEP_1) | instskip(NEXT) | instid1(VALU_DEP_1)
	v_and_b32_e32 v2, 0xff, v2
	v_cmp_ne_u32_e32 vcc_lo, 0, v2
	s_and_b32 s12, vcc_lo, exec_lo
	s_delay_alu instid0(SALU_CYCLE_1)
	s_or_b32 s5, s5, s12
; %bb.90:                               ;   in Loop: Header=BB21_37 Depth=1
	s_or_b32 exec_lo, exec_lo, s11
	v_dual_mov_b32 v16, s1 :: v_dual_mov_b32 v15, s0
	s_and_saveexec_b32 s0, s5
; %bb.91:                               ;   in Loop: Header=BB21_37 Depth=1
	v_lshrrev_b32_e32 v9, 24, v9
	s_delay_alu instid0(VALU_DEP_1)
	v_and_or_b32 v15, 0x80, v9, v2
; %bb.92:                               ;   in Loop: Header=BB21_37 Depth=1
	s_or_b32 exec_lo, exec_lo, s0
.LBB21_93:                              ;   in Loop: Header=BB21_37 Depth=1
	s_delay_alu instid0(SALU_CYCLE_1) | instskip(SKIP_2) | instid1(VALU_DEP_1)
	s_or_b32 exec_lo, exec_lo, s4
	v_lshrrev_b32_e32 v2, 16, v3
	s_mov_b32 s4, exec_lo
	v_cvt_f32_f16_e32 v2, v2
	s_delay_alu instid0(VALU_DEP_1) | instskip(NEXT) | instid1(VALU_DEP_1)
	v_div_scale_f32 v3, null, v18, v18, v2
	v_rcp_f32_e32 v9, v3
	s_waitcnt_depctr 0xfff
	v_fma_f32 v12, -v3, v9, 1.0
	s_delay_alu instid0(VALU_DEP_1) | instskip(SKIP_1) | instid1(VALU_DEP_1)
	v_fmac_f32_e32 v9, v12, v9
	v_div_scale_f32 v12, vcc_lo, v2, v18, v2
	v_mul_f32_e32 v16, v12, v9
	s_delay_alu instid0(VALU_DEP_1) | instskip(NEXT) | instid1(VALU_DEP_1)
	v_fma_f32 v31, -v3, v16, v12
	v_fmac_f32_e32 v16, v31, v9
	s_delay_alu instid0(VALU_DEP_1) | instskip(NEXT) | instid1(VALU_DEP_1)
	v_fma_f32 v3, -v3, v16, v12
	v_div_fmas_f32 v3, v3, v9, v16
	s_delay_alu instid0(VALU_DEP_1) | instskip(NEXT) | instid1(VALU_DEP_1)
	v_div_fixup_f32 v2, v3, v18, v2
	v_maxmin_f32 v3, v2, v28, v29
	s_delay_alu instid0(VALU_DEP_1) | instskip(NEXT) | instid1(VALU_DEP_1)
	v_and_b32_e32 v2, 0x7fffffff, v3
	v_cmpx_gt_u32_e32 0x43800000, v2
	s_cbranch_execz .LBB21_36
; %bb.94:                               ;   in Loop: Header=BB21_37 Depth=1
	s_mov_b32 s5, 0
	s_mov_b32 s0, exec_lo
                                        ; implicit-def: $vgpr9
	v_cmpx_lt_u32_e32 0x3bffffff, v2
	s_xor_b32 s0, exec_lo, s0
; %bb.95:                               ;   in Loop: Header=BB21_37 Depth=1
	v_bfe_u32 v1, v3, 20, 1
	s_mov_b32 s5, exec_lo
	s_delay_alu instid0(VALU_DEP_1) | instskip(NEXT) | instid1(VALU_DEP_1)
	v_add3_u32 v1, v3, v1, 0x487ffff
	v_lshrrev_b32_e32 v9, 20, v1
; %bb.96:                               ;   in Loop: Header=BB21_37 Depth=1
	s_or_saveexec_b32 s11, s0
                                        ; implicit-def: $sgpr0_sgpr1
	s_delay_alu instid0(SALU_CYCLE_1)
	s_xor_b32 exec_lo, exec_lo, s11
; %bb.97:                               ;   in Loop: Header=BB21_37 Depth=1
	v_add_f32_e64 v1, 0x46000000, |v3|
	s_and_not1_b32 s5, s5, exec_lo
	s_mov_b64 s[0:1], 0
	s_delay_alu instid0(VALU_DEP_1) | instskip(NEXT) | instid1(VALU_DEP_1)
	v_and_b32_e32 v9, 0xff, v1
	v_cmp_ne_u32_e32 vcc_lo, 0, v9
	s_and_b32 s12, vcc_lo, exec_lo
	s_delay_alu instid0(SALU_CYCLE_1)
	s_or_b32 s5, s5, s12
; %bb.98:                               ;   in Loop: Header=BB21_37 Depth=1
	s_or_b32 exec_lo, exec_lo, s11
	v_dual_mov_b32 v2, s1 :: v_dual_mov_b32 v1, s0
	s_and_saveexec_b32 s0, s5
	s_cbranch_execz .LBB21_35
; %bb.99:                               ;   in Loop: Header=BB21_37 Depth=1
	v_lshrrev_b32_e32 v1, 24, v3
	s_delay_alu instid0(VALU_DEP_1)
	v_and_or_b32 v1, 0x80, v1, v9
	s_branch .LBB21_35
.LBB21_100:
	s_or_b32 exec_lo, exec_lo, s2
	v_lshlrev_b32_e32 v2, 3, v26
	s_mov_b32 s11, exec_lo
	s_delay_alu instid0(VALU_DEP_1) | instskip(NEXT) | instid1(VALU_DEP_1)
	v_add_nc_u32_e32 v0, v2, v17
	v_cmpx_lt_i32_e64 v0, v20
	s_cbranch_execz .LBB21_118
; %bb.101:
	v_add_nc_u32_e32 v1, 16, v0
	s_mov_b32 s0, 0
	s_mov_b32 s1, exec_lo
	s_delay_alu instid0(VALU_DEP_1) | instskip(NEXT) | instid1(VALU_DEP_1)
	v_max_i32_e32 v3, v1, v20
	v_xad_u32 v3, v17, -1, v3
	s_delay_alu instid0(VALU_DEP_1) | instskip(NEXT) | instid1(VALU_DEP_1)
	v_sub_nc_u32_e32 v2, v3, v2
                                        ; implicit-def: $vgpr3
	v_cmpx_lt_u32_e32 15, v2
	s_xor_b32 s12, exec_lo, s1
	s_cbranch_execnz .LBB21_104
; %bb.102:
	s_and_not1_saveexec_b32 s1, s12
	s_cbranch_execnz .LBB21_107
.LBB21_103:
	s_or_b32 exec_lo, exec_lo, s1
	s_delay_alu instid0(SALU_CYCLE_1)
	s_and_b32 exec_lo, exec_lo, s0
	s_cbranch_execnz .LBB21_108
	s_branch .LBB21_118
.LBB21_104:
	v_lshrrev_b32_e32 v2, 4, v2
	v_dual_mov_b32 v10, v18 :: v_dual_lshlrev_b32 v3, 1, v19
	v_lshlrev_b32_e32 v23, 1, v21
	v_add_co_u32 v8, vcc_lo, v24, v21
	s_delay_alu instid0(VALU_DEP_4)
	v_add_nc_u32_e32 v6, 1, v2
	s_mov_b32 s0, s6
	s_mov_b32 s1, s6
	;; [unrolled: 1-line block ×4, first 2 shown]
	v_and_b32_e32 v7, 0x1ffffffe, v6
	v_lshlrev_b32_e32 v11, 4, v26
	v_add_co_ci_u32_e32 v9, vcc_lo, v25, v22, vcc_lo
	v_max_f32_e64 v12, s0, s0
	s_delay_alu instid0(VALU_DEP_4) | instskip(NEXT) | instid1(VALU_DEP_4)
	v_mov_b32_e32 v16, v7
	v_add3_u32 v2, v3, v11, v23
	v_lshlrev_b32_e32 v11, 1, v17
	v_max_f32_e64 v13, s1, s1
	v_max_f32_e64 v14, s3, s3
	;; [unrolled: 1-line block ×3, first 2 shown]
	s_mov_b32 s13, 0
	v_add3_u32 v11, v2, v11, 0
	v_mov_b32_e32 v2, v1
	v_mov_b32_e32 v1, v0
.LBB21_105:                             ; =>This Inner Loop Header: Depth=1
	ds_load_u16 v17, v11
	ds_load_u16 v19, v11 offset:32
	v_ashrrev_i32_e32 v25, 31, v1
	v_add_co_u32 v24, vcc_lo, v8, v1
	v_ashrrev_i32_e32 v27, 31, v2
	v_dual_mov_b32 v26, v2 :: v_dual_add_nc_u32 v1, 32, v1
	s_delay_alu instid0(VALU_DEP_4) | instskip(SKIP_1) | instid1(VALU_DEP_3)
	v_add_co_ci_u32_e32 v25, vcc_lo, v9, v25, vcc_lo
	v_add_nc_u32_e32 v11, 64, v11
	v_add_co_u32 v26, s0, v8, v26
	s_delay_alu instid0(VALU_DEP_1) | instskip(SKIP_4) | instid1(VALU_DEP_2)
	v_add_co_ci_u32_e64 v27, s0, v9, v27, s0
	s_waitcnt lgkmcnt(1)
	v_cvt_f32_f16_e32 v17, v17
	s_waitcnt lgkmcnt(0)
	v_cvt_f32_f16_e32 v19, v19
	v_div_scale_f32 v28, null, v18, v18, v17
	s_delay_alu instid0(VALU_DEP_2) | instskip(SKIP_1) | instid1(VALU_DEP_3)
	v_div_scale_f32 v29, null, v10, v10, v19
	v_div_scale_f32 v30, vcc_lo, v17, v18, v17
	v_rcp_f32_e32 v31, v28
	s_delay_alu instid0(VALU_DEP_2) | instskip(SKIP_4) | instid1(VALU_DEP_2)
	v_rcp_f32_e32 v32, v29
	v_div_scale_f32 v33, s1, v19, v10, v19
	s_waitcnt_depctr 0xfff
	v_fma_f32 v34, -v28, v31, 1.0
	v_fma_f32 v35, -v29, v32, 1.0
	v_dual_fmac_f32 v31, v34, v31 :: v_dual_add_nc_u32 v2, 32, v2
	s_delay_alu instid0(VALU_DEP_2) | instskip(NEXT) | instid1(VALU_DEP_1)
	v_fmac_f32_e32 v32, v35, v32
	v_dual_mul_f32 v34, v30, v31 :: v_dual_mul_f32 v35, v33, v32
	s_delay_alu instid0(VALU_DEP_1) | instskip(NEXT) | instid1(VALU_DEP_2)
	v_fma_f32 v36, -v28, v34, v30
	v_fma_f32 v37, -v29, v35, v33
	s_delay_alu instid0(VALU_DEP_1) | instskip(NEXT) | instid1(VALU_DEP_1)
	v_dual_fmac_f32 v34, v36, v31 :: v_dual_fmac_f32 v35, v37, v32
	v_fma_f32 v28, -v28, v34, v30
	s_delay_alu instid0(VALU_DEP_2) | instskip(NEXT) | instid1(VALU_DEP_2)
	v_fma_f32 v29, -v29, v35, v33
	v_div_fmas_f32 v28, v28, v31, v34
	s_mov_b32 vcc_lo, s1
	s_delay_alu instid0(VALU_DEP_2) | instskip(NEXT) | instid1(VALU_DEP_2)
	v_div_fmas_f32 v29, v29, v32, v35
	v_div_fixup_f32 v17, v28, v18, v17
	s_delay_alu instid0(VALU_DEP_2) | instskip(NEXT) | instid1(VALU_DEP_2)
	v_div_fixup_f32 v19, v29, v10, v19
	v_maxmin_f32 v17, v17, v12, v15
	s_delay_alu instid0(VALU_DEP_2) | instskip(NEXT) | instid1(VALU_DEP_2)
	v_maxmin_f32 v19, v19, v13, v14
	v_bfe_u32 v29, v17, 20, 1
	v_and_b32_e32 v28, 0x7fffffff, v17
	v_add_f32_e64 v30, 0x46000000, |v17|
	s_delay_alu instid0(VALU_DEP_4)
	v_bfe_u32 v33, v19, 20, 1
	v_and_b32_e32 v32, 0x7fffffff, v19
	v_lshrrev_b32_e32 v31, 24, v17
	v_add3_u32 v17, v17, v29, 0x487ffff
	v_add_f32_e64 v34, 0x46000000, |v19|
	v_lshrrev_b32_e32 v35, 24, v19
	v_add3_u32 v19, v19, v33, 0x487ffff
	v_cmp_gt_u32_e32 vcc_lo, 0x43800000, v28
	v_cmp_gt_u32_e64 s1, 0x3c000000, v28
	v_cmp_gt_u32_e64 s2, 0x43800000, v32
	v_cmp_gt_u32_e64 s3, 0x3c000000, v32
	v_lshrrev_b32_e32 v17, 20, v17
	v_lshrrev_b32_e32 v19, 20, v19
	s_xor_b32 s4, s1, vcc_lo
	v_and_b32_e32 v28, 0xff, v30
	s_xor_b32 s5, s3, s2
	v_cndmask_b32_e64 v17, v30, v17, s4
	v_cndmask_b32_e64 v19, v34, v19, s5
	v_and_b32_e32 v29, 0xff, v34
	v_cmp_eq_u32_e64 s0, 0, v28
	s_delay_alu instid0(VALU_DEP_4) | instskip(NEXT) | instid1(VALU_DEP_4)
	v_and_or_b32 v17, 0x80, v31, v17
	v_and_or_b32 v19, 0x80, v35, v19
	v_add_nc_u32_e32 v16, -2, v16
	v_cmp_eq_u32_e64 s4, 0, v29
	s_and_b32 s0, s1, s0
	v_cndmask_b32_e32 v17, 0xffffff80, v17, vcc_lo
	v_cndmask_b32_e64 v19, 0xffffff80, v19, s2
	v_cmp_eq_u32_e32 vcc_lo, 0, v16
	s_and_b32 s1, s3, s4
	s_delay_alu instid0(VALU_DEP_3) | instskip(NEXT) | instid1(VALU_DEP_3)
	v_cndmask_b32_e64 v17, v17, 0, s0
	v_cndmask_b32_e64 v19, v19, 0, s1
	s_or_b32 s13, vcc_lo, s13
	s_clause 0x1
	global_store_b8 v[24:25], v17, off
	global_store_b8 v[26:27], v19, off
	s_and_not1_b32 exec_lo, exec_lo, s13
	s_cbranch_execnz .LBB21_105
; %bb.106:
	s_or_b32 exec_lo, exec_lo, s13
	v_cmp_ne_u32_e32 vcc_lo, v6, v7
	v_lshl_add_u32 v0, v7, 4, v0
                                        ; implicit-def: $vgpr19
	s_and_b32 s0, vcc_lo, exec_lo
	s_and_not1_saveexec_b32 s1, s12
	s_cbranch_execz .LBB21_103
.LBB21_107:
	v_lshlrev_b32_e32 v3, 1, v19
	s_or_b32 s0, s0, exec_lo
	s_or_b32 exec_lo, exec_lo, s1
	s_delay_alu instid0(SALU_CYCLE_1)
	s_and_b32 exec_lo, exec_lo, s0
	s_cbranch_execz .LBB21_118
.LBB21_108:
	v_add_co_u32 v1, vcc_lo, v21, v4
	v_add_co_ci_u32_e32 v2, vcc_lo, v22, v5, vcc_lo
	v_ashrrev_i32_e32 v4, 31, v0
	s_delay_alu instid0(VALU_DEP_3) | instskip(SKIP_2) | instid1(VALU_DEP_4)
	v_add_co_u32 v1, vcc_lo, v1, v0
	v_lshl_add_u32 v3, v0, 1, v3
	v_max_f32_e64 v5, s7, s7
	v_add_co_ci_u32_e32 v2, vcc_lo, v2, v4, vcc_lo
	s_delay_alu instid0(VALU_DEP_4) | instskip(NEXT) | instid1(VALU_DEP_4)
	v_add_co_u32 v1, vcc_lo, s8, v1
	v_add3_u32 v3, v3, v23, 0
	s_delay_alu instid0(VALU_DEP_3)
	v_add_co_ci_u32_e32 v2, vcc_lo, s9, v2, vcc_lo
	v_max_f32_e64 v4, s6, s6
	s_mov_b32 s1, 0
	s_branch .LBB21_111
.LBB21_109:                             ;   in Loop: Header=BB21_111 Depth=1
	s_or_b32 exec_lo, exec_lo, s3
.LBB21_110:                             ;   in Loop: Header=BB21_111 Depth=1
	s_delay_alu instid0(SALU_CYCLE_1)
	s_or_b32 exec_lo, exec_lo, s0
	v_add_nc_u32_e32 v0, 16, v0
	global_store_b8 v[1:2], v8, off
	v_add_co_u32 v1, s0, v1, 16
	v_add_nc_u32_e32 v3, 32, v3
	v_cmp_ge_i32_e32 vcc_lo, v0, v20
	v_add_co_ci_u32_e64 v2, s0, 0, v2, s0
	s_or_b32 s1, vcc_lo, s1
	s_delay_alu instid0(SALU_CYCLE_1)
	s_and_not1_b32 exec_lo, exec_lo, s1
	s_cbranch_execz .LBB21_118
.LBB21_111:                             ; =>This Inner Loop Header: Depth=1
	ds_load_u16 v6, v3
	s_mov_b32 s0, exec_lo
	s_waitcnt lgkmcnt(0)
	v_cvt_f32_f16_e32 v6, v6
	s_delay_alu instid0(VALU_DEP_1) | instskip(SKIP_1) | instid1(VALU_DEP_2)
	v_div_scale_f32 v7, null, v18, v18, v6
	v_div_scale_f32 v10, vcc_lo, v6, v18, v6
	v_rcp_f32_e32 v8, v7
	s_waitcnt_depctr 0xfff
	v_fma_f32 v9, -v7, v8, 1.0
	s_delay_alu instid0(VALU_DEP_1) | instskip(NEXT) | instid1(VALU_DEP_1)
	v_fmac_f32_e32 v8, v9, v8
	v_mul_f32_e32 v9, v10, v8
	s_delay_alu instid0(VALU_DEP_1) | instskip(NEXT) | instid1(VALU_DEP_1)
	v_fma_f32 v11, -v7, v9, v10
	v_fmac_f32_e32 v9, v11, v8
	s_delay_alu instid0(VALU_DEP_1) | instskip(NEXT) | instid1(VALU_DEP_1)
	v_fma_f32 v7, -v7, v9, v10
	v_div_fmas_f32 v7, v7, v8, v9
	v_mov_b32_e32 v8, 0x80
	s_delay_alu instid0(VALU_DEP_2) | instskip(NEXT) | instid1(VALU_DEP_1)
	v_div_fixup_f32 v6, v7, v18, v6
	v_maxmin_f32 v6, v6, v4, v5
	s_delay_alu instid0(VALU_DEP_1) | instskip(NEXT) | instid1(VALU_DEP_1)
	v_and_b32_e32 v7, 0x7fffffff, v6
	v_cmpx_gt_u32_e32 0x43800000, v7
	s_cbranch_execz .LBB21_110
; %bb.112:                              ;   in Loop: Header=BB21_111 Depth=1
	v_cmp_lt_u32_e32 vcc_lo, 0x3bffffff, v7
	s_mov_b32 s2, 0
                                        ; implicit-def: $vgpr7
	s_and_saveexec_b32 s3, vcc_lo
	s_delay_alu instid0(SALU_CYCLE_1)
	s_xor_b32 s3, exec_lo, s3
	s_cbranch_execnz .LBB21_115
; %bb.113:                              ;   in Loop: Header=BB21_111 Depth=1
	s_or_saveexec_b32 s3, s3
                                        ; implicit-def: $sgpr4
	s_delay_alu instid0(SALU_CYCLE_1)
	s_xor_b32 exec_lo, exec_lo, s3
	s_cbranch_execnz .LBB21_116
.LBB21_114:                             ;   in Loop: Header=BB21_111 Depth=1
	s_or_b32 exec_lo, exec_lo, s3
	v_mov_b32_e32 v8, s4
	s_and_saveexec_b32 s3, s2
	s_cbranch_execz .LBB21_109
	s_branch .LBB21_117
.LBB21_115:                             ;   in Loop: Header=BB21_111 Depth=1
	v_bfe_u32 v7, v6, 20, 1
	s_mov_b32 s2, exec_lo
	s_delay_alu instid0(VALU_DEP_1) | instskip(NEXT) | instid1(VALU_DEP_1)
	v_add3_u32 v7, v6, v7, 0x487ffff
	v_lshrrev_b32_e32 v7, 20, v7
	s_or_saveexec_b32 s3, s3
                                        ; implicit-def: $sgpr4
	s_delay_alu instid0(SALU_CYCLE_1)
	s_xor_b32 exec_lo, exec_lo, s3
	s_cbranch_execz .LBB21_114
.LBB21_116:                             ;   in Loop: Header=BB21_111 Depth=1
	v_add_f32_e64 v7, 0x46000000, |v6|
	s_and_not1_b32 s2, s2, exec_lo
	s_mov_b32 s4, 0
	s_delay_alu instid0(VALU_DEP_1) | instskip(NEXT) | instid1(VALU_DEP_1)
	v_and_b32_e32 v7, 0xff, v7
	v_cmp_ne_u32_e32 vcc_lo, 0, v7
	s_and_b32 s5, vcc_lo, exec_lo
	s_delay_alu instid0(SALU_CYCLE_1)
	s_or_b32 s2, s2, s5
	s_or_b32 exec_lo, exec_lo, s3
	v_mov_b32_e32 v8, s4
	s_and_saveexec_b32 s3, s2
	s_cbranch_execz .LBB21_109
.LBB21_117:                             ;   in Loop: Header=BB21_111 Depth=1
	v_lshrrev_b32_e32 v6, 24, v6
	s_delay_alu instid0(VALU_DEP_1)
	v_and_or_b32 v8, 0x80, v6, v7
	s_branch .LBB21_109
.LBB21_118:
	s_or_b32 exec_lo, exec_lo, s11
                                        ; implicit-def: $vgpr17
                                        ; implicit-def: $vgpr18
                                        ; implicit-def: $vgpr19
                                        ; implicit-def: $vgpr4_vgpr5
.LBB21_119:
	s_and_not1_saveexec_b32 s0, s10
	s_cbranch_execz .LBB21_187
; %bb.120:
	s_ashr_i32 s2, s14, 3
	s_mov_b32 s0, exec_lo
	v_cmpx_gt_i32_e64 s2, v17
	s_cbranch_execz .LBB21_187
; %bb.121:
	v_lshlrev_b32_e32 v0, 3, v17
	v_lshlrev_b32_e32 v1, 1, v19
	;; [unrolled: 1-line block ×3, first 2 shown]
	v_max_f32_e64 v16, s6, s6
	v_max_f32_e64 v19, s7, s7
	v_add_co_u32 v0, vcc_lo, v4, v0
	v_add_co_ci_u32_e32 v3, vcc_lo, 0, v5, vcc_lo
	v_add3_u32 v15, v1, v2, 0
	s_delay_alu instid0(VALU_DEP_3) | instskip(NEXT) | instid1(VALU_DEP_3)
	v_add_co_u32 v4, vcc_lo, s8, v0
	v_add_co_ci_u32_e32 v5, vcc_lo, s9, v3, vcc_lo
	s_mov_b32 s3, 0
	s_branch .LBB21_124
.LBB21_122:                             ;   in Loop: Header=BB21_124 Depth=1
	s_or_b32 exec_lo, exec_lo, s0
.LBB21_123:                             ;   in Loop: Header=BB21_124 Depth=1
	s_delay_alu instid0(SALU_CYCLE_1)
	s_or_b32 exec_lo, exec_lo, s4
	v_lshlrev_b32_e32 v2, 16, v13
	v_lshlrev_b32_e32 v3, 16, v11
	;; [unrolled: 1-line block ×5, first 2 shown]
	v_and_b32_e32 v2, 0xff0000, v2
	v_perm_b32 v3, v9, v3, 0x4020c0c
	v_and_b32_e32 v0, 0xff, v0
	v_and_b32_e32 v8, 0xff, v8
	;; [unrolled: 1-line block ×3, first 2 shown]
	v_or_b32_e32 v1, v1, v2
	v_and_or_b32 v2, 0xff00, v6, v3
	v_add_nc_u32_e32 v17, 16, v17
	v_add_nc_u32_e32 v15, 0x100, v15
	s_delay_alu instid0(VALU_DEP_4) | instskip(NEXT) | instid1(VALU_DEP_4)
	v_or3_b32 v1, v1, v7, v0
	v_or_b32_e32 v0, v2, v8
	s_delay_alu instid0(VALU_DEP_4) | instskip(SKIP_2) | instid1(VALU_DEP_1)
	v_cmp_le_i32_e32 vcc_lo, s2, v17
	global_store_b64 v[4:5], v[0:1], off
	v_add_co_u32 v4, s0, 0x80, v4
	v_add_co_ci_u32_e64 v5, s0, 0, v5, s0
	s_or_b32 s3, vcc_lo, s3
	s_delay_alu instid0(SALU_CYCLE_1)
	s_and_not1_b32 exec_lo, exec_lo, s3
	s_cbranch_execz .LBB21_187
.LBB21_124:                             ; =>This Inner Loop Header: Depth=1
	ds_load_b128 v[0:3], v15
	s_mov_b32 s4, exec_lo
	s_waitcnt lgkmcnt(0)
	v_cvt_f32_f16_e32 v6, v0
	s_delay_alu instid0(VALU_DEP_1) | instskip(SKIP_1) | instid1(VALU_DEP_2)
	v_div_scale_f32 v7, null, v18, v18, v6
	v_div_scale_f32 v10, vcc_lo, v6, v18, v6
	v_rcp_f32_e32 v8, v7
	s_waitcnt_depctr 0xfff
	v_fma_f32 v9, -v7, v8, 1.0
	s_delay_alu instid0(VALU_DEP_1) | instskip(NEXT) | instid1(VALU_DEP_1)
	v_fmac_f32_e32 v8, v9, v8
	v_mul_f32_e32 v9, v10, v8
	s_delay_alu instid0(VALU_DEP_1) | instskip(NEXT) | instid1(VALU_DEP_1)
	v_fma_f32 v11, -v7, v9, v10
	v_fmac_f32_e32 v9, v11, v8
	s_delay_alu instid0(VALU_DEP_1) | instskip(NEXT) | instid1(VALU_DEP_1)
	v_fma_f32 v7, -v7, v9, v10
	v_div_fmas_f32 v7, v7, v8, v9
	s_delay_alu instid0(VALU_DEP_1) | instskip(NEXT) | instid1(VALU_DEP_1)
	v_div_fixup_f32 v6, v7, v18, v6
	v_maxmin_f32 v10, v6, v16, v19
	v_mov_b32_e32 v6, 0x80
	v_mov_b32_e32 v7, 0
	s_delay_alu instid0(VALU_DEP_3) | instskip(NEXT) | instid1(VALU_DEP_2)
	v_and_b32_e32 v11, 0x7fffffff, v10
	v_dual_mov_b32 v9, v7 :: v_dual_mov_b32 v8, v6
	s_delay_alu instid0(VALU_DEP_2)
	v_cmpx_gt_u32_e32 0x43800000, v11
	s_cbranch_execz .LBB21_132
; %bb.125:                              ;   in Loop: Header=BB21_124 Depth=1
	s_mov_b32 s5, 0
	s_mov_b32 s0, exec_lo
                                        ; implicit-def: $vgpr7
	v_cmpx_lt_u32_e32 0x3bffffff, v11
	s_xor_b32 s0, exec_lo, s0
; %bb.126:                              ;   in Loop: Header=BB21_124 Depth=1
	v_bfe_u32 v7, v10, 20, 1
	s_mov_b32 s5, exec_lo
	s_delay_alu instid0(VALU_DEP_1) | instskip(NEXT) | instid1(VALU_DEP_1)
	v_add3_u32 v7, v10, v7, 0x487ffff
	v_lshrrev_b32_e32 v7, 20, v7
; %bb.127:                              ;   in Loop: Header=BB21_124 Depth=1
	s_or_saveexec_b32 s6, s0
                                        ; implicit-def: $sgpr0_sgpr1
	s_delay_alu instid0(SALU_CYCLE_1)
	s_xor_b32 exec_lo, exec_lo, s6
; %bb.128:                              ;   in Loop: Header=BB21_124 Depth=1
	v_add_f32_e64 v7, 0x46000000, |v10|
	s_and_not1_b32 s5, s5, exec_lo
	s_mov_b64 s[0:1], 0
	s_delay_alu instid0(VALU_DEP_1) | instskip(NEXT) | instid1(VALU_DEP_1)
	v_and_b32_e32 v7, 0xff, v7
	v_cmp_ne_u32_e32 vcc_lo, 0, v7
	s_and_b32 s7, vcc_lo, exec_lo
	s_delay_alu instid0(SALU_CYCLE_1)
	s_or_b32 s5, s5, s7
; %bb.129:                              ;   in Loop: Header=BB21_124 Depth=1
	s_or_b32 exec_lo, exec_lo, s6
	v_dual_mov_b32 v9, s1 :: v_dual_mov_b32 v8, s0
	s_and_saveexec_b32 s0, s5
; %bb.130:                              ;   in Loop: Header=BB21_124 Depth=1
	v_lshrrev_b32_e32 v8, 24, v10
	s_delay_alu instid0(VALU_DEP_1)
	v_and_or_b32 v8, 0x80, v8, v7
; %bb.131:                              ;   in Loop: Header=BB21_124 Depth=1
	s_or_b32 exec_lo, exec_lo, s0
.LBB21_132:                             ;   in Loop: Header=BB21_124 Depth=1
	s_delay_alu instid0(SALU_CYCLE_1) | instskip(SKIP_2) | instid1(VALU_DEP_1)
	s_or_b32 exec_lo, exec_lo, s4
	v_lshrrev_b32_e32 v0, 16, v0
	s_mov_b32 s4, exec_lo
	v_cvt_f32_f16_e32 v0, v0
	s_delay_alu instid0(VALU_DEP_1) | instskip(NEXT) | instid1(VALU_DEP_1)
	v_div_scale_f32 v7, null, v18, v18, v0
	v_rcp_f32_e32 v9, v7
	s_waitcnt_depctr 0xfff
	v_fma_f32 v10, -v7, v9, 1.0
	s_delay_alu instid0(VALU_DEP_1) | instskip(SKIP_1) | instid1(VALU_DEP_1)
	v_fmac_f32_e32 v9, v10, v9
	v_div_scale_f32 v10, vcc_lo, v0, v18, v0
	v_mul_f32_e32 v11, v10, v9
	s_delay_alu instid0(VALU_DEP_1) | instskip(NEXT) | instid1(VALU_DEP_1)
	v_fma_f32 v12, -v7, v11, v10
	v_fmac_f32_e32 v11, v12, v9
	s_delay_alu instid0(VALU_DEP_1) | instskip(NEXT) | instid1(VALU_DEP_1)
	v_fma_f32 v7, -v7, v11, v10
	v_div_fmas_f32 v7, v7, v9, v11
	s_delay_alu instid0(VALU_DEP_1) | instskip(NEXT) | instid1(VALU_DEP_1)
	v_div_fixup_f32 v0, v7, v18, v0
	v_maxmin_f32 v0, v0, v16, v19
	s_delay_alu instid0(VALU_DEP_1) | instskip(NEXT) | instid1(VALU_DEP_1)
	v_and_b32_e32 v7, 0x7fffffff, v0
	v_cmpx_gt_u32_e32 0x43800000, v7
	s_cbranch_execz .LBB21_140
; %bb.133:                              ;   in Loop: Header=BB21_124 Depth=1
	s_mov_b32 s5, 0
	s_mov_b32 s0, exec_lo
                                        ; implicit-def: $vgpr9
	v_cmpx_lt_u32_e32 0x3bffffff, v7
	s_xor_b32 s0, exec_lo, s0
; %bb.134:                              ;   in Loop: Header=BB21_124 Depth=1
	v_bfe_u32 v6, v0, 20, 1
	s_mov_b32 s5, exec_lo
	s_delay_alu instid0(VALU_DEP_1) | instskip(NEXT) | instid1(VALU_DEP_1)
	v_add3_u32 v6, v0, v6, 0x487ffff
	v_lshrrev_b32_e32 v9, 20, v6
; %bb.135:                              ;   in Loop: Header=BB21_124 Depth=1
	s_or_saveexec_b32 s6, s0
                                        ; implicit-def: $sgpr0_sgpr1
	s_delay_alu instid0(SALU_CYCLE_1)
	s_xor_b32 exec_lo, exec_lo, s6
; %bb.136:                              ;   in Loop: Header=BB21_124 Depth=1
	v_add_f32_e64 v6, 0x46000000, |v0|
	s_and_not1_b32 s5, s5, exec_lo
	s_mov_b64 s[0:1], 0
	s_delay_alu instid0(VALU_DEP_1) | instskip(NEXT) | instid1(VALU_DEP_1)
	v_and_b32_e32 v9, 0xff, v6
	v_cmp_ne_u32_e32 vcc_lo, 0, v9
	s_and_b32 s7, vcc_lo, exec_lo
	s_delay_alu instid0(SALU_CYCLE_1)
	s_or_b32 s5, s5, s7
; %bb.137:                              ;   in Loop: Header=BB21_124 Depth=1
	s_or_b32 exec_lo, exec_lo, s6
	v_dual_mov_b32 v7, s1 :: v_dual_mov_b32 v6, s0
	s_and_saveexec_b32 s0, s5
; %bb.138:                              ;   in Loop: Header=BB21_124 Depth=1
	v_lshrrev_b32_e32 v0, 24, v0
	s_delay_alu instid0(VALU_DEP_1)
	v_and_or_b32 v6, 0x80, v0, v9
; %bb.139:                              ;   in Loop: Header=BB21_124 Depth=1
	s_or_b32 exec_lo, exec_lo, s0
.LBB21_140:                             ;   in Loop: Header=BB21_124 Depth=1
	s_delay_alu instid0(SALU_CYCLE_1) | instskip(SKIP_2) | instid1(VALU_DEP_1)
	s_or_b32 exec_lo, exec_lo, s4
	v_cvt_f32_f16_e32 v0, v1
	s_mov_b32 s4, exec_lo
	v_div_scale_f32 v7, null, v18, v18, v0
	v_div_scale_f32 v11, vcc_lo, v0, v18, v0
	s_delay_alu instid0(VALU_DEP_2) | instskip(SKIP_2) | instid1(VALU_DEP_1)
	v_rcp_f32_e32 v9, v7
	s_waitcnt_depctr 0xfff
	v_fma_f32 v10, -v7, v9, 1.0
	v_fmac_f32_e32 v9, v10, v9
	s_delay_alu instid0(VALU_DEP_1) | instskip(NEXT) | instid1(VALU_DEP_1)
	v_mul_f32_e32 v10, v11, v9
	v_fma_f32 v12, -v7, v10, v11
	s_delay_alu instid0(VALU_DEP_1) | instskip(NEXT) | instid1(VALU_DEP_1)
	v_fmac_f32_e32 v10, v12, v9
	v_fma_f32 v7, -v7, v10, v11
	s_delay_alu instid0(VALU_DEP_1) | instskip(SKIP_2) | instid1(VALU_DEP_3)
	v_div_fmas_f32 v7, v7, v9, v10
	v_mov_b32_e32 v9, 0x80
	v_mov_b32_e32 v10, 0
	v_div_fixup_f32 v0, v7, v18, v0
	s_delay_alu instid0(VALU_DEP_2) | instskip(NEXT) | instid1(VALU_DEP_2)
	v_dual_mov_b32 v12, v10 :: v_dual_mov_b32 v11, v9
	v_maxmin_f32 v0, v0, v16, v19
	s_delay_alu instid0(VALU_DEP_1) | instskip(NEXT) | instid1(VALU_DEP_1)
	v_and_b32_e32 v7, 0x7fffffff, v0
	v_cmpx_gt_u32_e32 0x43800000, v7
	s_cbranch_execz .LBB21_148
; %bb.141:                              ;   in Loop: Header=BB21_124 Depth=1
	v_cmp_lt_u32_e32 vcc_lo, 0x3bffffff, v7
	s_mov_b32 s5, 0
                                        ; implicit-def: $vgpr7
	s_and_saveexec_b32 s0, vcc_lo
	s_delay_alu instid0(SALU_CYCLE_1)
	s_xor_b32 s0, exec_lo, s0
; %bb.142:                              ;   in Loop: Header=BB21_124 Depth=1
	v_bfe_u32 v7, v0, 20, 1
	s_mov_b32 s5, exec_lo
	s_delay_alu instid0(VALU_DEP_1) | instskip(NEXT) | instid1(VALU_DEP_1)
	v_add3_u32 v7, v0, v7, 0x487ffff
	v_lshrrev_b32_e32 v7, 20, v7
; %bb.143:                              ;   in Loop: Header=BB21_124 Depth=1
	s_or_saveexec_b32 s6, s0
                                        ; implicit-def: $sgpr0_sgpr1
	s_delay_alu instid0(SALU_CYCLE_1)
	s_xor_b32 exec_lo, exec_lo, s6
; %bb.144:                              ;   in Loop: Header=BB21_124 Depth=1
	v_add_f32_e64 v7, 0x46000000, |v0|
	s_and_not1_b32 s5, s5, exec_lo
	s_mov_b64 s[0:1], 0
	s_delay_alu instid0(VALU_DEP_1) | instskip(NEXT) | instid1(VALU_DEP_1)
	v_and_b32_e32 v7, 0xff, v7
	v_cmp_ne_u32_e32 vcc_lo, 0, v7
	s_and_b32 s7, vcc_lo, exec_lo
	s_delay_alu instid0(SALU_CYCLE_1)
	s_or_b32 s5, s5, s7
; %bb.145:                              ;   in Loop: Header=BB21_124 Depth=1
	s_or_b32 exec_lo, exec_lo, s6
	v_dual_mov_b32 v12, s1 :: v_dual_mov_b32 v11, s0
	s_and_saveexec_b32 s0, s5
; %bb.146:                              ;   in Loop: Header=BB21_124 Depth=1
	v_lshrrev_b32_e32 v0, 24, v0
	s_delay_alu instid0(VALU_DEP_1)
	v_and_or_b32 v11, 0x80, v0, v7
; %bb.147:                              ;   in Loop: Header=BB21_124 Depth=1
	s_or_b32 exec_lo, exec_lo, s0
.LBB21_148:                             ;   in Loop: Header=BB21_124 Depth=1
	s_delay_alu instid0(SALU_CYCLE_1) | instskip(SKIP_2) | instid1(VALU_DEP_1)
	s_or_b32 exec_lo, exec_lo, s4
	v_lshrrev_b32_e32 v0, 16, v1
	s_mov_b32 s4, exec_lo
	v_cvt_f32_f16_e32 v0, v0
	s_delay_alu instid0(VALU_DEP_1) | instskip(NEXT) | instid1(VALU_DEP_1)
	v_div_scale_f32 v1, null, v18, v18, v0
	v_rcp_f32_e32 v7, v1
	s_waitcnt_depctr 0xfff
	v_fma_f32 v10, -v1, v7, 1.0
	s_delay_alu instid0(VALU_DEP_1) | instskip(SKIP_1) | instid1(VALU_DEP_1)
	v_fmac_f32_e32 v7, v10, v7
	v_div_scale_f32 v10, vcc_lo, v0, v18, v0
	v_mul_f32_e32 v12, v10, v7
	s_delay_alu instid0(VALU_DEP_1) | instskip(NEXT) | instid1(VALU_DEP_1)
	v_fma_f32 v13, -v1, v12, v10
	v_fmac_f32_e32 v12, v13, v7
	s_delay_alu instid0(VALU_DEP_1) | instskip(NEXT) | instid1(VALU_DEP_1)
	v_fma_f32 v1, -v1, v12, v10
	v_div_fmas_f32 v1, v1, v7, v12
	s_delay_alu instid0(VALU_DEP_1) | instskip(NEXT) | instid1(VALU_DEP_1)
	v_div_fixup_f32 v0, v1, v18, v0
	v_maxmin_f32 v0, v0, v16, v19
	s_delay_alu instid0(VALU_DEP_1) | instskip(NEXT) | instid1(VALU_DEP_1)
	v_and_b32_e32 v1, 0x7fffffff, v0
	v_cmpx_gt_u32_e32 0x43800000, v1
	s_cbranch_execz .LBB21_156
; %bb.149:                              ;   in Loop: Header=BB21_124 Depth=1
	v_cmp_lt_u32_e32 vcc_lo, 0x3bffffff, v1
	s_mov_b32 s5, 0
                                        ; implicit-def: $vgpr1
	s_and_saveexec_b32 s0, vcc_lo
	s_delay_alu instid0(SALU_CYCLE_1)
	s_xor_b32 s0, exec_lo, s0
; %bb.150:                              ;   in Loop: Header=BB21_124 Depth=1
	v_bfe_u32 v1, v0, 20, 1
	s_mov_b32 s5, exec_lo
	s_delay_alu instid0(VALU_DEP_1) | instskip(NEXT) | instid1(VALU_DEP_1)
	v_add3_u32 v1, v0, v1, 0x487ffff
	v_lshrrev_b32_e32 v1, 20, v1
; %bb.151:                              ;   in Loop: Header=BB21_124 Depth=1
	s_or_saveexec_b32 s6, s0
                                        ; implicit-def: $sgpr0_sgpr1
	s_delay_alu instid0(SALU_CYCLE_1)
	s_xor_b32 exec_lo, exec_lo, s6
; %bb.152:                              ;   in Loop: Header=BB21_124 Depth=1
	v_add_f32_e64 v1, 0x46000000, |v0|
	s_and_not1_b32 s5, s5, exec_lo
	s_mov_b64 s[0:1], 0
	s_delay_alu instid0(VALU_DEP_1) | instskip(NEXT) | instid1(VALU_DEP_1)
	v_and_b32_e32 v1, 0xff, v1
	v_cmp_ne_u32_e32 vcc_lo, 0, v1
	s_and_b32 s7, vcc_lo, exec_lo
	s_delay_alu instid0(SALU_CYCLE_1)
	s_or_b32 s5, s5, s7
; %bb.153:                              ;   in Loop: Header=BB21_124 Depth=1
	s_or_b32 exec_lo, exec_lo, s6
	v_dual_mov_b32 v10, s1 :: v_dual_mov_b32 v9, s0
	s_and_saveexec_b32 s0, s5
; %bb.154:                              ;   in Loop: Header=BB21_124 Depth=1
	v_lshrrev_b32_e32 v0, 24, v0
	s_delay_alu instid0(VALU_DEP_1)
	v_and_or_b32 v9, 0x80, v0, v1
; %bb.155:                              ;   in Loop: Header=BB21_124 Depth=1
	s_or_b32 exec_lo, exec_lo, s0
.LBB21_156:                             ;   in Loop: Header=BB21_124 Depth=1
	s_delay_alu instid0(SALU_CYCLE_1) | instskip(SKIP_2) | instid1(VALU_DEP_1)
	s_or_b32 exec_lo, exec_lo, s4
	v_cvt_f32_f16_e32 v0, v2
	s_mov_b32 s4, exec_lo
	v_div_scale_f32 v1, null, v18, v18, v0
	v_div_scale_f32 v12, vcc_lo, v0, v18, v0
	s_delay_alu instid0(VALU_DEP_2) | instskip(SKIP_2) | instid1(VALU_DEP_1)
	v_rcp_f32_e32 v7, v1
	s_waitcnt_depctr 0xfff
	v_fma_f32 v10, -v1, v7, 1.0
	v_fmac_f32_e32 v7, v10, v7
	s_delay_alu instid0(VALU_DEP_1) | instskip(NEXT) | instid1(VALU_DEP_1)
	v_mul_f32_e32 v10, v12, v7
	v_fma_f32 v13, -v1, v10, v12
	s_delay_alu instid0(VALU_DEP_1) | instskip(NEXT) | instid1(VALU_DEP_1)
	v_fmac_f32_e32 v10, v13, v7
	v_fma_f32 v1, -v1, v10, v12
	v_mov_b32_e32 v12, 0x80
	v_mov_b32_e32 v13, 0
	s_delay_alu instid0(VALU_DEP_3) | instskip(NEXT) | instid1(VALU_DEP_1)
	v_div_fmas_f32 v1, v1, v7, v10
	v_div_fixup_f32 v0, v1, v18, v0
	s_delay_alu instid0(VALU_DEP_1) | instskip(NEXT) | instid1(VALU_DEP_4)
	v_maxmin_f32 v7, v0, v16, v19
	v_dual_mov_b32 v0, v12 :: v_dual_mov_b32 v1, v13
	s_delay_alu instid0(VALU_DEP_2) | instskip(NEXT) | instid1(VALU_DEP_1)
	v_and_b32_e32 v10, 0x7fffffff, v7
	v_cmpx_gt_u32_e32 0x43800000, v10
	s_cbranch_execz .LBB21_164
; %bb.157:                              ;   in Loop: Header=BB21_124 Depth=1
	v_cmp_lt_u32_e32 vcc_lo, 0x3bffffff, v10
	s_mov_b32 s5, 0
                                        ; implicit-def: $vgpr10
	s_and_saveexec_b32 s0, vcc_lo
	s_delay_alu instid0(SALU_CYCLE_1)
	s_xor_b32 s0, exec_lo, s0
; %bb.158:                              ;   in Loop: Header=BB21_124 Depth=1
	v_bfe_u32 v0, v7, 20, 1
	s_mov_b32 s5, exec_lo
	s_delay_alu instid0(VALU_DEP_1) | instskip(NEXT) | instid1(VALU_DEP_1)
	v_add3_u32 v0, v7, v0, 0x487ffff
	v_lshrrev_b32_e32 v10, 20, v0
; %bb.159:                              ;   in Loop: Header=BB21_124 Depth=1
	s_or_saveexec_b32 s6, s0
                                        ; implicit-def: $sgpr0_sgpr1
	s_delay_alu instid0(SALU_CYCLE_1)
	s_xor_b32 exec_lo, exec_lo, s6
; %bb.160:                              ;   in Loop: Header=BB21_124 Depth=1
	v_add_f32_e64 v0, 0x46000000, |v7|
	s_and_not1_b32 s5, s5, exec_lo
	s_mov_b64 s[0:1], 0
	s_delay_alu instid0(VALU_DEP_1) | instskip(NEXT) | instid1(VALU_DEP_1)
	v_and_b32_e32 v10, 0xff, v0
	v_cmp_ne_u32_e32 vcc_lo, 0, v10
	s_and_b32 s7, vcc_lo, exec_lo
	s_delay_alu instid0(SALU_CYCLE_1)
	s_or_b32 s5, s5, s7
; %bb.161:                              ;   in Loop: Header=BB21_124 Depth=1
	s_or_b32 exec_lo, exec_lo, s6
	v_dual_mov_b32 v0, s0 :: v_dual_mov_b32 v1, s1
	s_and_saveexec_b32 s0, s5
; %bb.162:                              ;   in Loop: Header=BB21_124 Depth=1
	v_lshrrev_b32_e32 v0, 24, v7
	s_delay_alu instid0(VALU_DEP_1)
	v_and_or_b32 v0, 0x80, v0, v10
; %bb.163:                              ;   in Loop: Header=BB21_124 Depth=1
	s_or_b32 exec_lo, exec_lo, s0
.LBB21_164:                             ;   in Loop: Header=BB21_124 Depth=1
	s_delay_alu instid0(SALU_CYCLE_1) | instskip(SKIP_2) | instid1(VALU_DEP_1)
	s_or_b32 exec_lo, exec_lo, s4
	v_lshrrev_b32_e32 v1, 16, v2
	s_mov_b32 s4, exec_lo
	v_cvt_f32_f16_e32 v1, v1
	s_delay_alu instid0(VALU_DEP_1) | instskip(NEXT) | instid1(VALU_DEP_1)
	v_div_scale_f32 v2, null, v18, v18, v1
	v_rcp_f32_e32 v7, v2
	s_waitcnt_depctr 0xfff
	v_fma_f32 v10, -v2, v7, 1.0
	s_delay_alu instid0(VALU_DEP_1) | instskip(SKIP_1) | instid1(VALU_DEP_1)
	v_fmac_f32_e32 v7, v10, v7
	v_div_scale_f32 v10, vcc_lo, v1, v18, v1
	v_mul_f32_e32 v13, v10, v7
	s_delay_alu instid0(VALU_DEP_1) | instskip(NEXT) | instid1(VALU_DEP_1)
	v_fma_f32 v14, -v2, v13, v10
	v_fmac_f32_e32 v13, v14, v7
	s_delay_alu instid0(VALU_DEP_1) | instskip(NEXT) | instid1(VALU_DEP_1)
	v_fma_f32 v2, -v2, v13, v10
	v_div_fmas_f32 v2, v2, v7, v13
	s_delay_alu instid0(VALU_DEP_1) | instskip(NEXT) | instid1(VALU_DEP_1)
	v_div_fixup_f32 v1, v2, v18, v1
	v_maxmin_f32 v1, v1, v16, v19
	s_delay_alu instid0(VALU_DEP_1) | instskip(NEXT) | instid1(VALU_DEP_1)
	v_and_b32_e32 v2, 0x7fffffff, v1
	v_cmpx_gt_u32_e32 0x43800000, v2
	s_cbranch_execz .LBB21_172
; %bb.165:                              ;   in Loop: Header=BB21_124 Depth=1
	v_cmp_lt_u32_e32 vcc_lo, 0x3bffffff, v2
	s_mov_b32 s5, 0
                                        ; implicit-def: $vgpr2
	s_and_saveexec_b32 s0, vcc_lo
	s_delay_alu instid0(SALU_CYCLE_1)
	s_xor_b32 s0, exec_lo, s0
; %bb.166:                              ;   in Loop: Header=BB21_124 Depth=1
	v_bfe_u32 v2, v1, 20, 1
	s_mov_b32 s5, exec_lo
	s_delay_alu instid0(VALU_DEP_1) | instskip(NEXT) | instid1(VALU_DEP_1)
	v_add3_u32 v2, v1, v2, 0x487ffff
	v_lshrrev_b32_e32 v2, 20, v2
; %bb.167:                              ;   in Loop: Header=BB21_124 Depth=1
	s_or_saveexec_b32 s6, s0
                                        ; implicit-def: $sgpr0_sgpr1
	s_delay_alu instid0(SALU_CYCLE_1)
	s_xor_b32 exec_lo, exec_lo, s6
; %bb.168:                              ;   in Loop: Header=BB21_124 Depth=1
	v_add_f32_e64 v2, 0x46000000, |v1|
	s_and_not1_b32 s5, s5, exec_lo
	s_mov_b64 s[0:1], 0
	s_delay_alu instid0(VALU_DEP_1) | instskip(NEXT) | instid1(VALU_DEP_1)
	v_and_b32_e32 v2, 0xff, v2
	v_cmp_ne_u32_e32 vcc_lo, 0, v2
	s_and_b32 s7, vcc_lo, exec_lo
	s_delay_alu instid0(SALU_CYCLE_1)
	s_or_b32 s5, s5, s7
; %bb.169:                              ;   in Loop: Header=BB21_124 Depth=1
	s_or_b32 exec_lo, exec_lo, s6
	v_dual_mov_b32 v13, s1 :: v_dual_mov_b32 v12, s0
	s_and_saveexec_b32 s0, s5
; %bb.170:                              ;   in Loop: Header=BB21_124 Depth=1
	v_lshrrev_b32_e32 v1, 24, v1
	s_delay_alu instid0(VALU_DEP_1)
	v_and_or_b32 v12, 0x80, v1, v2
; %bb.171:                              ;   in Loop: Header=BB21_124 Depth=1
	s_or_b32 exec_lo, exec_lo, s0
.LBB21_172:                             ;   in Loop: Header=BB21_124 Depth=1
	s_delay_alu instid0(SALU_CYCLE_1) | instskip(SKIP_2) | instid1(VALU_DEP_1)
	s_or_b32 exec_lo, exec_lo, s4
	v_cvt_f32_f16_e32 v1, v3
	s_mov_b32 s4, exec_lo
	v_div_scale_f32 v2, null, v18, v18, v1
	v_div_scale_f32 v13, vcc_lo, v1, v18, v1
	s_delay_alu instid0(VALU_DEP_2) | instskip(SKIP_2) | instid1(VALU_DEP_1)
	v_rcp_f32_e32 v7, v2
	s_waitcnt_depctr 0xfff
	v_fma_f32 v10, -v2, v7, 1.0
	v_fmac_f32_e32 v7, v10, v7
	s_delay_alu instid0(VALU_DEP_1) | instskip(NEXT) | instid1(VALU_DEP_1)
	v_mul_f32_e32 v10, v13, v7
	v_fma_f32 v14, -v2, v10, v13
	s_delay_alu instid0(VALU_DEP_1) | instskip(NEXT) | instid1(VALU_DEP_1)
	v_fmac_f32_e32 v10, v14, v7
	v_fma_f32 v2, -v2, v10, v13
	s_delay_alu instid0(VALU_DEP_1) | instskip(NEXT) | instid1(VALU_DEP_1)
	v_div_fmas_f32 v2, v2, v7, v10
	v_div_fixup_f32 v1, v2, v18, v1
	s_delay_alu instid0(VALU_DEP_1) | instskip(SKIP_2) | instid1(VALU_DEP_3)
	v_maxmin_f32 v7, v1, v16, v19
	v_mov_b32_e32 v1, 0x80
	v_mov_b32_e32 v2, 0
	v_and_b32_e32 v10, 0x7fffffff, v7
	s_delay_alu instid0(VALU_DEP_2) | instskip(NEXT) | instid1(VALU_DEP_2)
	v_dual_mov_b32 v14, v2 :: v_dual_mov_b32 v13, v1
	v_cmpx_gt_u32_e32 0x43800000, v10
	s_cbranch_execz .LBB21_180
; %bb.173:                              ;   in Loop: Header=BB21_124 Depth=1
	s_mov_b32 s5, 0
	s_mov_b32 s0, exec_lo
                                        ; implicit-def: $vgpr2
	v_cmpx_lt_u32_e32 0x3bffffff, v10
	s_xor_b32 s0, exec_lo, s0
; %bb.174:                              ;   in Loop: Header=BB21_124 Depth=1
	v_bfe_u32 v2, v7, 20, 1
	s_mov_b32 s5, exec_lo
	s_delay_alu instid0(VALU_DEP_1) | instskip(NEXT) | instid1(VALU_DEP_1)
	v_add3_u32 v2, v7, v2, 0x487ffff
	v_lshrrev_b32_e32 v2, 20, v2
; %bb.175:                              ;   in Loop: Header=BB21_124 Depth=1
	s_or_saveexec_b32 s6, s0
                                        ; implicit-def: $sgpr0_sgpr1
	s_delay_alu instid0(SALU_CYCLE_1)
	s_xor_b32 exec_lo, exec_lo, s6
; %bb.176:                              ;   in Loop: Header=BB21_124 Depth=1
	v_add_f32_e64 v2, 0x46000000, |v7|
	s_and_not1_b32 s5, s5, exec_lo
	s_mov_b64 s[0:1], 0
	s_delay_alu instid0(VALU_DEP_1) | instskip(NEXT) | instid1(VALU_DEP_1)
	v_and_b32_e32 v2, 0xff, v2
	v_cmp_ne_u32_e32 vcc_lo, 0, v2
	s_and_b32 s7, vcc_lo, exec_lo
	s_delay_alu instid0(SALU_CYCLE_1)
	s_or_b32 s5, s5, s7
; %bb.177:                              ;   in Loop: Header=BB21_124 Depth=1
	s_or_b32 exec_lo, exec_lo, s6
	v_dual_mov_b32 v14, s1 :: v_dual_mov_b32 v13, s0
	s_and_saveexec_b32 s0, s5
; %bb.178:                              ;   in Loop: Header=BB21_124 Depth=1
	v_lshrrev_b32_e32 v7, 24, v7
	s_delay_alu instid0(VALU_DEP_1)
	v_and_or_b32 v13, 0x80, v7, v2
; %bb.179:                              ;   in Loop: Header=BB21_124 Depth=1
	s_or_b32 exec_lo, exec_lo, s0
.LBB21_180:                             ;   in Loop: Header=BB21_124 Depth=1
	s_delay_alu instid0(SALU_CYCLE_1) | instskip(SKIP_2) | instid1(VALU_DEP_1)
	s_or_b32 exec_lo, exec_lo, s4
	v_lshrrev_b32_e32 v2, 16, v3
	s_mov_b32 s4, exec_lo
	v_cvt_f32_f16_e32 v2, v2
	s_delay_alu instid0(VALU_DEP_1) | instskip(NEXT) | instid1(VALU_DEP_1)
	v_div_scale_f32 v3, null, v18, v18, v2
	v_rcp_f32_e32 v7, v3
	s_waitcnt_depctr 0xfff
	v_fma_f32 v10, -v3, v7, 1.0
	s_delay_alu instid0(VALU_DEP_1) | instskip(SKIP_1) | instid1(VALU_DEP_1)
	v_fmac_f32_e32 v7, v10, v7
	v_div_scale_f32 v10, vcc_lo, v2, v18, v2
	v_mul_f32_e32 v14, v10, v7
	s_delay_alu instid0(VALU_DEP_1) | instskip(NEXT) | instid1(VALU_DEP_1)
	v_fma_f32 v20, -v3, v14, v10
	v_fmac_f32_e32 v14, v20, v7
	s_delay_alu instid0(VALU_DEP_1) | instskip(NEXT) | instid1(VALU_DEP_1)
	v_fma_f32 v3, -v3, v14, v10
	v_div_fmas_f32 v3, v3, v7, v14
	s_delay_alu instid0(VALU_DEP_1) | instskip(NEXT) | instid1(VALU_DEP_1)
	v_div_fixup_f32 v2, v3, v18, v2
	v_maxmin_f32 v3, v2, v16, v19
	s_delay_alu instid0(VALU_DEP_1) | instskip(NEXT) | instid1(VALU_DEP_1)
	v_and_b32_e32 v2, 0x7fffffff, v3
	v_cmpx_gt_u32_e32 0x43800000, v2
	s_cbranch_execz .LBB21_123
; %bb.181:                              ;   in Loop: Header=BB21_124 Depth=1
	s_mov_b32 s5, 0
	s_mov_b32 s0, exec_lo
                                        ; implicit-def: $vgpr7
	v_cmpx_lt_u32_e32 0x3bffffff, v2
	s_xor_b32 s0, exec_lo, s0
; %bb.182:                              ;   in Loop: Header=BB21_124 Depth=1
	v_bfe_u32 v1, v3, 20, 1
	s_mov_b32 s5, exec_lo
	s_delay_alu instid0(VALU_DEP_1) | instskip(NEXT) | instid1(VALU_DEP_1)
	v_add3_u32 v1, v3, v1, 0x487ffff
	v_lshrrev_b32_e32 v7, 20, v1
; %bb.183:                              ;   in Loop: Header=BB21_124 Depth=1
	s_or_saveexec_b32 s6, s0
                                        ; implicit-def: $sgpr0_sgpr1
	s_delay_alu instid0(SALU_CYCLE_1)
	s_xor_b32 exec_lo, exec_lo, s6
; %bb.184:                              ;   in Loop: Header=BB21_124 Depth=1
	v_add_f32_e64 v1, 0x46000000, |v3|
	s_and_not1_b32 s5, s5, exec_lo
	s_mov_b64 s[0:1], 0
	s_delay_alu instid0(VALU_DEP_1) | instskip(NEXT) | instid1(VALU_DEP_1)
	v_and_b32_e32 v7, 0xff, v1
	v_cmp_ne_u32_e32 vcc_lo, 0, v7
	s_and_b32 s7, vcc_lo, exec_lo
	s_delay_alu instid0(SALU_CYCLE_1)
	s_or_b32 s5, s5, s7
; %bb.185:                              ;   in Loop: Header=BB21_124 Depth=1
	s_or_b32 exec_lo, exec_lo, s6
	v_dual_mov_b32 v2, s1 :: v_dual_mov_b32 v1, s0
	s_and_saveexec_b32 s0, s5
	s_cbranch_execz .LBB21_122
; %bb.186:                              ;   in Loop: Header=BB21_124 Depth=1
	v_lshrrev_b32_e32 v1, 24, v3
	s_delay_alu instid0(VALU_DEP_1)
	v_and_or_b32 v1, 0x80, v1, v7
	s_branch .LBB21_122
.LBB21_187:
	s_nop 0
	s_sendmsg sendmsg(MSG_DEALLOC_VGPRS)
	s_endpgm
.LBB21_188:
	v_bfe_u32 v1, v0, 20, 1
	s_mov_b32 s2, exec_lo
	s_delay_alu instid0(VALU_DEP_1) | instskip(NEXT) | instid1(VALU_DEP_1)
	v_add3_u32 v1, v0, v1, 0x487ffff
	v_lshrrev_b32_e32 v1, 20, v1
	s_or_saveexec_b32 s3, s3
                                        ; implicit-def: $sgpr4
	s_delay_alu instid0(SALU_CYCLE_1)
	s_xor_b32 exec_lo, exec_lo, s3
	s_cbranch_execz .LBB21_29
.LBB21_189:
	v_add_f32_e64 v1, 0x46000000, |v0|
	s_and_not1_b32 s2, s2, exec_lo
	s_mov_b32 s4, 0
	s_delay_alu instid0(VALU_DEP_1) | instskip(NEXT) | instid1(VALU_DEP_1)
	v_and_b32_e32 v1, 0xff, v1
	v_cmp_ne_u32_e32 vcc_lo, 0, v1
	s_and_b32 s5, vcc_lo, exec_lo
	s_delay_alu instid0(SALU_CYCLE_1)
	s_or_b32 s2, s2, s5
	s_or_b32 exec_lo, exec_lo, s3
	v_mov_b32_e32 v2, s4
	s_and_saveexec_b32 s3, s2
	s_cbranch_execnz .LBB21_30
	s_branch .LBB21_31
	.section	.rodata,"a",@progbits
	.p2align	6, 0x0
	.amdhsa_kernel _Z33per_token_group_quant_8bit_kernelIN3c104HalfENS0_15Float8_e4m3fnuzELb1ELb0EfEvPKT_PvPT3_iiifffii
		.amdhsa_group_segment_fixed_size 0
		.amdhsa_private_segment_fixed_size 0
		.amdhsa_kernarg_size 56
		.amdhsa_user_sgpr_count 15
		.amdhsa_user_sgpr_dispatch_ptr 0
		.amdhsa_user_sgpr_queue_ptr 0
		.amdhsa_user_sgpr_kernarg_segment_ptr 1
		.amdhsa_user_sgpr_dispatch_id 0
		.amdhsa_user_sgpr_private_segment_size 0
		.amdhsa_wavefront_size32 1
		.amdhsa_uses_dynamic_stack 0
		.amdhsa_enable_private_segment 0
		.amdhsa_system_sgpr_workgroup_id_x 1
		.amdhsa_system_sgpr_workgroup_id_y 0
		.amdhsa_system_sgpr_workgroup_id_z 0
		.amdhsa_system_sgpr_workgroup_info 0
		.amdhsa_system_vgpr_workitem_id 0
		.amdhsa_next_free_vgpr 38
		.amdhsa_next_free_sgpr 17
		.amdhsa_reserve_vcc 1
		.amdhsa_float_round_mode_32 0
		.amdhsa_float_round_mode_16_64 0
		.amdhsa_float_denorm_mode_32 3
		.amdhsa_float_denorm_mode_16_64 3
		.amdhsa_dx10_clamp 1
		.amdhsa_ieee_mode 1
		.amdhsa_fp16_overflow 0
		.amdhsa_workgroup_processor_mode 1
		.amdhsa_memory_ordered 1
		.amdhsa_forward_progress 0
		.amdhsa_shared_vgpr_count 0
		.amdhsa_exception_fp_ieee_invalid_op 0
		.amdhsa_exception_fp_denorm_src 0
		.amdhsa_exception_fp_ieee_div_zero 0
		.amdhsa_exception_fp_ieee_overflow 0
		.amdhsa_exception_fp_ieee_underflow 0
		.amdhsa_exception_fp_ieee_inexact 0
		.amdhsa_exception_int_div_zero 0
	.end_amdhsa_kernel
	.section	.text._Z33per_token_group_quant_8bit_kernelIN3c104HalfENS0_15Float8_e4m3fnuzELb1ELb0EfEvPKT_PvPT3_iiifffii,"axG",@progbits,_Z33per_token_group_quant_8bit_kernelIN3c104HalfENS0_15Float8_e4m3fnuzELb1ELb0EfEvPKT_PvPT3_iiifffii,comdat
.Lfunc_end21:
	.size	_Z33per_token_group_quant_8bit_kernelIN3c104HalfENS0_15Float8_e4m3fnuzELb1ELb0EfEvPKT_PvPT3_iiifffii, .Lfunc_end21-_Z33per_token_group_quant_8bit_kernelIN3c104HalfENS0_15Float8_e4m3fnuzELb1ELb0EfEvPKT_PvPT3_iiifffii
                                        ; -- End function
	.section	.AMDGPU.csdata,"",@progbits
; Kernel info:
; codeLenInByte = 10064
; NumSgprs: 19
; NumVgprs: 38
; ScratchSize: 0
; MemoryBound: 0
; FloatMode: 240
; IeeeMode: 1
; LDSByteSize: 0 bytes/workgroup (compile time only)
; SGPRBlocks: 2
; VGPRBlocks: 4
; NumSGPRsForWavesPerEU: 19
; NumVGPRsForWavesPerEU: 38
; Occupancy: 16
; WaveLimiterHint : 0
; COMPUTE_PGM_RSRC2:SCRATCH_EN: 0
; COMPUTE_PGM_RSRC2:USER_SGPR: 15
; COMPUTE_PGM_RSRC2:TRAP_HANDLER: 0
; COMPUTE_PGM_RSRC2:TGID_X_EN: 1
; COMPUTE_PGM_RSRC2:TGID_Y_EN: 0
; COMPUTE_PGM_RSRC2:TGID_Z_EN: 0
; COMPUTE_PGM_RSRC2:TIDIG_COMP_CNT: 0
	.section	.text._Z33per_token_group_quant_8bit_kernelIN3c104HalfENS0_15Float8_e4m3fnuzELb0ELb1EfEvPKT_PvPT3_iiifffii,"axG",@progbits,_Z33per_token_group_quant_8bit_kernelIN3c104HalfENS0_15Float8_e4m3fnuzELb0ELb1EfEvPKT_PvPT3_iiifffii,comdat
	.protected	_Z33per_token_group_quant_8bit_kernelIN3c104HalfENS0_15Float8_e4m3fnuzELb0ELb1EfEvPKT_PvPT3_iiifffii ; -- Begin function _Z33per_token_group_quant_8bit_kernelIN3c104HalfENS0_15Float8_e4m3fnuzELb0ELb1EfEvPKT_PvPT3_iiifffii
	.globl	_Z33per_token_group_quant_8bit_kernelIN3c104HalfENS0_15Float8_e4m3fnuzELb0ELb1EfEvPKT_PvPT3_iiifffii
	.p2align	8
	.type	_Z33per_token_group_quant_8bit_kernelIN3c104HalfENS0_15Float8_e4m3fnuzELb0ELb1EfEvPKT_PvPT3_iiifffii,@function
_Z33per_token_group_quant_8bit_kernelIN3c104HalfENS0_15Float8_e4m3fnuzELb0ELb1EfEvPKT_PvPT3_iiifffii: ; @_Z33per_token_group_quant_8bit_kernelIN3c104HalfENS0_15Float8_e4m3fnuzELb0ELb1EfEvPKT_PvPT3_iiifffii
; %bb.0:
	s_clause 0x1
	s_load_b128 s[4:7], s[0:1], 0x20
	s_load_b32 s10, s[0:1], 0x18
	v_lshrrev_b32_e32 v3, 4, v0
	v_and_b32_e32 v17, 15, v0
	s_waitcnt lgkmcnt(0)
	s_mul_i32 s15, s15, s4
	s_ashr_i32 s4, s10, 31
	v_add_co_u32 v1, s2, s15, v3
	s_delay_alu instid0(VALU_DEP_1) | instskip(SKIP_1) | instid1(VALU_DEP_2)
	v_add_co_ci_u32_e64 v2, null, 0, 0, s2
	s_load_b64 s[2:3], s[0:1], 0x0
	v_mul_lo_u32 v7, v1, s4
	v_mad_u64_u32 v[4:5], null, v1, s10, 0
	s_delay_alu instid0(VALU_DEP_3) | instskip(SKIP_2) | instid1(SALU_CYCLE_1)
	v_mul_lo_u32 v6, v2, s10
	v_mul_lo_u32 v19, v3, s10
	s_and_b32 s8, s10, 7
                                        ; implicit-def: $vgpr3
	s_cmp_eq_u32 s8, 0
	s_cselect_b32 s4, -1, 0
	s_cmp_lg_u32 s8, 0
	s_delay_alu instid0(VALU_DEP_2) | instskip(NEXT) | instid1(VALU_DEP_2)
	v_add3_u32 v5, v5, v7, v6
	v_lshl_add_u32 v0, v19, 1, 0
	s_cselect_b32 s8, -1, 0
	s_delay_alu instid0(VALU_DEP_2) | instskip(SKIP_1) | instid1(VALU_DEP_1)
	v_lshlrev_b64 v[6:7], 1, v[4:5]
	s_waitcnt lgkmcnt(0)
	v_add_co_u32 v8, vcc_lo, s2, v6
	v_mov_b32_e32 v11, 0
	s_delay_alu instid0(VALU_DEP_3) | instskip(NEXT) | instid1(VALU_DEP_3)
	v_add_co_ci_u32_e32 v9, vcc_lo, s3, v7, vcc_lo
	v_and_b32_e32 v10, 15, v8
	s_delay_alu instid0(VALU_DEP_1) | instskip(SKIP_1) | instid1(SALU_CYCLE_1)
	v_cmp_ne_u64_e32 vcc_lo, 0, v[10:11]
	s_or_b32 s8, s8, vcc_lo
	s_and_saveexec_b32 s9, s8
	s_delay_alu instid0(SALU_CYCLE_1)
	s_xor_b32 s8, exec_lo, s9
	s_cbranch_execz .LBB22_12
; %bb.1:
	v_sub_nc_u32_e32 v3, 0, v8
	s_mov_b32 s9, exec_lo
	s_delay_alu instid0(VALU_DEP_1) | instskip(NEXT) | instid1(VALU_DEP_1)
	v_bfe_u32 v3, v3, 1, 3
	v_min_i32_e32 v10, s10, v3
	v_mov_b32_e32 v3, s5
	s_delay_alu instid0(VALU_DEP_2)
	v_cmpx_gt_i32_e64 v10, v17
	s_cbranch_execz .LBB22_3
; %bb.2:
	v_lshlrev_b32_e32 v3, 1, v17
	v_max_f32_e64 v11, s5, s5
	s_delay_alu instid0(VALU_DEP_2) | instskip(SKIP_4) | instid1(VALU_DEP_1)
	v_add_co_u32 v8, vcc_lo, v8, v3
	v_add_co_ci_u32_e32 v9, vcc_lo, 0, v9, vcc_lo
	global_load_u16 v8, v[8:9], off
	s_waitcnt vmcnt(0)
	v_cvt_f32_f16_e64 v9, |v8|
	v_dual_max_f32 v3, v11, v9 :: v_dual_add_nc_u32 v12, v0, v3
	ds_store_b16 v12, v8
.LBB22_3:
	s_or_b32 exec_lo, exec_lo, s9
	v_sub_nc_u32_e32 v12, s10, v10
	v_ashrrev_i32_e32 v11, 31, v10
	v_lshlrev_b32_e32 v13, 1, v10
	s_mov_b32 s9, exec_lo
	s_delay_alu instid0(VALU_DEP_3) | instskip(NEXT) | instid1(VALU_DEP_1)
	v_ashrrev_i32_e32 v8, 31, v12
	v_lshrrev_b32_e32 v8, 29, v8
	s_delay_alu instid0(VALU_DEP_1) | instskip(NEXT) | instid1(VALU_DEP_1)
	v_add_nc_u32_e32 v8, v12, v8
	v_ashrrev_i32_e32 v14, 3, v8
	v_lshlrev_b64 v[8:9], 1, v[10:11]
	s_delay_alu instid0(VALU_DEP_2)
	v_cmpx_gt_i32_e64 v14, v17
	s_cbranch_execz .LBB22_7
; %bb.4:
	v_lshlrev_b32_e32 v10, 4, v17
	s_mov_b32 s11, 0
	s_delay_alu instid0(VALU_DEP_1) | instskip(SKIP_2) | instid1(VALU_DEP_3)
	v_add_co_u32 v11, vcc_lo, v6, v10
	v_add_co_ci_u32_e32 v15, vcc_lo, 0, v7, vcc_lo
	v_lshl_add_u32 v10, v19, 1, v10
	v_add_co_u32 v11, vcc_lo, v11, v8
	s_delay_alu instid0(VALU_DEP_3) | instskip(NEXT) | instid1(VALU_DEP_2)
	v_add_co_ci_u32_e32 v15, vcc_lo, v15, v9, vcc_lo
	v_add_co_u32 v11, vcc_lo, v11, s2
	s_delay_alu instid0(VALU_DEP_2) | instskip(SKIP_1) | instid1(VALU_DEP_3)
	v_add_co_ci_u32_e32 v16, vcc_lo, s3, v15, vcc_lo
	v_add3_u32 v15, v10, v13, 0
	v_add_co_u32 v10, vcc_lo, v11, 8
	s_delay_alu instid0(VALU_DEP_3)
	v_add_co_ci_u32_e32 v11, vcc_lo, 0, v16, vcc_lo
	v_mov_b32_e32 v16, v17
	s_set_inst_prefetch_distance 0x1
	.p2align	6
.LBB22_5:                               ; =>This Inner Loop Header: Depth=1
	global_load_b128 v[20:23], v[10:11], off offset:-8
	v_add_nc_u32_e32 v16, 16, v16
	v_add_co_u32 v10, vcc_lo, 0x100, v10
	v_add_co_ci_u32_e32 v11, vcc_lo, 0, v11, vcc_lo
	s_delay_alu instid0(VALU_DEP_3)
	v_cmp_ge_i32_e32 vcc_lo, v16, v14
	s_or_b32 s11, vcc_lo, s11
	s_waitcnt vmcnt(0)
	v_lshrrev_b32_e32 v18, 16, v20
	v_cvt_f32_f16_e64 v24, |v20|
	v_lshrrev_b32_e32 v25, 16, v21
	v_cvt_f32_f16_e64 v26, |v21|
	v_lshrrev_b32_e32 v27, 16, v22
	v_cvt_f32_f16_e64 v18, |v18|
	ds_store_b128 v15, v[20:23]
	v_cvt_f32_f16_e64 v25, |v25|
	v_add_nc_u32_e32 v15, 0x100, v15
	v_cvt_f32_f16_e64 v27, |v27|
	v_max3_f32 v3, v3, v24, v18
	v_cvt_f32_f16_e64 v18, |v22|
	v_lshrrev_b32_e32 v24, 16, v23
	s_delay_alu instid0(VALU_DEP_3) | instskip(SKIP_1) | instid1(VALU_DEP_3)
	v_max3_f32 v3, v3, v26, v25
	v_cvt_f32_f16_e64 v25, |v23|
	v_cvt_f32_f16_e64 v24, |v24|
	s_delay_alu instid0(VALU_DEP_3) | instskip(NEXT) | instid1(VALU_DEP_1)
	v_max3_f32 v3, v3, v18, v27
	v_max3_f32 v3, v3, v25, v24
	s_and_not1_b32 exec_lo, exec_lo, s11
	s_cbranch_execnz .LBB22_5
; %bb.6:
	s_set_inst_prefetch_distance 0x2
	s_or_b32 exec_lo, exec_lo, s11
.LBB22_7:
	s_delay_alu instid0(SALU_CYCLE_1) | instskip(SKIP_2) | instid1(VALU_DEP_1)
	s_or_b32 exec_lo, exec_lo, s9
	v_lshl_add_u32 v10, v14, 3, v17
	s_mov_b32 s9, exec_lo
	v_cmpx_lt_i32_e64 v10, v12
	s_cbranch_execz .LBB22_11
; %bb.8:
	v_ashrrev_i32_e32 v11, 31, v10
	v_lshlrev_b32_e32 v18, 4, v14
	v_add_co_u32 v6, vcc_lo, v6, v8
	v_lshlrev_b32_e32 v16, 1, v19
	s_delay_alu instid0(VALU_DEP_4) | instskip(SKIP_2) | instid1(VALU_DEP_4)
	v_lshlrev_b64 v[14:15], 1, v[10:11]
	v_add_co_ci_u32_e32 v7, vcc_lo, v7, v9, vcc_lo
	v_lshlrev_b32_e32 v20, 1, v17
	v_add3_u32 v8, v16, v18, v13
	s_mov_b32 s11, 0
	s_delay_alu instid0(VALU_DEP_4) | instskip(SKIP_1) | instid1(VALU_DEP_3)
	v_add_co_u32 v6, vcc_lo, v6, v14
	v_add_co_ci_u32_e32 v7, vcc_lo, v7, v15, vcc_lo
	v_add3_u32 v8, v8, v20, 0
	s_delay_alu instid0(VALU_DEP_3) | instskip(NEXT) | instid1(VALU_DEP_3)
	v_add_co_u32 v6, vcc_lo, s2, v6
	v_add_co_ci_u32_e32 v7, vcc_lo, s3, v7, vcc_lo
	.p2align	6
.LBB22_9:                               ; =>This Inner Loop Header: Depth=1
	global_load_u16 v9, v[6:7], off
	v_dual_max_f32 v3, v3, v3 :: v_dual_add_nc_u32 v10, 16, v10
	v_add_co_u32 v6, vcc_lo, v6, 32
	v_add_co_ci_u32_e32 v7, vcc_lo, 0, v7, vcc_lo
	s_delay_alu instid0(VALU_DEP_3)
	v_cmp_ge_i32_e32 vcc_lo, v10, v12
	s_or_b32 s11, vcc_lo, s11
	s_waitcnt vmcnt(0)
	v_cvt_f32_f16_e64 v11, |v9|
	ds_store_b16 v8, v9
	v_dual_max_f32 v3, v3, v11 :: v_dual_add_nc_u32 v8, 32, v8
	s_and_not1_b32 exec_lo, exec_lo, s11
	s_cbranch_execnz .LBB22_9
; %bb.10:
	s_or_b32 exec_lo, exec_lo, s11
.LBB22_11:
	s_delay_alu instid0(SALU_CYCLE_1)
	s_or_b32 exec_lo, exec_lo, s9
                                        ; implicit-def: $vgpr6_vgpr7
.LBB22_12:
	s_and_not1_saveexec_b32 s8, s8
	s_cbranch_execz .LBB22_18
; %bb.13:
	v_mov_b32_e32 v3, s5
	s_ashr_i32 s11, s10, 3
	s_mov_b32 s9, exec_lo
	v_cmpx_gt_i32_e64 s11, v17
	s_cbranch_execz .LBB22_17
; %bb.14:
	v_dual_mov_b32 v3, s5 :: v_dual_lshlrev_b32 v8, 4, v17
	v_lshlrev_b32_e32 v9, 1, v19
	s_delay_alu instid0(VALU_DEP_2) | instskip(SKIP_1) | instid1(VALU_DEP_3)
	v_add_co_u32 v6, vcc_lo, v6, v8
	v_add_co_ci_u32_e32 v7, vcc_lo, 0, v7, vcc_lo
	v_add3_u32 v8, v9, v8, 0
	s_delay_alu instid0(VALU_DEP_3) | instskip(NEXT) | instid1(VALU_DEP_3)
	v_add_co_u32 v6, vcc_lo, v6, s2
	v_add_co_ci_u32_e32 v7, vcc_lo, s3, v7, vcc_lo
	v_mov_b32_e32 v9, v17
	s_delay_alu instid0(VALU_DEP_3) | instskip(NEXT) | instid1(VALU_DEP_3)
	v_add_co_u32 v6, vcc_lo, v6, 8
	v_add_co_ci_u32_e32 v7, vcc_lo, 0, v7, vcc_lo
	s_mov_b32 s2, 0
	s_set_inst_prefetch_distance 0x1
	.p2align	6
.LBB22_15:                              ; =>This Inner Loop Header: Depth=1
	global_load_b128 v[10:13], v[6:7], off offset:-8
	v_add_nc_u32_e32 v9, 16, v9
	v_add_co_u32 v6, vcc_lo, 0x100, v6
	v_add_co_ci_u32_e32 v7, vcc_lo, 0, v7, vcc_lo
	s_delay_alu instid0(VALU_DEP_3)
	v_cmp_le_i32_e32 vcc_lo, s11, v9
	s_or_b32 s2, vcc_lo, s2
	s_waitcnt vmcnt(0)
	v_lshrrev_b32_e32 v14, 16, v10
	v_cvt_f32_f16_e64 v15, |v10|
	v_lshrrev_b32_e32 v16, 16, v11
	v_cvt_f32_f16_e64 v18, |v11|
	;; [unrolled: 2-line block ×3, first 2 shown]
	ds_store_b128 v8, v[10:13]
	v_cvt_f32_f16_e64 v16, |v16|
	v_add_nc_u32_e32 v8, 0x100, v8
	v_cvt_f32_f16_e64 v20, |v20|
	v_max3_f32 v3, v3, v15, v14
	v_cvt_f32_f16_e64 v14, |v12|
	v_lshrrev_b32_e32 v15, 16, v13
	s_delay_alu instid0(VALU_DEP_3) | instskip(SKIP_1) | instid1(VALU_DEP_3)
	v_max3_f32 v3, v3, v18, v16
	v_cvt_f32_f16_e64 v16, |v13|
	v_cvt_f32_f16_e64 v15, |v15|
	s_delay_alu instid0(VALU_DEP_3) | instskip(NEXT) | instid1(VALU_DEP_1)
	v_max3_f32 v3, v3, v14, v20
	v_max3_f32 v3, v3, v16, v15
	s_and_not1_b32 exec_lo, exec_lo, s2
	s_cbranch_execnz .LBB22_15
; %bb.16:
	s_set_inst_prefetch_distance 0x2
	s_or_b32 exec_lo, exec_lo, s2
.LBB22_17:
	s_delay_alu instid0(SALU_CYCLE_1)
	s_or_b32 exec_lo, exec_lo, s9
.LBB22_18:
	s_delay_alu instid0(SALU_CYCLE_1) | instskip(SKIP_3) | instid1(VALU_DEP_1)
	s_or_b32 exec_lo, exec_lo, s8
	v_mbcnt_lo_u32_b32 v6, -1, 0
	s_load_b64 s[8:9], s[0:1], 0x8
	s_mov_b32 s2, exec_lo
	v_xor_b32_e32 v8, 8, v6
	v_and_b32_e32 v7, 16, v6
	v_xor_b32_e32 v9, 4, v6
	s_delay_alu instid0(VALU_DEP_2) | instskip(NEXT) | instid1(VALU_DEP_1)
	v_add_nc_u32_e32 v7, 16, v7
	v_cmp_lt_i32_e32 vcc_lo, v8, v7
	v_cndmask_b32_e32 v8, v6, v8, vcc_lo
	s_delay_alu instid0(VALU_DEP_1) | instskip(SKIP_4) | instid1(VALU_DEP_2)
	v_lshlrev_b32_e32 v8, 2, v8
	ds_bpermute_b32 v8, v8, v3
	s_waitcnt lgkmcnt(0)
	v_dual_max_f32 v3, v3, v3 :: v_dual_max_f32 v8, v8, v8
	v_cmp_lt_i32_e32 vcc_lo, v9, v7
	v_max_f32_e32 v3, v3, v8
	v_cndmask_b32_e32 v9, v6, v9, vcc_lo
	s_delay_alu instid0(VALU_DEP_1) | instskip(SKIP_2) | instid1(VALU_DEP_1)
	v_lshlrev_b32_e32 v9, 2, v9
	ds_bpermute_b32 v8, v9, v3
	v_xor_b32_e32 v9, 2, v6
	v_cmp_lt_i32_e32 vcc_lo, v9, v7
	v_cndmask_b32_e32 v9, v6, v9, vcc_lo
	s_waitcnt lgkmcnt(0)
	s_delay_alu instid0(VALU_DEP_1) | instskip(NEXT) | instid1(VALU_DEP_1)
	v_dual_max_f32 v8, v8, v8 :: v_dual_lshlrev_b32 v9, 2, v9
	v_max_f32_e32 v3, v3, v8
	ds_bpermute_b32 v8, v9, v3
	v_xor_b32_e32 v9, 1, v6
	s_delay_alu instid0(VALU_DEP_1) | instskip(SKIP_2) | instid1(VALU_DEP_1)
	v_cmp_lt_i32_e32 vcc_lo, v9, v7
	v_cndmask_b32_e32 v6, v6, v9, vcc_lo
	s_waitcnt lgkmcnt(0)
	v_dual_max_f32 v7, v8, v8 :: v_dual_lshlrev_b32 v6, 2, v6
	s_delay_alu instid0(VALU_DEP_1) | instskip(SKIP_3) | instid1(VALU_DEP_1)
	v_max_f32_e32 v3, v3, v7
	ds_bpermute_b32 v6, v6, v3
	s_waitcnt lgkmcnt(0)
	v_max_f32_e32 v6, v6, v6
	v_max_f32_e32 v3, v3, v6
	s_delay_alu instid0(VALU_DEP_1) | instskip(SKIP_1) | instid1(VALU_DEP_2)
	v_div_scale_f32 v6, null, s7, s7, v3
	v_div_scale_f32 v9, vcc_lo, v3, s7, v3
	v_rcp_f32_e32 v7, v6
	s_waitcnt_depctr 0xfff
	v_fma_f32 v8, -v6, v7, 1.0
	s_delay_alu instid0(VALU_DEP_1) | instskip(NEXT) | instid1(VALU_DEP_1)
	v_fmac_f32_e32 v7, v8, v7
	v_mul_f32_e32 v8, v9, v7
	s_delay_alu instid0(VALU_DEP_1) | instskip(NEXT) | instid1(VALU_DEP_1)
	v_fma_f32 v10, -v6, v8, v9
	v_fmac_f32_e32 v8, v10, v7
	s_delay_alu instid0(VALU_DEP_1) | instskip(NEXT) | instid1(VALU_DEP_1)
	v_fma_f32 v6, -v6, v8, v9
	v_div_fmas_f32 v6, v6, v7, v8
	s_delay_alu instid0(VALU_DEP_1) | instskip(NEXT) | instid1(VALU_DEP_1)
	v_div_fixup_f32 v3, v6, s7, v3
	v_max_f32_e64 v3, 0x2edbe6ff, |v3|
	s_delay_alu instid0(VALU_DEP_1) | instskip(SKIP_1) | instid1(VALU_DEP_1)
	v_cmp_gt_f32_e32 vcc_lo, 0x800000, v3
	v_cndmask_b32_e64 v6, 1.0, 0x4f800000, vcc_lo
	v_mul_f32_e32 v3, v3, v6
	v_cndmask_b32_e64 v6, 0, 0x42000000, vcc_lo
	s_delay_alu instid0(VALU_DEP_2) | instskip(SKIP_2) | instid1(VALU_DEP_1)
	v_log_f32_e32 v3, v3
	s_waitcnt_depctr 0xfff
	v_sub_f32_e32 v3, v3, v6
	v_ceil_f32_e32 v3, v3
	s_delay_alu instid0(VALU_DEP_1) | instskip(SKIP_1) | instid1(VALU_DEP_1)
	v_cmp_gt_f32_e32 vcc_lo, 0xc2fc0000, v3
	v_cndmask_b32_e64 v6, 0, 0x42800000, vcc_lo
	v_add_f32_e32 v3, v3, v6
	v_cndmask_b32_e64 v6, 1.0, 0x1f800000, vcc_lo
	s_delay_alu instid0(VALU_DEP_2)
	v_exp_f32_e32 v3, v3
	s_waitcnt_depctr 0xfff
	v_mul_f32_e32 v18, v3, v6
	v_cmpx_eq_u32_e32 0, v17
	s_cbranch_execz .LBB22_20
; %bb.19:
	s_load_b64 s[0:1], s[0:1], 0x10
	v_lshlrev_b64 v[1:2], 2, v[1:2]
	s_waitcnt lgkmcnt(0)
	s_delay_alu instid0(VALU_DEP_1) | instskip(NEXT) | instid1(VALU_DEP_2)
	v_add_co_u32 v1, vcc_lo, s0, v1
	v_add_co_ci_u32_e32 v2, vcc_lo, s1, v2, vcc_lo
	global_store_b32 v[1:2], v18, off
.LBB22_20:
	s_or_b32 exec_lo, exec_lo, s2
	v_dual_mov_b32 v2, 0 :: v_dual_and_b32 v1, 15, v0
	s_xor_b32 s0, s4, -1
	s_waitcnt_vscnt null, 0x0
	s_barrier
	buffer_gl0_inv
	v_cmp_ne_u64_e32 vcc_lo, 0, v[1:2]
	s_or_b32 s0, s0, vcc_lo
	s_delay_alu instid0(SALU_CYCLE_1) | instskip(NEXT) | instid1(SALU_CYCLE_1)
	s_and_saveexec_b32 s1, s0
	s_xor_b32 s11, exec_lo, s1
	s_cbranch_execz .LBB22_115
; %bb.21:
	v_sub_nc_u32_e32 v1, 0, v0
	v_add_co_u32 v24, vcc_lo, s8, v4
	v_add_co_ci_u32_e32 v25, vcc_lo, s9, v5, vcc_lo
	s_delay_alu instid0(VALU_DEP_3) | instskip(SKIP_1) | instid1(VALU_DEP_1)
	v_bfe_u32 v1, v1, 1, 3
	s_mov_b32 s0, exec_lo
	v_min_i32_e32 v21, s10, v1
	s_delay_alu instid0(VALU_DEP_1)
	v_cmpx_gt_i32_e64 v21, v17
	s_cbranch_execz .LBB22_29
; %bb.22:
	v_lshl_add_u32 v0, v17, 1, v0
	s_mov_b32 s1, exec_lo
	ds_load_u16 v0, v0
	s_waitcnt lgkmcnt(0)
	v_cvt_f32_f16_e32 v0, v0
	s_delay_alu instid0(VALU_DEP_1) | instskip(SKIP_1) | instid1(VALU_DEP_2)
	v_div_scale_f32 v1, null, v18, v18, v0
	v_div_scale_f32 v6, vcc_lo, v0, v18, v0
	v_rcp_f32_e32 v2, v1
	s_waitcnt_depctr 0xfff
	v_fma_f32 v3, -v1, v2, 1.0
	s_delay_alu instid0(VALU_DEP_1) | instskip(NEXT) | instid1(VALU_DEP_1)
	v_fmac_f32_e32 v2, v3, v2
	v_mul_f32_e32 v3, v6, v2
	s_delay_alu instid0(VALU_DEP_1) | instskip(NEXT) | instid1(VALU_DEP_1)
	v_fma_f32 v7, -v1, v3, v6
	v_fmac_f32_e32 v3, v7, v2
	s_delay_alu instid0(VALU_DEP_1) | instskip(NEXT) | instid1(VALU_DEP_1)
	v_fma_f32 v1, -v1, v3, v6
	v_div_fmas_f32 v1, v1, v2, v3
	v_max_f32_e64 v2, s6, s6
	v_max_f32_e64 v3, s7, s7
	s_delay_alu instid0(VALU_DEP_3) | instskip(NEXT) | instid1(VALU_DEP_1)
	v_div_fixup_f32 v0, v1, v18, v0
	v_maxmin_f32 v0, v0, v2, v3
	v_mov_b32_e32 v2, 0x80
	s_delay_alu instid0(VALU_DEP_2) | instskip(NEXT) | instid1(VALU_DEP_1)
	v_and_b32_e32 v1, 0x7fffffff, v0
	v_cmpx_gt_u32_e32 0x43800000, v1
	s_cbranch_execz .LBB22_28
; %bb.23:
	v_cmp_lt_u32_e32 vcc_lo, 0x3bffffff, v1
	s_mov_b32 s2, 0
                                        ; implicit-def: $vgpr1
	s_and_saveexec_b32 s3, vcc_lo
	s_delay_alu instid0(SALU_CYCLE_1)
	s_xor_b32 s3, exec_lo, s3
	s_cbranch_execnz .LBB22_184
; %bb.24:
	s_or_saveexec_b32 s3, s3
                                        ; implicit-def: $sgpr4
	s_delay_alu instid0(SALU_CYCLE_1)
	s_xor_b32 exec_lo, exec_lo, s3
	s_cbranch_execnz .LBB22_185
.LBB22_25:
	s_or_b32 exec_lo, exec_lo, s3
	v_mov_b32_e32 v2, s4
	s_and_saveexec_b32 s3, s2
.LBB22_26:
	v_lshrrev_b32_e32 v0, 24, v0
	s_delay_alu instid0(VALU_DEP_1)
	v_and_or_b32 v2, 0x80, v0, v1
.LBB22_27:
	s_or_b32 exec_lo, exec_lo, s3
.LBB22_28:
	s_delay_alu instid0(SALU_CYCLE_1)
	s_or_b32 exec_lo, exec_lo, s1
	v_add_co_u32 v0, vcc_lo, v24, v17
	v_add_co_ci_u32_e32 v1, vcc_lo, 0, v25, vcc_lo
	global_store_b8 v[0:1], v2, off
.LBB22_29:
	s_or_b32 exec_lo, exec_lo, s0
	v_sub_nc_u32_e32 v20, s10, v21
	v_ashrrev_i32_e32 v22, 31, v21
	v_lshlrev_b32_e32 v23, 1, v21
	s_mov_b32 s2, exec_lo
	s_delay_alu instid0(VALU_DEP_3) | instskip(NEXT) | instid1(VALU_DEP_1)
	v_ashrrev_i32_e32 v0, 31, v20
	v_lshrrev_b32_e32 v0, 29, v0
	s_delay_alu instid0(VALU_DEP_1) | instskip(NEXT) | instid1(VALU_DEP_1)
	v_add_nc_u32_e32 v0, v20, v0
	v_ashrrev_i32_e32 v26, 3, v0
	s_delay_alu instid0(VALU_DEP_1)
	v_cmpx_gt_i32_e64 v26, v17
	s_cbranch_execz .LBB22_96
; %bb.30:
	v_lshlrev_b32_e32 v0, 4, v17
	v_dual_mov_b32 v30, v17 :: v_dual_lshlrev_b32 v1, 3, v17
	v_add_co_u32 v2, vcc_lo, v21, v4
	v_add_co_ci_u32_e32 v3, vcc_lo, v22, v5, vcc_lo
	s_delay_alu instid0(VALU_DEP_4) | instskip(SKIP_1) | instid1(VALU_DEP_4)
	v_lshl_add_u32 v0, v19, 1, v0
	v_lshlrev_b32_e32 v6, 1, v21
	v_add_co_u32 v1, vcc_lo, v2, v1
	s_delay_alu instid0(VALU_DEP_4) | instskip(NEXT) | instid1(VALU_DEP_3)
	v_add_co_ci_u32_e32 v2, vcc_lo, 0, v3, vcc_lo
	v_add3_u32 v27, v0, v6, 0
	s_delay_alu instid0(VALU_DEP_3) | instskip(NEXT) | instid1(VALU_DEP_3)
	v_add_co_u32 v6, vcc_lo, s8, v1
	v_add_co_ci_u32_e32 v7, vcc_lo, s9, v2, vcc_lo
	v_max_f32_e64 v28, s6, s6
	v_max_f32_e64 v29, s7, s7
	s_mov_b32 s3, 0
	s_branch .LBB22_33
.LBB22_31:                              ;   in Loop: Header=BB22_33 Depth=1
	s_or_b32 exec_lo, exec_lo, s0
.LBB22_32:                              ;   in Loop: Header=BB22_33 Depth=1
	s_delay_alu instid0(SALU_CYCLE_1)
	s_or_b32 exec_lo, exec_lo, s4
	v_lshlrev_b32_e32 v2, 16, v15
	v_lshlrev_b32_e32 v3, 16, v13
	;; [unrolled: 1-line block ×5, first 2 shown]
	v_and_b32_e32 v2, 0xff0000, v2
	v_perm_b32 v3, v11, v3, 0x4020c0c
	v_and_b32_e32 v0, 0xff, v0
	v_and_b32_e32 v10, 0xff, v10
	v_and_b32_e32 v9, 0xff00, v9
	v_or_b32_e32 v1, v1, v2
	v_and_or_b32 v2, 0xff00, v8, v3
	v_add_nc_u32_e32 v30, 16, v30
	v_add_nc_u32_e32 v27, 0x100, v27
	s_delay_alu instid0(VALU_DEP_4) | instskip(NEXT) | instid1(VALU_DEP_4)
	v_or3_b32 v1, v1, v9, v0
	v_or_b32_e32 v0, v2, v10
	s_delay_alu instid0(VALU_DEP_4) | instskip(SKIP_2) | instid1(VALU_DEP_1)
	v_cmp_ge_i32_e32 vcc_lo, v30, v26
	global_store_b64 v[6:7], v[0:1], off
	v_add_co_u32 v6, s0, 0x80, v6
	v_add_co_ci_u32_e64 v7, s0, 0, v7, s0
	s_or_b32 s3, vcc_lo, s3
	s_delay_alu instid0(SALU_CYCLE_1)
	s_and_not1_b32 exec_lo, exec_lo, s3
	s_cbranch_execz .LBB22_96
.LBB22_33:                              ; =>This Inner Loop Header: Depth=1
	ds_load_b128 v[0:3], v27
	s_mov_b32 s4, exec_lo
	s_waitcnt lgkmcnt(0)
	v_cvt_f32_f16_e32 v8, v0
	s_delay_alu instid0(VALU_DEP_1) | instskip(SKIP_1) | instid1(VALU_DEP_2)
	v_div_scale_f32 v9, null, v18, v18, v8
	v_div_scale_f32 v12, vcc_lo, v8, v18, v8
	v_rcp_f32_e32 v10, v9
	s_waitcnt_depctr 0xfff
	v_fma_f32 v11, -v9, v10, 1.0
	s_delay_alu instid0(VALU_DEP_1) | instskip(NEXT) | instid1(VALU_DEP_1)
	v_fmac_f32_e32 v10, v11, v10
	v_mul_f32_e32 v11, v12, v10
	s_delay_alu instid0(VALU_DEP_1) | instskip(NEXT) | instid1(VALU_DEP_1)
	v_fma_f32 v13, -v9, v11, v12
	v_fmac_f32_e32 v11, v13, v10
	s_delay_alu instid0(VALU_DEP_1) | instskip(NEXT) | instid1(VALU_DEP_1)
	v_fma_f32 v9, -v9, v11, v12
	v_div_fmas_f32 v9, v9, v10, v11
	s_delay_alu instid0(VALU_DEP_1) | instskip(NEXT) | instid1(VALU_DEP_1)
	v_div_fixup_f32 v8, v9, v18, v8
	v_maxmin_f32 v12, v8, v28, v29
	v_mov_b32_e32 v8, 0x80
	v_mov_b32_e32 v9, 0
	s_delay_alu instid0(VALU_DEP_3) | instskip(NEXT) | instid1(VALU_DEP_2)
	v_and_b32_e32 v13, 0x7fffffff, v12
	v_dual_mov_b32 v11, v9 :: v_dual_mov_b32 v10, v8
	s_delay_alu instid0(VALU_DEP_2)
	v_cmpx_gt_u32_e32 0x43800000, v13
	s_cbranch_execz .LBB22_41
; %bb.34:                               ;   in Loop: Header=BB22_33 Depth=1
	s_mov_b32 s5, 0
	s_mov_b32 s0, exec_lo
                                        ; implicit-def: $vgpr9
	v_cmpx_lt_u32_e32 0x3bffffff, v13
	s_xor_b32 s0, exec_lo, s0
; %bb.35:                               ;   in Loop: Header=BB22_33 Depth=1
	v_bfe_u32 v9, v12, 20, 1
	s_mov_b32 s5, exec_lo
	s_delay_alu instid0(VALU_DEP_1) | instskip(NEXT) | instid1(VALU_DEP_1)
	v_add3_u32 v9, v12, v9, 0x487ffff
	v_lshrrev_b32_e32 v9, 20, v9
; %bb.36:                               ;   in Loop: Header=BB22_33 Depth=1
	s_or_saveexec_b32 s12, s0
                                        ; implicit-def: $sgpr0_sgpr1
	s_delay_alu instid0(SALU_CYCLE_1)
	s_xor_b32 exec_lo, exec_lo, s12
; %bb.37:                               ;   in Loop: Header=BB22_33 Depth=1
	v_add_f32_e64 v9, 0x46000000, |v12|
	s_and_not1_b32 s5, s5, exec_lo
	s_mov_b64 s[0:1], 0
	s_delay_alu instid0(VALU_DEP_1) | instskip(NEXT) | instid1(VALU_DEP_1)
	v_and_b32_e32 v9, 0xff, v9
	v_cmp_ne_u32_e32 vcc_lo, 0, v9
	s_and_b32 s13, vcc_lo, exec_lo
	s_delay_alu instid0(SALU_CYCLE_1)
	s_or_b32 s5, s5, s13
; %bb.38:                               ;   in Loop: Header=BB22_33 Depth=1
	s_or_b32 exec_lo, exec_lo, s12
	v_dual_mov_b32 v11, s1 :: v_dual_mov_b32 v10, s0
	s_and_saveexec_b32 s0, s5
; %bb.39:                               ;   in Loop: Header=BB22_33 Depth=1
	v_lshrrev_b32_e32 v10, 24, v12
	s_delay_alu instid0(VALU_DEP_1)
	v_and_or_b32 v10, 0x80, v10, v9
; %bb.40:                               ;   in Loop: Header=BB22_33 Depth=1
	s_or_b32 exec_lo, exec_lo, s0
.LBB22_41:                              ;   in Loop: Header=BB22_33 Depth=1
	s_delay_alu instid0(SALU_CYCLE_1) | instskip(SKIP_2) | instid1(VALU_DEP_1)
	s_or_b32 exec_lo, exec_lo, s4
	v_lshrrev_b32_e32 v0, 16, v0
	s_mov_b32 s4, exec_lo
	v_cvt_f32_f16_e32 v0, v0
	s_delay_alu instid0(VALU_DEP_1) | instskip(NEXT) | instid1(VALU_DEP_1)
	v_div_scale_f32 v9, null, v18, v18, v0
	v_rcp_f32_e32 v11, v9
	s_waitcnt_depctr 0xfff
	v_fma_f32 v12, -v9, v11, 1.0
	s_delay_alu instid0(VALU_DEP_1) | instskip(SKIP_1) | instid1(VALU_DEP_1)
	v_fmac_f32_e32 v11, v12, v11
	v_div_scale_f32 v12, vcc_lo, v0, v18, v0
	v_mul_f32_e32 v13, v12, v11
	s_delay_alu instid0(VALU_DEP_1) | instskip(NEXT) | instid1(VALU_DEP_1)
	v_fma_f32 v14, -v9, v13, v12
	v_fmac_f32_e32 v13, v14, v11
	s_delay_alu instid0(VALU_DEP_1) | instskip(NEXT) | instid1(VALU_DEP_1)
	v_fma_f32 v9, -v9, v13, v12
	v_div_fmas_f32 v9, v9, v11, v13
	s_delay_alu instid0(VALU_DEP_1) | instskip(NEXT) | instid1(VALU_DEP_1)
	v_div_fixup_f32 v0, v9, v18, v0
	v_maxmin_f32 v0, v0, v28, v29
	s_delay_alu instid0(VALU_DEP_1) | instskip(NEXT) | instid1(VALU_DEP_1)
	v_and_b32_e32 v9, 0x7fffffff, v0
	v_cmpx_gt_u32_e32 0x43800000, v9
	s_cbranch_execz .LBB22_49
; %bb.42:                               ;   in Loop: Header=BB22_33 Depth=1
	s_mov_b32 s5, 0
	s_mov_b32 s0, exec_lo
                                        ; implicit-def: $vgpr11
	v_cmpx_lt_u32_e32 0x3bffffff, v9
	s_xor_b32 s0, exec_lo, s0
; %bb.43:                               ;   in Loop: Header=BB22_33 Depth=1
	v_bfe_u32 v8, v0, 20, 1
	s_mov_b32 s5, exec_lo
	s_delay_alu instid0(VALU_DEP_1) | instskip(NEXT) | instid1(VALU_DEP_1)
	v_add3_u32 v8, v0, v8, 0x487ffff
	v_lshrrev_b32_e32 v11, 20, v8
; %bb.44:                               ;   in Loop: Header=BB22_33 Depth=1
	s_or_saveexec_b32 s12, s0
                                        ; implicit-def: $sgpr0_sgpr1
	s_delay_alu instid0(SALU_CYCLE_1)
	s_xor_b32 exec_lo, exec_lo, s12
; %bb.45:                               ;   in Loop: Header=BB22_33 Depth=1
	v_add_f32_e64 v8, 0x46000000, |v0|
	s_and_not1_b32 s5, s5, exec_lo
	s_mov_b64 s[0:1], 0
	s_delay_alu instid0(VALU_DEP_1) | instskip(NEXT) | instid1(VALU_DEP_1)
	v_and_b32_e32 v11, 0xff, v8
	v_cmp_ne_u32_e32 vcc_lo, 0, v11
	s_and_b32 s13, vcc_lo, exec_lo
	s_delay_alu instid0(SALU_CYCLE_1)
	s_or_b32 s5, s5, s13
; %bb.46:                               ;   in Loop: Header=BB22_33 Depth=1
	s_or_b32 exec_lo, exec_lo, s12
	v_dual_mov_b32 v9, s1 :: v_dual_mov_b32 v8, s0
	s_and_saveexec_b32 s0, s5
; %bb.47:                               ;   in Loop: Header=BB22_33 Depth=1
	v_lshrrev_b32_e32 v0, 24, v0
	s_delay_alu instid0(VALU_DEP_1)
	v_and_or_b32 v8, 0x80, v0, v11
; %bb.48:                               ;   in Loop: Header=BB22_33 Depth=1
	s_or_b32 exec_lo, exec_lo, s0
.LBB22_49:                              ;   in Loop: Header=BB22_33 Depth=1
	s_delay_alu instid0(SALU_CYCLE_1) | instskip(SKIP_2) | instid1(VALU_DEP_1)
	s_or_b32 exec_lo, exec_lo, s4
	v_cvt_f32_f16_e32 v0, v1
	s_mov_b32 s4, exec_lo
	v_div_scale_f32 v9, null, v18, v18, v0
	v_div_scale_f32 v13, vcc_lo, v0, v18, v0
	s_delay_alu instid0(VALU_DEP_2) | instskip(SKIP_2) | instid1(VALU_DEP_1)
	v_rcp_f32_e32 v11, v9
	s_waitcnt_depctr 0xfff
	v_fma_f32 v12, -v9, v11, 1.0
	v_fmac_f32_e32 v11, v12, v11
	s_delay_alu instid0(VALU_DEP_1) | instskip(NEXT) | instid1(VALU_DEP_1)
	v_mul_f32_e32 v12, v13, v11
	v_fma_f32 v14, -v9, v12, v13
	s_delay_alu instid0(VALU_DEP_1) | instskip(NEXT) | instid1(VALU_DEP_1)
	v_fmac_f32_e32 v12, v14, v11
	v_fma_f32 v9, -v9, v12, v13
	s_delay_alu instid0(VALU_DEP_1) | instskip(SKIP_2) | instid1(VALU_DEP_3)
	v_div_fmas_f32 v9, v9, v11, v12
	v_mov_b32_e32 v11, 0x80
	v_mov_b32_e32 v12, 0
	v_div_fixup_f32 v0, v9, v18, v0
	s_delay_alu instid0(VALU_DEP_2) | instskip(NEXT) | instid1(VALU_DEP_2)
	v_dual_mov_b32 v14, v12 :: v_dual_mov_b32 v13, v11
	v_maxmin_f32 v0, v0, v28, v29
	s_delay_alu instid0(VALU_DEP_1) | instskip(NEXT) | instid1(VALU_DEP_1)
	v_and_b32_e32 v9, 0x7fffffff, v0
	v_cmpx_gt_u32_e32 0x43800000, v9
	s_cbranch_execz .LBB22_57
; %bb.50:                               ;   in Loop: Header=BB22_33 Depth=1
	v_cmp_lt_u32_e32 vcc_lo, 0x3bffffff, v9
	s_mov_b32 s5, 0
                                        ; implicit-def: $vgpr9
	s_and_saveexec_b32 s0, vcc_lo
	s_delay_alu instid0(SALU_CYCLE_1)
	s_xor_b32 s0, exec_lo, s0
; %bb.51:                               ;   in Loop: Header=BB22_33 Depth=1
	v_bfe_u32 v9, v0, 20, 1
	s_mov_b32 s5, exec_lo
	s_delay_alu instid0(VALU_DEP_1) | instskip(NEXT) | instid1(VALU_DEP_1)
	v_add3_u32 v9, v0, v9, 0x487ffff
	v_lshrrev_b32_e32 v9, 20, v9
; %bb.52:                               ;   in Loop: Header=BB22_33 Depth=1
	s_or_saveexec_b32 s12, s0
                                        ; implicit-def: $sgpr0_sgpr1
	s_delay_alu instid0(SALU_CYCLE_1)
	s_xor_b32 exec_lo, exec_lo, s12
; %bb.53:                               ;   in Loop: Header=BB22_33 Depth=1
	v_add_f32_e64 v9, 0x46000000, |v0|
	s_and_not1_b32 s5, s5, exec_lo
	s_mov_b64 s[0:1], 0
	s_delay_alu instid0(VALU_DEP_1) | instskip(NEXT) | instid1(VALU_DEP_1)
	v_and_b32_e32 v9, 0xff, v9
	v_cmp_ne_u32_e32 vcc_lo, 0, v9
	s_and_b32 s13, vcc_lo, exec_lo
	s_delay_alu instid0(SALU_CYCLE_1)
	s_or_b32 s5, s5, s13
; %bb.54:                               ;   in Loop: Header=BB22_33 Depth=1
	s_or_b32 exec_lo, exec_lo, s12
	v_dual_mov_b32 v14, s1 :: v_dual_mov_b32 v13, s0
	s_and_saveexec_b32 s0, s5
; %bb.55:                               ;   in Loop: Header=BB22_33 Depth=1
	v_lshrrev_b32_e32 v0, 24, v0
	s_delay_alu instid0(VALU_DEP_1)
	v_and_or_b32 v13, 0x80, v0, v9
; %bb.56:                               ;   in Loop: Header=BB22_33 Depth=1
	s_or_b32 exec_lo, exec_lo, s0
.LBB22_57:                              ;   in Loop: Header=BB22_33 Depth=1
	s_delay_alu instid0(SALU_CYCLE_1) | instskip(SKIP_2) | instid1(VALU_DEP_1)
	s_or_b32 exec_lo, exec_lo, s4
	v_lshrrev_b32_e32 v0, 16, v1
	s_mov_b32 s4, exec_lo
	v_cvt_f32_f16_e32 v0, v0
	s_delay_alu instid0(VALU_DEP_1) | instskip(NEXT) | instid1(VALU_DEP_1)
	v_div_scale_f32 v1, null, v18, v18, v0
	v_rcp_f32_e32 v9, v1
	s_waitcnt_depctr 0xfff
	v_fma_f32 v12, -v1, v9, 1.0
	s_delay_alu instid0(VALU_DEP_1) | instskip(SKIP_1) | instid1(VALU_DEP_1)
	v_fmac_f32_e32 v9, v12, v9
	v_div_scale_f32 v12, vcc_lo, v0, v18, v0
	v_mul_f32_e32 v14, v12, v9
	s_delay_alu instid0(VALU_DEP_1) | instskip(NEXT) | instid1(VALU_DEP_1)
	v_fma_f32 v15, -v1, v14, v12
	v_fmac_f32_e32 v14, v15, v9
	s_delay_alu instid0(VALU_DEP_1) | instskip(NEXT) | instid1(VALU_DEP_1)
	v_fma_f32 v1, -v1, v14, v12
	v_div_fmas_f32 v1, v1, v9, v14
	s_delay_alu instid0(VALU_DEP_1) | instskip(NEXT) | instid1(VALU_DEP_1)
	v_div_fixup_f32 v0, v1, v18, v0
	v_maxmin_f32 v0, v0, v28, v29
	s_delay_alu instid0(VALU_DEP_1) | instskip(NEXT) | instid1(VALU_DEP_1)
	v_and_b32_e32 v1, 0x7fffffff, v0
	v_cmpx_gt_u32_e32 0x43800000, v1
	s_cbranch_execz .LBB22_65
; %bb.58:                               ;   in Loop: Header=BB22_33 Depth=1
	v_cmp_lt_u32_e32 vcc_lo, 0x3bffffff, v1
	s_mov_b32 s5, 0
                                        ; implicit-def: $vgpr1
	s_and_saveexec_b32 s0, vcc_lo
	s_delay_alu instid0(SALU_CYCLE_1)
	s_xor_b32 s0, exec_lo, s0
; %bb.59:                               ;   in Loop: Header=BB22_33 Depth=1
	v_bfe_u32 v1, v0, 20, 1
	s_mov_b32 s5, exec_lo
	s_delay_alu instid0(VALU_DEP_1) | instskip(NEXT) | instid1(VALU_DEP_1)
	v_add3_u32 v1, v0, v1, 0x487ffff
	v_lshrrev_b32_e32 v1, 20, v1
; %bb.60:                               ;   in Loop: Header=BB22_33 Depth=1
	s_or_saveexec_b32 s12, s0
                                        ; implicit-def: $sgpr0_sgpr1
	s_delay_alu instid0(SALU_CYCLE_1)
	s_xor_b32 exec_lo, exec_lo, s12
; %bb.61:                               ;   in Loop: Header=BB22_33 Depth=1
	v_add_f32_e64 v1, 0x46000000, |v0|
	s_and_not1_b32 s5, s5, exec_lo
	s_mov_b64 s[0:1], 0
	s_delay_alu instid0(VALU_DEP_1) | instskip(NEXT) | instid1(VALU_DEP_1)
	v_and_b32_e32 v1, 0xff, v1
	v_cmp_ne_u32_e32 vcc_lo, 0, v1
	s_and_b32 s13, vcc_lo, exec_lo
	s_delay_alu instid0(SALU_CYCLE_1)
	s_or_b32 s5, s5, s13
; %bb.62:                               ;   in Loop: Header=BB22_33 Depth=1
	s_or_b32 exec_lo, exec_lo, s12
	v_dual_mov_b32 v12, s1 :: v_dual_mov_b32 v11, s0
	s_and_saveexec_b32 s0, s5
; %bb.63:                               ;   in Loop: Header=BB22_33 Depth=1
	v_lshrrev_b32_e32 v0, 24, v0
	s_delay_alu instid0(VALU_DEP_1)
	v_and_or_b32 v11, 0x80, v0, v1
; %bb.64:                               ;   in Loop: Header=BB22_33 Depth=1
	s_or_b32 exec_lo, exec_lo, s0
.LBB22_65:                              ;   in Loop: Header=BB22_33 Depth=1
	s_delay_alu instid0(SALU_CYCLE_1) | instskip(SKIP_2) | instid1(VALU_DEP_1)
	s_or_b32 exec_lo, exec_lo, s4
	v_cvt_f32_f16_e32 v0, v2
	s_mov_b32 s4, exec_lo
	v_div_scale_f32 v1, null, v18, v18, v0
	v_div_scale_f32 v14, vcc_lo, v0, v18, v0
	s_delay_alu instid0(VALU_DEP_2) | instskip(SKIP_2) | instid1(VALU_DEP_1)
	v_rcp_f32_e32 v9, v1
	s_waitcnt_depctr 0xfff
	v_fma_f32 v12, -v1, v9, 1.0
	v_fmac_f32_e32 v9, v12, v9
	s_delay_alu instid0(VALU_DEP_1) | instskip(NEXT) | instid1(VALU_DEP_1)
	v_mul_f32_e32 v12, v14, v9
	v_fma_f32 v15, -v1, v12, v14
	s_delay_alu instid0(VALU_DEP_1) | instskip(NEXT) | instid1(VALU_DEP_1)
	v_fmac_f32_e32 v12, v15, v9
	v_fma_f32 v1, -v1, v12, v14
	v_mov_b32_e32 v14, 0x80
	v_mov_b32_e32 v15, 0
	s_delay_alu instid0(VALU_DEP_3) | instskip(NEXT) | instid1(VALU_DEP_1)
	v_div_fmas_f32 v1, v1, v9, v12
	v_div_fixup_f32 v0, v1, v18, v0
	s_delay_alu instid0(VALU_DEP_1) | instskip(NEXT) | instid1(VALU_DEP_4)
	v_maxmin_f32 v9, v0, v28, v29
	v_dual_mov_b32 v0, v14 :: v_dual_mov_b32 v1, v15
	s_delay_alu instid0(VALU_DEP_2) | instskip(NEXT) | instid1(VALU_DEP_1)
	v_and_b32_e32 v12, 0x7fffffff, v9
	v_cmpx_gt_u32_e32 0x43800000, v12
	s_cbranch_execz .LBB22_73
; %bb.66:                               ;   in Loop: Header=BB22_33 Depth=1
	v_cmp_lt_u32_e32 vcc_lo, 0x3bffffff, v12
	s_mov_b32 s5, 0
                                        ; implicit-def: $vgpr12
	s_and_saveexec_b32 s0, vcc_lo
	s_delay_alu instid0(SALU_CYCLE_1)
	s_xor_b32 s0, exec_lo, s0
; %bb.67:                               ;   in Loop: Header=BB22_33 Depth=1
	v_bfe_u32 v0, v9, 20, 1
	s_mov_b32 s5, exec_lo
	s_delay_alu instid0(VALU_DEP_1) | instskip(NEXT) | instid1(VALU_DEP_1)
	v_add3_u32 v0, v9, v0, 0x487ffff
	v_lshrrev_b32_e32 v12, 20, v0
; %bb.68:                               ;   in Loop: Header=BB22_33 Depth=1
	s_or_saveexec_b32 s12, s0
                                        ; implicit-def: $sgpr0_sgpr1
	s_delay_alu instid0(SALU_CYCLE_1)
	s_xor_b32 exec_lo, exec_lo, s12
; %bb.69:                               ;   in Loop: Header=BB22_33 Depth=1
	v_add_f32_e64 v0, 0x46000000, |v9|
	s_and_not1_b32 s5, s5, exec_lo
	s_mov_b64 s[0:1], 0
	s_delay_alu instid0(VALU_DEP_1) | instskip(NEXT) | instid1(VALU_DEP_1)
	v_and_b32_e32 v12, 0xff, v0
	v_cmp_ne_u32_e32 vcc_lo, 0, v12
	s_and_b32 s13, vcc_lo, exec_lo
	s_delay_alu instid0(SALU_CYCLE_1)
	s_or_b32 s5, s5, s13
; %bb.70:                               ;   in Loop: Header=BB22_33 Depth=1
	s_or_b32 exec_lo, exec_lo, s12
	v_dual_mov_b32 v0, s0 :: v_dual_mov_b32 v1, s1
	s_and_saveexec_b32 s0, s5
; %bb.71:                               ;   in Loop: Header=BB22_33 Depth=1
	v_lshrrev_b32_e32 v0, 24, v9
	s_delay_alu instid0(VALU_DEP_1)
	v_and_or_b32 v0, 0x80, v0, v12
; %bb.72:                               ;   in Loop: Header=BB22_33 Depth=1
	s_or_b32 exec_lo, exec_lo, s0
.LBB22_73:                              ;   in Loop: Header=BB22_33 Depth=1
	s_delay_alu instid0(SALU_CYCLE_1) | instskip(SKIP_2) | instid1(VALU_DEP_1)
	s_or_b32 exec_lo, exec_lo, s4
	v_lshrrev_b32_e32 v1, 16, v2
	s_mov_b32 s4, exec_lo
	v_cvt_f32_f16_e32 v1, v1
	s_delay_alu instid0(VALU_DEP_1) | instskip(NEXT) | instid1(VALU_DEP_1)
	v_div_scale_f32 v2, null, v18, v18, v1
	v_rcp_f32_e32 v9, v2
	s_waitcnt_depctr 0xfff
	v_fma_f32 v12, -v2, v9, 1.0
	s_delay_alu instid0(VALU_DEP_1) | instskip(SKIP_1) | instid1(VALU_DEP_1)
	v_fmac_f32_e32 v9, v12, v9
	v_div_scale_f32 v12, vcc_lo, v1, v18, v1
	v_mul_f32_e32 v15, v12, v9
	s_delay_alu instid0(VALU_DEP_1) | instskip(NEXT) | instid1(VALU_DEP_1)
	v_fma_f32 v16, -v2, v15, v12
	v_fmac_f32_e32 v15, v16, v9
	s_delay_alu instid0(VALU_DEP_1) | instskip(NEXT) | instid1(VALU_DEP_1)
	v_fma_f32 v2, -v2, v15, v12
	v_div_fmas_f32 v2, v2, v9, v15
	s_delay_alu instid0(VALU_DEP_1) | instskip(NEXT) | instid1(VALU_DEP_1)
	v_div_fixup_f32 v1, v2, v18, v1
	v_maxmin_f32 v1, v1, v28, v29
	s_delay_alu instid0(VALU_DEP_1) | instskip(NEXT) | instid1(VALU_DEP_1)
	v_and_b32_e32 v2, 0x7fffffff, v1
	v_cmpx_gt_u32_e32 0x43800000, v2
	s_cbranch_execz .LBB22_81
; %bb.74:                               ;   in Loop: Header=BB22_33 Depth=1
	v_cmp_lt_u32_e32 vcc_lo, 0x3bffffff, v2
	s_mov_b32 s5, 0
                                        ; implicit-def: $vgpr2
	s_and_saveexec_b32 s0, vcc_lo
	s_delay_alu instid0(SALU_CYCLE_1)
	s_xor_b32 s0, exec_lo, s0
; %bb.75:                               ;   in Loop: Header=BB22_33 Depth=1
	v_bfe_u32 v2, v1, 20, 1
	s_mov_b32 s5, exec_lo
	s_delay_alu instid0(VALU_DEP_1) | instskip(NEXT) | instid1(VALU_DEP_1)
	v_add3_u32 v2, v1, v2, 0x487ffff
	v_lshrrev_b32_e32 v2, 20, v2
; %bb.76:                               ;   in Loop: Header=BB22_33 Depth=1
	s_or_saveexec_b32 s12, s0
                                        ; implicit-def: $sgpr0_sgpr1
	s_delay_alu instid0(SALU_CYCLE_1)
	s_xor_b32 exec_lo, exec_lo, s12
; %bb.77:                               ;   in Loop: Header=BB22_33 Depth=1
	v_add_f32_e64 v2, 0x46000000, |v1|
	s_and_not1_b32 s5, s5, exec_lo
	s_mov_b64 s[0:1], 0
	s_delay_alu instid0(VALU_DEP_1) | instskip(NEXT) | instid1(VALU_DEP_1)
	v_and_b32_e32 v2, 0xff, v2
	v_cmp_ne_u32_e32 vcc_lo, 0, v2
	s_and_b32 s13, vcc_lo, exec_lo
	s_delay_alu instid0(SALU_CYCLE_1)
	s_or_b32 s5, s5, s13
; %bb.78:                               ;   in Loop: Header=BB22_33 Depth=1
	s_or_b32 exec_lo, exec_lo, s12
	v_dual_mov_b32 v15, s1 :: v_dual_mov_b32 v14, s0
	s_and_saveexec_b32 s0, s5
; %bb.79:                               ;   in Loop: Header=BB22_33 Depth=1
	v_lshrrev_b32_e32 v1, 24, v1
	s_delay_alu instid0(VALU_DEP_1)
	v_and_or_b32 v14, 0x80, v1, v2
; %bb.80:                               ;   in Loop: Header=BB22_33 Depth=1
	s_or_b32 exec_lo, exec_lo, s0
.LBB22_81:                              ;   in Loop: Header=BB22_33 Depth=1
	s_delay_alu instid0(SALU_CYCLE_1) | instskip(SKIP_2) | instid1(VALU_DEP_1)
	s_or_b32 exec_lo, exec_lo, s4
	v_cvt_f32_f16_e32 v1, v3
	s_mov_b32 s4, exec_lo
	v_div_scale_f32 v2, null, v18, v18, v1
	v_div_scale_f32 v15, vcc_lo, v1, v18, v1
	s_delay_alu instid0(VALU_DEP_2) | instskip(SKIP_2) | instid1(VALU_DEP_1)
	v_rcp_f32_e32 v9, v2
	s_waitcnt_depctr 0xfff
	v_fma_f32 v12, -v2, v9, 1.0
	v_fmac_f32_e32 v9, v12, v9
	s_delay_alu instid0(VALU_DEP_1) | instskip(NEXT) | instid1(VALU_DEP_1)
	v_mul_f32_e32 v12, v15, v9
	v_fma_f32 v16, -v2, v12, v15
	s_delay_alu instid0(VALU_DEP_1) | instskip(NEXT) | instid1(VALU_DEP_1)
	v_fmac_f32_e32 v12, v16, v9
	v_fma_f32 v2, -v2, v12, v15
	s_delay_alu instid0(VALU_DEP_1) | instskip(NEXT) | instid1(VALU_DEP_1)
	v_div_fmas_f32 v2, v2, v9, v12
	v_div_fixup_f32 v1, v2, v18, v1
	s_delay_alu instid0(VALU_DEP_1) | instskip(SKIP_2) | instid1(VALU_DEP_3)
	v_maxmin_f32 v9, v1, v28, v29
	v_mov_b32_e32 v1, 0x80
	v_mov_b32_e32 v2, 0
	v_and_b32_e32 v12, 0x7fffffff, v9
	s_delay_alu instid0(VALU_DEP_2) | instskip(NEXT) | instid1(VALU_DEP_2)
	v_dual_mov_b32 v16, v2 :: v_dual_mov_b32 v15, v1
	v_cmpx_gt_u32_e32 0x43800000, v12
	s_cbranch_execz .LBB22_89
; %bb.82:                               ;   in Loop: Header=BB22_33 Depth=1
	s_mov_b32 s5, 0
	s_mov_b32 s0, exec_lo
                                        ; implicit-def: $vgpr2
	v_cmpx_lt_u32_e32 0x3bffffff, v12
	s_xor_b32 s0, exec_lo, s0
; %bb.83:                               ;   in Loop: Header=BB22_33 Depth=1
	v_bfe_u32 v2, v9, 20, 1
	s_mov_b32 s5, exec_lo
	s_delay_alu instid0(VALU_DEP_1) | instskip(NEXT) | instid1(VALU_DEP_1)
	v_add3_u32 v2, v9, v2, 0x487ffff
	v_lshrrev_b32_e32 v2, 20, v2
; %bb.84:                               ;   in Loop: Header=BB22_33 Depth=1
	s_or_saveexec_b32 s12, s0
                                        ; implicit-def: $sgpr0_sgpr1
	s_delay_alu instid0(SALU_CYCLE_1)
	s_xor_b32 exec_lo, exec_lo, s12
; %bb.85:                               ;   in Loop: Header=BB22_33 Depth=1
	v_add_f32_e64 v2, 0x46000000, |v9|
	s_and_not1_b32 s5, s5, exec_lo
	s_mov_b64 s[0:1], 0
	s_delay_alu instid0(VALU_DEP_1) | instskip(NEXT) | instid1(VALU_DEP_1)
	v_and_b32_e32 v2, 0xff, v2
	v_cmp_ne_u32_e32 vcc_lo, 0, v2
	s_and_b32 s13, vcc_lo, exec_lo
	s_delay_alu instid0(SALU_CYCLE_1)
	s_or_b32 s5, s5, s13
; %bb.86:                               ;   in Loop: Header=BB22_33 Depth=1
	s_or_b32 exec_lo, exec_lo, s12
	v_dual_mov_b32 v16, s1 :: v_dual_mov_b32 v15, s0
	s_and_saveexec_b32 s0, s5
; %bb.87:                               ;   in Loop: Header=BB22_33 Depth=1
	v_lshrrev_b32_e32 v9, 24, v9
	s_delay_alu instid0(VALU_DEP_1)
	v_and_or_b32 v15, 0x80, v9, v2
; %bb.88:                               ;   in Loop: Header=BB22_33 Depth=1
	s_or_b32 exec_lo, exec_lo, s0
.LBB22_89:                              ;   in Loop: Header=BB22_33 Depth=1
	s_delay_alu instid0(SALU_CYCLE_1) | instskip(SKIP_2) | instid1(VALU_DEP_1)
	s_or_b32 exec_lo, exec_lo, s4
	v_lshrrev_b32_e32 v2, 16, v3
	s_mov_b32 s4, exec_lo
	v_cvt_f32_f16_e32 v2, v2
	s_delay_alu instid0(VALU_DEP_1) | instskip(NEXT) | instid1(VALU_DEP_1)
	v_div_scale_f32 v3, null, v18, v18, v2
	v_rcp_f32_e32 v9, v3
	s_waitcnt_depctr 0xfff
	v_fma_f32 v12, -v3, v9, 1.0
	s_delay_alu instid0(VALU_DEP_1) | instskip(SKIP_1) | instid1(VALU_DEP_1)
	v_fmac_f32_e32 v9, v12, v9
	v_div_scale_f32 v12, vcc_lo, v2, v18, v2
	v_mul_f32_e32 v16, v12, v9
	s_delay_alu instid0(VALU_DEP_1) | instskip(NEXT) | instid1(VALU_DEP_1)
	v_fma_f32 v31, -v3, v16, v12
	v_fmac_f32_e32 v16, v31, v9
	s_delay_alu instid0(VALU_DEP_1) | instskip(NEXT) | instid1(VALU_DEP_1)
	v_fma_f32 v3, -v3, v16, v12
	v_div_fmas_f32 v3, v3, v9, v16
	s_delay_alu instid0(VALU_DEP_1) | instskip(NEXT) | instid1(VALU_DEP_1)
	v_div_fixup_f32 v2, v3, v18, v2
	v_maxmin_f32 v3, v2, v28, v29
	s_delay_alu instid0(VALU_DEP_1) | instskip(NEXT) | instid1(VALU_DEP_1)
	v_and_b32_e32 v2, 0x7fffffff, v3
	v_cmpx_gt_u32_e32 0x43800000, v2
	s_cbranch_execz .LBB22_32
; %bb.90:                               ;   in Loop: Header=BB22_33 Depth=1
	s_mov_b32 s5, 0
	s_mov_b32 s0, exec_lo
                                        ; implicit-def: $vgpr9
	v_cmpx_lt_u32_e32 0x3bffffff, v2
	s_xor_b32 s0, exec_lo, s0
; %bb.91:                               ;   in Loop: Header=BB22_33 Depth=1
	v_bfe_u32 v1, v3, 20, 1
	s_mov_b32 s5, exec_lo
	s_delay_alu instid0(VALU_DEP_1) | instskip(NEXT) | instid1(VALU_DEP_1)
	v_add3_u32 v1, v3, v1, 0x487ffff
	v_lshrrev_b32_e32 v9, 20, v1
; %bb.92:                               ;   in Loop: Header=BB22_33 Depth=1
	s_or_saveexec_b32 s12, s0
                                        ; implicit-def: $sgpr0_sgpr1
	s_delay_alu instid0(SALU_CYCLE_1)
	s_xor_b32 exec_lo, exec_lo, s12
; %bb.93:                               ;   in Loop: Header=BB22_33 Depth=1
	v_add_f32_e64 v1, 0x46000000, |v3|
	s_and_not1_b32 s5, s5, exec_lo
	s_mov_b64 s[0:1], 0
	s_delay_alu instid0(VALU_DEP_1) | instskip(NEXT) | instid1(VALU_DEP_1)
	v_and_b32_e32 v9, 0xff, v1
	v_cmp_ne_u32_e32 vcc_lo, 0, v9
	s_and_b32 s13, vcc_lo, exec_lo
	s_delay_alu instid0(SALU_CYCLE_1)
	s_or_b32 s5, s5, s13
; %bb.94:                               ;   in Loop: Header=BB22_33 Depth=1
	s_or_b32 exec_lo, exec_lo, s12
	v_dual_mov_b32 v2, s1 :: v_dual_mov_b32 v1, s0
	s_and_saveexec_b32 s0, s5
	s_cbranch_execz .LBB22_31
; %bb.95:                               ;   in Loop: Header=BB22_33 Depth=1
	v_lshrrev_b32_e32 v1, 24, v3
	s_delay_alu instid0(VALU_DEP_1)
	v_and_or_b32 v1, 0x80, v1, v9
	s_branch .LBB22_31
.LBB22_96:
	s_or_b32 exec_lo, exec_lo, s2
	v_lshlrev_b32_e32 v2, 3, v26
	s_mov_b32 s12, exec_lo
	s_delay_alu instid0(VALU_DEP_1) | instskip(NEXT) | instid1(VALU_DEP_1)
	v_add_nc_u32_e32 v0, v2, v17
	v_cmpx_lt_i32_e64 v0, v20
	s_cbranch_execz .LBB22_114
; %bb.97:
	v_add_nc_u32_e32 v1, 16, v0
	s_mov_b32 s0, 0
	s_mov_b32 s1, exec_lo
	s_delay_alu instid0(VALU_DEP_1) | instskip(NEXT) | instid1(VALU_DEP_1)
	v_max_i32_e32 v3, v1, v20
	v_xad_u32 v3, v17, -1, v3
	s_delay_alu instid0(VALU_DEP_1) | instskip(NEXT) | instid1(VALU_DEP_1)
	v_sub_nc_u32_e32 v2, v3, v2
                                        ; implicit-def: $vgpr3
	v_cmpx_lt_u32_e32 15, v2
	s_xor_b32 s13, exec_lo, s1
	s_cbranch_execnz .LBB22_100
; %bb.98:
	s_and_not1_saveexec_b32 s1, s13
	s_cbranch_execnz .LBB22_103
.LBB22_99:
	s_or_b32 exec_lo, exec_lo, s1
	s_delay_alu instid0(SALU_CYCLE_1)
	s_and_b32 exec_lo, exec_lo, s0
	s_cbranch_execnz .LBB22_104
	s_branch .LBB22_114
.LBB22_100:
	v_lshrrev_b32_e32 v2, 4, v2
	v_dual_mov_b32 v10, v18 :: v_dual_lshlrev_b32 v3, 1, v19
	v_lshlrev_b32_e32 v23, 1, v21
	v_add_co_u32 v8, vcc_lo, v24, v21
	s_delay_alu instid0(VALU_DEP_4)
	v_add_nc_u32_e32 v6, 1, v2
	s_mov_b32 s0, s6
	s_mov_b32 s1, s6
	;; [unrolled: 1-line block ×4, first 2 shown]
	v_and_b32_e32 v7, 0x1ffffffe, v6
	v_lshlrev_b32_e32 v11, 4, v26
	v_add_co_ci_u32_e32 v9, vcc_lo, v25, v22, vcc_lo
	v_max_f32_e64 v12, s0, s0
	s_delay_alu instid0(VALU_DEP_4) | instskip(NEXT) | instid1(VALU_DEP_4)
	v_mov_b32_e32 v16, v7
	v_add3_u32 v2, v3, v11, v23
	v_lshlrev_b32_e32 v11, 1, v17
	v_max_f32_e64 v13, s1, s1
	v_max_f32_e64 v14, s3, s3
	;; [unrolled: 1-line block ×3, first 2 shown]
	s_mov_b32 s14, 0
	v_add3_u32 v11, v2, v11, 0
	v_mov_b32_e32 v2, v1
	v_mov_b32_e32 v1, v0
.LBB22_101:                             ; =>This Inner Loop Header: Depth=1
	ds_load_u16 v17, v11
	ds_load_u16 v19, v11 offset:32
	v_ashrrev_i32_e32 v25, 31, v1
	v_add_co_u32 v24, vcc_lo, v8, v1
	v_ashrrev_i32_e32 v27, 31, v2
	v_dual_mov_b32 v26, v2 :: v_dual_add_nc_u32 v1, 32, v1
	s_delay_alu instid0(VALU_DEP_4) | instskip(SKIP_1) | instid1(VALU_DEP_3)
	v_add_co_ci_u32_e32 v25, vcc_lo, v9, v25, vcc_lo
	v_add_nc_u32_e32 v11, 64, v11
	v_add_co_u32 v26, s0, v8, v26
	s_delay_alu instid0(VALU_DEP_1) | instskip(SKIP_4) | instid1(VALU_DEP_2)
	v_add_co_ci_u32_e64 v27, s0, v9, v27, s0
	s_waitcnt lgkmcnt(1)
	v_cvt_f32_f16_e32 v17, v17
	s_waitcnt lgkmcnt(0)
	v_cvt_f32_f16_e32 v19, v19
	v_div_scale_f32 v28, null, v18, v18, v17
	s_delay_alu instid0(VALU_DEP_2) | instskip(SKIP_1) | instid1(VALU_DEP_3)
	v_div_scale_f32 v29, null, v10, v10, v19
	v_div_scale_f32 v30, vcc_lo, v17, v18, v17
	v_rcp_f32_e32 v31, v28
	s_delay_alu instid0(VALU_DEP_2) | instskip(SKIP_4) | instid1(VALU_DEP_2)
	v_rcp_f32_e32 v32, v29
	v_div_scale_f32 v33, s1, v19, v10, v19
	s_waitcnt_depctr 0xfff
	v_fma_f32 v34, -v28, v31, 1.0
	v_fma_f32 v35, -v29, v32, 1.0
	v_dual_fmac_f32 v31, v34, v31 :: v_dual_add_nc_u32 v2, 32, v2
	s_delay_alu instid0(VALU_DEP_2) | instskip(NEXT) | instid1(VALU_DEP_1)
	v_fmac_f32_e32 v32, v35, v32
	v_dual_mul_f32 v34, v30, v31 :: v_dual_mul_f32 v35, v33, v32
	s_delay_alu instid0(VALU_DEP_1) | instskip(NEXT) | instid1(VALU_DEP_2)
	v_fma_f32 v36, -v28, v34, v30
	v_fma_f32 v37, -v29, v35, v33
	s_delay_alu instid0(VALU_DEP_1) | instskip(NEXT) | instid1(VALU_DEP_1)
	v_dual_fmac_f32 v34, v36, v31 :: v_dual_fmac_f32 v35, v37, v32
	v_fma_f32 v28, -v28, v34, v30
	s_delay_alu instid0(VALU_DEP_2) | instskip(NEXT) | instid1(VALU_DEP_2)
	v_fma_f32 v29, -v29, v35, v33
	v_div_fmas_f32 v28, v28, v31, v34
	s_mov_b32 vcc_lo, s1
	s_delay_alu instid0(VALU_DEP_2) | instskip(NEXT) | instid1(VALU_DEP_2)
	v_div_fmas_f32 v29, v29, v32, v35
	v_div_fixup_f32 v17, v28, v18, v17
	s_delay_alu instid0(VALU_DEP_2) | instskip(NEXT) | instid1(VALU_DEP_2)
	v_div_fixup_f32 v19, v29, v10, v19
	v_maxmin_f32 v17, v17, v12, v15
	s_delay_alu instid0(VALU_DEP_2) | instskip(NEXT) | instid1(VALU_DEP_2)
	v_maxmin_f32 v19, v19, v13, v14
	v_bfe_u32 v29, v17, 20, 1
	v_and_b32_e32 v28, 0x7fffffff, v17
	v_add_f32_e64 v30, 0x46000000, |v17|
	s_delay_alu instid0(VALU_DEP_4)
	v_bfe_u32 v33, v19, 20, 1
	v_and_b32_e32 v32, 0x7fffffff, v19
	v_lshrrev_b32_e32 v31, 24, v17
	v_add3_u32 v17, v17, v29, 0x487ffff
	v_add_f32_e64 v34, 0x46000000, |v19|
	v_lshrrev_b32_e32 v35, 24, v19
	v_add3_u32 v19, v19, v33, 0x487ffff
	v_cmp_gt_u32_e32 vcc_lo, 0x43800000, v28
	v_cmp_gt_u32_e64 s1, 0x3c000000, v28
	v_cmp_gt_u32_e64 s2, 0x43800000, v32
	;; [unrolled: 1-line block ×3, first 2 shown]
	v_lshrrev_b32_e32 v17, 20, v17
	v_lshrrev_b32_e32 v19, 20, v19
	s_xor_b32 s4, s1, vcc_lo
	v_and_b32_e32 v28, 0xff, v30
	s_xor_b32 s5, s3, s2
	v_cndmask_b32_e64 v17, v30, v17, s4
	v_cndmask_b32_e64 v19, v34, v19, s5
	v_and_b32_e32 v29, 0xff, v34
	v_cmp_eq_u32_e64 s0, 0, v28
	s_delay_alu instid0(VALU_DEP_4) | instskip(NEXT) | instid1(VALU_DEP_4)
	v_and_or_b32 v17, 0x80, v31, v17
	v_and_or_b32 v19, 0x80, v35, v19
	v_add_nc_u32_e32 v16, -2, v16
	v_cmp_eq_u32_e64 s4, 0, v29
	s_and_b32 s0, s1, s0
	v_cndmask_b32_e32 v17, 0xffffff80, v17, vcc_lo
	v_cndmask_b32_e64 v19, 0xffffff80, v19, s2
	v_cmp_eq_u32_e32 vcc_lo, 0, v16
	s_and_b32 s1, s3, s4
	s_delay_alu instid0(VALU_DEP_3) | instskip(NEXT) | instid1(VALU_DEP_3)
	v_cndmask_b32_e64 v17, v17, 0, s0
	v_cndmask_b32_e64 v19, v19, 0, s1
	s_or_b32 s14, vcc_lo, s14
	s_clause 0x1
	global_store_b8 v[24:25], v17, off
	global_store_b8 v[26:27], v19, off
	s_and_not1_b32 exec_lo, exec_lo, s14
	s_cbranch_execnz .LBB22_101
; %bb.102:
	s_or_b32 exec_lo, exec_lo, s14
	v_cmp_ne_u32_e32 vcc_lo, v6, v7
	v_lshl_add_u32 v0, v7, 4, v0
                                        ; implicit-def: $vgpr19
	s_and_b32 s0, vcc_lo, exec_lo
	s_and_not1_saveexec_b32 s1, s13
	s_cbranch_execz .LBB22_99
.LBB22_103:
	v_lshlrev_b32_e32 v3, 1, v19
	s_or_b32 s0, s0, exec_lo
	s_or_b32 exec_lo, exec_lo, s1
	s_delay_alu instid0(SALU_CYCLE_1)
	s_and_b32 exec_lo, exec_lo, s0
	s_cbranch_execz .LBB22_114
.LBB22_104:
	v_add_co_u32 v1, vcc_lo, v21, v4
	v_add_co_ci_u32_e32 v2, vcc_lo, v22, v5, vcc_lo
	v_ashrrev_i32_e32 v4, 31, v0
	s_delay_alu instid0(VALU_DEP_3) | instskip(SKIP_2) | instid1(VALU_DEP_4)
	v_add_co_u32 v1, vcc_lo, v1, v0
	v_lshl_add_u32 v3, v0, 1, v3
	v_max_f32_e64 v5, s7, s7
	v_add_co_ci_u32_e32 v2, vcc_lo, v2, v4, vcc_lo
	s_delay_alu instid0(VALU_DEP_4) | instskip(NEXT) | instid1(VALU_DEP_4)
	v_add_co_u32 v1, vcc_lo, s8, v1
	v_add3_u32 v3, v3, v23, 0
	s_delay_alu instid0(VALU_DEP_3)
	v_add_co_ci_u32_e32 v2, vcc_lo, s9, v2, vcc_lo
	v_max_f32_e64 v4, s6, s6
	s_mov_b32 s1, 0
	s_branch .LBB22_107
.LBB22_105:                             ;   in Loop: Header=BB22_107 Depth=1
	s_or_b32 exec_lo, exec_lo, s3
.LBB22_106:                             ;   in Loop: Header=BB22_107 Depth=1
	s_delay_alu instid0(SALU_CYCLE_1)
	s_or_b32 exec_lo, exec_lo, s0
	v_add_nc_u32_e32 v0, 16, v0
	global_store_b8 v[1:2], v8, off
	v_add_co_u32 v1, s0, v1, 16
	v_add_nc_u32_e32 v3, 32, v3
	v_cmp_ge_i32_e32 vcc_lo, v0, v20
	v_add_co_ci_u32_e64 v2, s0, 0, v2, s0
	s_or_b32 s1, vcc_lo, s1
	s_delay_alu instid0(SALU_CYCLE_1)
	s_and_not1_b32 exec_lo, exec_lo, s1
	s_cbranch_execz .LBB22_114
.LBB22_107:                             ; =>This Inner Loop Header: Depth=1
	ds_load_u16 v6, v3
	s_mov_b32 s0, exec_lo
	s_waitcnt lgkmcnt(0)
	v_cvt_f32_f16_e32 v6, v6
	s_delay_alu instid0(VALU_DEP_1) | instskip(SKIP_1) | instid1(VALU_DEP_2)
	v_div_scale_f32 v7, null, v18, v18, v6
	v_div_scale_f32 v10, vcc_lo, v6, v18, v6
	v_rcp_f32_e32 v8, v7
	s_waitcnt_depctr 0xfff
	v_fma_f32 v9, -v7, v8, 1.0
	s_delay_alu instid0(VALU_DEP_1) | instskip(NEXT) | instid1(VALU_DEP_1)
	v_fmac_f32_e32 v8, v9, v8
	v_mul_f32_e32 v9, v10, v8
	s_delay_alu instid0(VALU_DEP_1) | instskip(NEXT) | instid1(VALU_DEP_1)
	v_fma_f32 v11, -v7, v9, v10
	v_fmac_f32_e32 v9, v11, v8
	s_delay_alu instid0(VALU_DEP_1) | instskip(NEXT) | instid1(VALU_DEP_1)
	v_fma_f32 v7, -v7, v9, v10
	v_div_fmas_f32 v7, v7, v8, v9
	v_mov_b32_e32 v8, 0x80
	s_delay_alu instid0(VALU_DEP_2) | instskip(NEXT) | instid1(VALU_DEP_1)
	v_div_fixup_f32 v6, v7, v18, v6
	v_maxmin_f32 v6, v6, v4, v5
	s_delay_alu instid0(VALU_DEP_1) | instskip(NEXT) | instid1(VALU_DEP_1)
	v_and_b32_e32 v7, 0x7fffffff, v6
	v_cmpx_gt_u32_e32 0x43800000, v7
	s_cbranch_execz .LBB22_106
; %bb.108:                              ;   in Loop: Header=BB22_107 Depth=1
	v_cmp_lt_u32_e32 vcc_lo, 0x3bffffff, v7
	s_mov_b32 s2, 0
                                        ; implicit-def: $vgpr7
	s_and_saveexec_b32 s3, vcc_lo
	s_delay_alu instid0(SALU_CYCLE_1)
	s_xor_b32 s3, exec_lo, s3
	s_cbranch_execnz .LBB22_111
; %bb.109:                              ;   in Loop: Header=BB22_107 Depth=1
	s_or_saveexec_b32 s3, s3
                                        ; implicit-def: $sgpr4
	s_delay_alu instid0(SALU_CYCLE_1)
	s_xor_b32 exec_lo, exec_lo, s3
	s_cbranch_execnz .LBB22_112
.LBB22_110:                             ;   in Loop: Header=BB22_107 Depth=1
	s_or_b32 exec_lo, exec_lo, s3
	v_mov_b32_e32 v8, s4
	s_and_saveexec_b32 s3, s2
	s_cbranch_execz .LBB22_105
	s_branch .LBB22_113
.LBB22_111:                             ;   in Loop: Header=BB22_107 Depth=1
	v_bfe_u32 v7, v6, 20, 1
	s_mov_b32 s2, exec_lo
	s_delay_alu instid0(VALU_DEP_1) | instskip(NEXT) | instid1(VALU_DEP_1)
	v_add3_u32 v7, v6, v7, 0x487ffff
	v_lshrrev_b32_e32 v7, 20, v7
	s_or_saveexec_b32 s3, s3
                                        ; implicit-def: $sgpr4
	s_delay_alu instid0(SALU_CYCLE_1)
	s_xor_b32 exec_lo, exec_lo, s3
	s_cbranch_execz .LBB22_110
.LBB22_112:                             ;   in Loop: Header=BB22_107 Depth=1
	v_add_f32_e64 v7, 0x46000000, |v6|
	s_and_not1_b32 s2, s2, exec_lo
	s_mov_b32 s4, 0
	s_delay_alu instid0(VALU_DEP_1) | instskip(NEXT) | instid1(VALU_DEP_1)
	v_and_b32_e32 v7, 0xff, v7
	v_cmp_ne_u32_e32 vcc_lo, 0, v7
	s_and_b32 s5, vcc_lo, exec_lo
	s_delay_alu instid0(SALU_CYCLE_1)
	s_or_b32 s2, s2, s5
	s_or_b32 exec_lo, exec_lo, s3
	v_mov_b32_e32 v8, s4
	s_and_saveexec_b32 s3, s2
	s_cbranch_execz .LBB22_105
.LBB22_113:                             ;   in Loop: Header=BB22_107 Depth=1
	v_lshrrev_b32_e32 v6, 24, v6
	s_delay_alu instid0(VALU_DEP_1)
	v_and_or_b32 v8, 0x80, v6, v7
	s_branch .LBB22_105
.LBB22_114:
	s_or_b32 exec_lo, exec_lo, s12
                                        ; implicit-def: $vgpr17
                                        ; implicit-def: $vgpr18
                                        ; implicit-def: $vgpr19
                                        ; implicit-def: $vgpr4_vgpr5
.LBB22_115:
	s_and_not1_saveexec_b32 s0, s11
	s_cbranch_execz .LBB22_183
; %bb.116:
	s_ashr_i32 s2, s10, 3
	s_mov_b32 s0, exec_lo
	v_cmpx_gt_i32_e64 s2, v17
	s_cbranch_execz .LBB22_183
; %bb.117:
	v_lshlrev_b32_e32 v0, 3, v17
	v_lshlrev_b32_e32 v1, 1, v19
	;; [unrolled: 1-line block ×3, first 2 shown]
	v_max_f32_e64 v16, s6, s6
	v_max_f32_e64 v19, s7, s7
	v_add_co_u32 v0, vcc_lo, v4, v0
	v_add_co_ci_u32_e32 v3, vcc_lo, 0, v5, vcc_lo
	v_add3_u32 v15, v1, v2, 0
	s_delay_alu instid0(VALU_DEP_3) | instskip(NEXT) | instid1(VALU_DEP_3)
	v_add_co_u32 v4, vcc_lo, s8, v0
	v_add_co_ci_u32_e32 v5, vcc_lo, s9, v3, vcc_lo
	s_mov_b32 s3, 0
	s_branch .LBB22_120
.LBB22_118:                             ;   in Loop: Header=BB22_120 Depth=1
	s_or_b32 exec_lo, exec_lo, s0
.LBB22_119:                             ;   in Loop: Header=BB22_120 Depth=1
	s_delay_alu instid0(SALU_CYCLE_1)
	s_or_b32 exec_lo, exec_lo, s4
	v_lshlrev_b32_e32 v2, 16, v13
	v_lshlrev_b32_e32 v3, 16, v11
	;; [unrolled: 1-line block ×5, first 2 shown]
	v_and_b32_e32 v2, 0xff0000, v2
	v_perm_b32 v3, v9, v3, 0x4020c0c
	v_and_b32_e32 v0, 0xff, v0
	v_and_b32_e32 v8, 0xff, v8
	;; [unrolled: 1-line block ×3, first 2 shown]
	v_or_b32_e32 v1, v1, v2
	v_and_or_b32 v2, 0xff00, v6, v3
	v_add_nc_u32_e32 v17, 16, v17
	v_add_nc_u32_e32 v15, 0x100, v15
	s_delay_alu instid0(VALU_DEP_4) | instskip(NEXT) | instid1(VALU_DEP_4)
	v_or3_b32 v1, v1, v7, v0
	v_or_b32_e32 v0, v2, v8
	s_delay_alu instid0(VALU_DEP_4) | instskip(SKIP_2) | instid1(VALU_DEP_1)
	v_cmp_le_i32_e32 vcc_lo, s2, v17
	global_store_b64 v[4:5], v[0:1], off
	v_add_co_u32 v4, s0, 0x80, v4
	v_add_co_ci_u32_e64 v5, s0, 0, v5, s0
	s_or_b32 s3, vcc_lo, s3
	s_delay_alu instid0(SALU_CYCLE_1)
	s_and_not1_b32 exec_lo, exec_lo, s3
	s_cbranch_execz .LBB22_183
.LBB22_120:                             ; =>This Inner Loop Header: Depth=1
	ds_load_b128 v[0:3], v15
	s_mov_b32 s4, exec_lo
	s_waitcnt lgkmcnt(0)
	v_cvt_f32_f16_e32 v6, v0
	s_delay_alu instid0(VALU_DEP_1) | instskip(SKIP_1) | instid1(VALU_DEP_2)
	v_div_scale_f32 v7, null, v18, v18, v6
	v_div_scale_f32 v10, vcc_lo, v6, v18, v6
	v_rcp_f32_e32 v8, v7
	s_waitcnt_depctr 0xfff
	v_fma_f32 v9, -v7, v8, 1.0
	s_delay_alu instid0(VALU_DEP_1) | instskip(NEXT) | instid1(VALU_DEP_1)
	v_fmac_f32_e32 v8, v9, v8
	v_mul_f32_e32 v9, v10, v8
	s_delay_alu instid0(VALU_DEP_1) | instskip(NEXT) | instid1(VALU_DEP_1)
	v_fma_f32 v11, -v7, v9, v10
	v_fmac_f32_e32 v9, v11, v8
	s_delay_alu instid0(VALU_DEP_1) | instskip(NEXT) | instid1(VALU_DEP_1)
	v_fma_f32 v7, -v7, v9, v10
	v_div_fmas_f32 v7, v7, v8, v9
	s_delay_alu instid0(VALU_DEP_1) | instskip(NEXT) | instid1(VALU_DEP_1)
	v_div_fixup_f32 v6, v7, v18, v6
	v_maxmin_f32 v10, v6, v16, v19
	v_mov_b32_e32 v6, 0x80
	v_mov_b32_e32 v7, 0
	s_delay_alu instid0(VALU_DEP_3) | instskip(NEXT) | instid1(VALU_DEP_2)
	v_and_b32_e32 v11, 0x7fffffff, v10
	v_dual_mov_b32 v9, v7 :: v_dual_mov_b32 v8, v6
	s_delay_alu instid0(VALU_DEP_2)
	v_cmpx_gt_u32_e32 0x43800000, v11
	s_cbranch_execz .LBB22_128
; %bb.121:                              ;   in Loop: Header=BB22_120 Depth=1
	s_mov_b32 s5, 0
	s_mov_b32 s0, exec_lo
                                        ; implicit-def: $vgpr7
	v_cmpx_lt_u32_e32 0x3bffffff, v11
	s_xor_b32 s0, exec_lo, s0
; %bb.122:                              ;   in Loop: Header=BB22_120 Depth=1
	v_bfe_u32 v7, v10, 20, 1
	s_mov_b32 s5, exec_lo
	s_delay_alu instid0(VALU_DEP_1) | instskip(NEXT) | instid1(VALU_DEP_1)
	v_add3_u32 v7, v10, v7, 0x487ffff
	v_lshrrev_b32_e32 v7, 20, v7
; %bb.123:                              ;   in Loop: Header=BB22_120 Depth=1
	s_or_saveexec_b32 s6, s0
                                        ; implicit-def: $sgpr0_sgpr1
	s_delay_alu instid0(SALU_CYCLE_1)
	s_xor_b32 exec_lo, exec_lo, s6
; %bb.124:                              ;   in Loop: Header=BB22_120 Depth=1
	v_add_f32_e64 v7, 0x46000000, |v10|
	s_and_not1_b32 s5, s5, exec_lo
	s_mov_b64 s[0:1], 0
	s_delay_alu instid0(VALU_DEP_1) | instskip(NEXT) | instid1(VALU_DEP_1)
	v_and_b32_e32 v7, 0xff, v7
	v_cmp_ne_u32_e32 vcc_lo, 0, v7
	s_and_b32 s7, vcc_lo, exec_lo
	s_delay_alu instid0(SALU_CYCLE_1)
	s_or_b32 s5, s5, s7
; %bb.125:                              ;   in Loop: Header=BB22_120 Depth=1
	s_or_b32 exec_lo, exec_lo, s6
	v_dual_mov_b32 v9, s1 :: v_dual_mov_b32 v8, s0
	s_and_saveexec_b32 s0, s5
; %bb.126:                              ;   in Loop: Header=BB22_120 Depth=1
	v_lshrrev_b32_e32 v8, 24, v10
	s_delay_alu instid0(VALU_DEP_1)
	v_and_or_b32 v8, 0x80, v8, v7
; %bb.127:                              ;   in Loop: Header=BB22_120 Depth=1
	s_or_b32 exec_lo, exec_lo, s0
.LBB22_128:                             ;   in Loop: Header=BB22_120 Depth=1
	s_delay_alu instid0(SALU_CYCLE_1) | instskip(SKIP_2) | instid1(VALU_DEP_1)
	s_or_b32 exec_lo, exec_lo, s4
	v_lshrrev_b32_e32 v0, 16, v0
	s_mov_b32 s4, exec_lo
	v_cvt_f32_f16_e32 v0, v0
	s_delay_alu instid0(VALU_DEP_1) | instskip(NEXT) | instid1(VALU_DEP_1)
	v_div_scale_f32 v7, null, v18, v18, v0
	v_rcp_f32_e32 v9, v7
	s_waitcnt_depctr 0xfff
	v_fma_f32 v10, -v7, v9, 1.0
	s_delay_alu instid0(VALU_DEP_1) | instskip(SKIP_1) | instid1(VALU_DEP_1)
	v_fmac_f32_e32 v9, v10, v9
	v_div_scale_f32 v10, vcc_lo, v0, v18, v0
	v_mul_f32_e32 v11, v10, v9
	s_delay_alu instid0(VALU_DEP_1) | instskip(NEXT) | instid1(VALU_DEP_1)
	v_fma_f32 v12, -v7, v11, v10
	v_fmac_f32_e32 v11, v12, v9
	s_delay_alu instid0(VALU_DEP_1) | instskip(NEXT) | instid1(VALU_DEP_1)
	v_fma_f32 v7, -v7, v11, v10
	v_div_fmas_f32 v7, v7, v9, v11
	s_delay_alu instid0(VALU_DEP_1) | instskip(NEXT) | instid1(VALU_DEP_1)
	v_div_fixup_f32 v0, v7, v18, v0
	v_maxmin_f32 v0, v0, v16, v19
	s_delay_alu instid0(VALU_DEP_1) | instskip(NEXT) | instid1(VALU_DEP_1)
	v_and_b32_e32 v7, 0x7fffffff, v0
	v_cmpx_gt_u32_e32 0x43800000, v7
	s_cbranch_execz .LBB22_136
; %bb.129:                              ;   in Loop: Header=BB22_120 Depth=1
	s_mov_b32 s5, 0
	s_mov_b32 s0, exec_lo
                                        ; implicit-def: $vgpr9
	v_cmpx_lt_u32_e32 0x3bffffff, v7
	s_xor_b32 s0, exec_lo, s0
; %bb.130:                              ;   in Loop: Header=BB22_120 Depth=1
	v_bfe_u32 v6, v0, 20, 1
	s_mov_b32 s5, exec_lo
	s_delay_alu instid0(VALU_DEP_1) | instskip(NEXT) | instid1(VALU_DEP_1)
	v_add3_u32 v6, v0, v6, 0x487ffff
	v_lshrrev_b32_e32 v9, 20, v6
; %bb.131:                              ;   in Loop: Header=BB22_120 Depth=1
	s_or_saveexec_b32 s6, s0
                                        ; implicit-def: $sgpr0_sgpr1
	s_delay_alu instid0(SALU_CYCLE_1)
	s_xor_b32 exec_lo, exec_lo, s6
; %bb.132:                              ;   in Loop: Header=BB22_120 Depth=1
	v_add_f32_e64 v6, 0x46000000, |v0|
	s_and_not1_b32 s5, s5, exec_lo
	s_mov_b64 s[0:1], 0
	s_delay_alu instid0(VALU_DEP_1) | instskip(NEXT) | instid1(VALU_DEP_1)
	v_and_b32_e32 v9, 0xff, v6
	v_cmp_ne_u32_e32 vcc_lo, 0, v9
	s_and_b32 s7, vcc_lo, exec_lo
	s_delay_alu instid0(SALU_CYCLE_1)
	s_or_b32 s5, s5, s7
; %bb.133:                              ;   in Loop: Header=BB22_120 Depth=1
	s_or_b32 exec_lo, exec_lo, s6
	v_dual_mov_b32 v7, s1 :: v_dual_mov_b32 v6, s0
	s_and_saveexec_b32 s0, s5
; %bb.134:                              ;   in Loop: Header=BB22_120 Depth=1
	v_lshrrev_b32_e32 v0, 24, v0
	s_delay_alu instid0(VALU_DEP_1)
	v_and_or_b32 v6, 0x80, v0, v9
; %bb.135:                              ;   in Loop: Header=BB22_120 Depth=1
	s_or_b32 exec_lo, exec_lo, s0
.LBB22_136:                             ;   in Loop: Header=BB22_120 Depth=1
	s_delay_alu instid0(SALU_CYCLE_1) | instskip(SKIP_2) | instid1(VALU_DEP_1)
	s_or_b32 exec_lo, exec_lo, s4
	v_cvt_f32_f16_e32 v0, v1
	s_mov_b32 s4, exec_lo
	v_div_scale_f32 v7, null, v18, v18, v0
	v_div_scale_f32 v11, vcc_lo, v0, v18, v0
	s_delay_alu instid0(VALU_DEP_2) | instskip(SKIP_2) | instid1(VALU_DEP_1)
	v_rcp_f32_e32 v9, v7
	s_waitcnt_depctr 0xfff
	v_fma_f32 v10, -v7, v9, 1.0
	v_fmac_f32_e32 v9, v10, v9
	s_delay_alu instid0(VALU_DEP_1) | instskip(NEXT) | instid1(VALU_DEP_1)
	v_mul_f32_e32 v10, v11, v9
	v_fma_f32 v12, -v7, v10, v11
	s_delay_alu instid0(VALU_DEP_1) | instskip(NEXT) | instid1(VALU_DEP_1)
	v_fmac_f32_e32 v10, v12, v9
	v_fma_f32 v7, -v7, v10, v11
	s_delay_alu instid0(VALU_DEP_1) | instskip(SKIP_2) | instid1(VALU_DEP_3)
	v_div_fmas_f32 v7, v7, v9, v10
	v_mov_b32_e32 v9, 0x80
	v_mov_b32_e32 v10, 0
	v_div_fixup_f32 v0, v7, v18, v0
	s_delay_alu instid0(VALU_DEP_2) | instskip(NEXT) | instid1(VALU_DEP_2)
	v_dual_mov_b32 v12, v10 :: v_dual_mov_b32 v11, v9
	v_maxmin_f32 v0, v0, v16, v19
	s_delay_alu instid0(VALU_DEP_1) | instskip(NEXT) | instid1(VALU_DEP_1)
	v_and_b32_e32 v7, 0x7fffffff, v0
	v_cmpx_gt_u32_e32 0x43800000, v7
	s_cbranch_execz .LBB22_144
; %bb.137:                              ;   in Loop: Header=BB22_120 Depth=1
	v_cmp_lt_u32_e32 vcc_lo, 0x3bffffff, v7
	s_mov_b32 s5, 0
                                        ; implicit-def: $vgpr7
	s_and_saveexec_b32 s0, vcc_lo
	s_delay_alu instid0(SALU_CYCLE_1)
	s_xor_b32 s0, exec_lo, s0
; %bb.138:                              ;   in Loop: Header=BB22_120 Depth=1
	v_bfe_u32 v7, v0, 20, 1
	s_mov_b32 s5, exec_lo
	s_delay_alu instid0(VALU_DEP_1) | instskip(NEXT) | instid1(VALU_DEP_1)
	v_add3_u32 v7, v0, v7, 0x487ffff
	v_lshrrev_b32_e32 v7, 20, v7
; %bb.139:                              ;   in Loop: Header=BB22_120 Depth=1
	s_or_saveexec_b32 s6, s0
                                        ; implicit-def: $sgpr0_sgpr1
	s_delay_alu instid0(SALU_CYCLE_1)
	s_xor_b32 exec_lo, exec_lo, s6
; %bb.140:                              ;   in Loop: Header=BB22_120 Depth=1
	v_add_f32_e64 v7, 0x46000000, |v0|
	s_and_not1_b32 s5, s5, exec_lo
	s_mov_b64 s[0:1], 0
	s_delay_alu instid0(VALU_DEP_1) | instskip(NEXT) | instid1(VALU_DEP_1)
	v_and_b32_e32 v7, 0xff, v7
	v_cmp_ne_u32_e32 vcc_lo, 0, v7
	s_and_b32 s7, vcc_lo, exec_lo
	s_delay_alu instid0(SALU_CYCLE_1)
	s_or_b32 s5, s5, s7
; %bb.141:                              ;   in Loop: Header=BB22_120 Depth=1
	s_or_b32 exec_lo, exec_lo, s6
	v_dual_mov_b32 v12, s1 :: v_dual_mov_b32 v11, s0
	s_and_saveexec_b32 s0, s5
; %bb.142:                              ;   in Loop: Header=BB22_120 Depth=1
	v_lshrrev_b32_e32 v0, 24, v0
	s_delay_alu instid0(VALU_DEP_1)
	v_and_or_b32 v11, 0x80, v0, v7
; %bb.143:                              ;   in Loop: Header=BB22_120 Depth=1
	s_or_b32 exec_lo, exec_lo, s0
.LBB22_144:                             ;   in Loop: Header=BB22_120 Depth=1
	s_delay_alu instid0(SALU_CYCLE_1) | instskip(SKIP_2) | instid1(VALU_DEP_1)
	s_or_b32 exec_lo, exec_lo, s4
	v_lshrrev_b32_e32 v0, 16, v1
	s_mov_b32 s4, exec_lo
	v_cvt_f32_f16_e32 v0, v0
	s_delay_alu instid0(VALU_DEP_1) | instskip(NEXT) | instid1(VALU_DEP_1)
	v_div_scale_f32 v1, null, v18, v18, v0
	v_rcp_f32_e32 v7, v1
	s_waitcnt_depctr 0xfff
	v_fma_f32 v10, -v1, v7, 1.0
	s_delay_alu instid0(VALU_DEP_1) | instskip(SKIP_1) | instid1(VALU_DEP_1)
	v_fmac_f32_e32 v7, v10, v7
	v_div_scale_f32 v10, vcc_lo, v0, v18, v0
	v_mul_f32_e32 v12, v10, v7
	s_delay_alu instid0(VALU_DEP_1) | instskip(NEXT) | instid1(VALU_DEP_1)
	v_fma_f32 v13, -v1, v12, v10
	v_fmac_f32_e32 v12, v13, v7
	s_delay_alu instid0(VALU_DEP_1) | instskip(NEXT) | instid1(VALU_DEP_1)
	v_fma_f32 v1, -v1, v12, v10
	v_div_fmas_f32 v1, v1, v7, v12
	s_delay_alu instid0(VALU_DEP_1) | instskip(NEXT) | instid1(VALU_DEP_1)
	v_div_fixup_f32 v0, v1, v18, v0
	v_maxmin_f32 v0, v0, v16, v19
	s_delay_alu instid0(VALU_DEP_1) | instskip(NEXT) | instid1(VALU_DEP_1)
	v_and_b32_e32 v1, 0x7fffffff, v0
	v_cmpx_gt_u32_e32 0x43800000, v1
	s_cbranch_execz .LBB22_152
; %bb.145:                              ;   in Loop: Header=BB22_120 Depth=1
	v_cmp_lt_u32_e32 vcc_lo, 0x3bffffff, v1
	s_mov_b32 s5, 0
                                        ; implicit-def: $vgpr1
	s_and_saveexec_b32 s0, vcc_lo
	s_delay_alu instid0(SALU_CYCLE_1)
	s_xor_b32 s0, exec_lo, s0
; %bb.146:                              ;   in Loop: Header=BB22_120 Depth=1
	v_bfe_u32 v1, v0, 20, 1
	s_mov_b32 s5, exec_lo
	s_delay_alu instid0(VALU_DEP_1) | instskip(NEXT) | instid1(VALU_DEP_1)
	v_add3_u32 v1, v0, v1, 0x487ffff
	v_lshrrev_b32_e32 v1, 20, v1
; %bb.147:                              ;   in Loop: Header=BB22_120 Depth=1
	s_or_saveexec_b32 s6, s0
                                        ; implicit-def: $sgpr0_sgpr1
	s_delay_alu instid0(SALU_CYCLE_1)
	s_xor_b32 exec_lo, exec_lo, s6
; %bb.148:                              ;   in Loop: Header=BB22_120 Depth=1
	v_add_f32_e64 v1, 0x46000000, |v0|
	s_and_not1_b32 s5, s5, exec_lo
	s_mov_b64 s[0:1], 0
	s_delay_alu instid0(VALU_DEP_1) | instskip(NEXT) | instid1(VALU_DEP_1)
	v_and_b32_e32 v1, 0xff, v1
	v_cmp_ne_u32_e32 vcc_lo, 0, v1
	s_and_b32 s7, vcc_lo, exec_lo
	s_delay_alu instid0(SALU_CYCLE_1)
	s_or_b32 s5, s5, s7
; %bb.149:                              ;   in Loop: Header=BB22_120 Depth=1
	s_or_b32 exec_lo, exec_lo, s6
	v_dual_mov_b32 v10, s1 :: v_dual_mov_b32 v9, s0
	s_and_saveexec_b32 s0, s5
; %bb.150:                              ;   in Loop: Header=BB22_120 Depth=1
	v_lshrrev_b32_e32 v0, 24, v0
	s_delay_alu instid0(VALU_DEP_1)
	v_and_or_b32 v9, 0x80, v0, v1
; %bb.151:                              ;   in Loop: Header=BB22_120 Depth=1
	s_or_b32 exec_lo, exec_lo, s0
.LBB22_152:                             ;   in Loop: Header=BB22_120 Depth=1
	s_delay_alu instid0(SALU_CYCLE_1) | instskip(SKIP_2) | instid1(VALU_DEP_1)
	s_or_b32 exec_lo, exec_lo, s4
	v_cvt_f32_f16_e32 v0, v2
	s_mov_b32 s4, exec_lo
	v_div_scale_f32 v1, null, v18, v18, v0
	v_div_scale_f32 v12, vcc_lo, v0, v18, v0
	s_delay_alu instid0(VALU_DEP_2) | instskip(SKIP_2) | instid1(VALU_DEP_1)
	v_rcp_f32_e32 v7, v1
	s_waitcnt_depctr 0xfff
	v_fma_f32 v10, -v1, v7, 1.0
	v_fmac_f32_e32 v7, v10, v7
	s_delay_alu instid0(VALU_DEP_1) | instskip(NEXT) | instid1(VALU_DEP_1)
	v_mul_f32_e32 v10, v12, v7
	v_fma_f32 v13, -v1, v10, v12
	s_delay_alu instid0(VALU_DEP_1) | instskip(NEXT) | instid1(VALU_DEP_1)
	v_fmac_f32_e32 v10, v13, v7
	v_fma_f32 v1, -v1, v10, v12
	v_mov_b32_e32 v12, 0x80
	v_mov_b32_e32 v13, 0
	s_delay_alu instid0(VALU_DEP_3) | instskip(NEXT) | instid1(VALU_DEP_1)
	v_div_fmas_f32 v1, v1, v7, v10
	v_div_fixup_f32 v0, v1, v18, v0
	s_delay_alu instid0(VALU_DEP_1) | instskip(NEXT) | instid1(VALU_DEP_4)
	v_maxmin_f32 v7, v0, v16, v19
	v_dual_mov_b32 v0, v12 :: v_dual_mov_b32 v1, v13
	s_delay_alu instid0(VALU_DEP_2) | instskip(NEXT) | instid1(VALU_DEP_1)
	v_and_b32_e32 v10, 0x7fffffff, v7
	v_cmpx_gt_u32_e32 0x43800000, v10
	s_cbranch_execz .LBB22_160
; %bb.153:                              ;   in Loop: Header=BB22_120 Depth=1
	v_cmp_lt_u32_e32 vcc_lo, 0x3bffffff, v10
	s_mov_b32 s5, 0
                                        ; implicit-def: $vgpr10
	s_and_saveexec_b32 s0, vcc_lo
	s_delay_alu instid0(SALU_CYCLE_1)
	s_xor_b32 s0, exec_lo, s0
; %bb.154:                              ;   in Loop: Header=BB22_120 Depth=1
	v_bfe_u32 v0, v7, 20, 1
	s_mov_b32 s5, exec_lo
	s_delay_alu instid0(VALU_DEP_1) | instskip(NEXT) | instid1(VALU_DEP_1)
	v_add3_u32 v0, v7, v0, 0x487ffff
	v_lshrrev_b32_e32 v10, 20, v0
; %bb.155:                              ;   in Loop: Header=BB22_120 Depth=1
	s_or_saveexec_b32 s6, s0
                                        ; implicit-def: $sgpr0_sgpr1
	s_delay_alu instid0(SALU_CYCLE_1)
	s_xor_b32 exec_lo, exec_lo, s6
; %bb.156:                              ;   in Loop: Header=BB22_120 Depth=1
	v_add_f32_e64 v0, 0x46000000, |v7|
	s_and_not1_b32 s5, s5, exec_lo
	s_mov_b64 s[0:1], 0
	s_delay_alu instid0(VALU_DEP_1) | instskip(NEXT) | instid1(VALU_DEP_1)
	v_and_b32_e32 v10, 0xff, v0
	v_cmp_ne_u32_e32 vcc_lo, 0, v10
	s_and_b32 s7, vcc_lo, exec_lo
	s_delay_alu instid0(SALU_CYCLE_1)
	s_or_b32 s5, s5, s7
; %bb.157:                              ;   in Loop: Header=BB22_120 Depth=1
	s_or_b32 exec_lo, exec_lo, s6
	v_dual_mov_b32 v0, s0 :: v_dual_mov_b32 v1, s1
	s_and_saveexec_b32 s0, s5
; %bb.158:                              ;   in Loop: Header=BB22_120 Depth=1
	v_lshrrev_b32_e32 v0, 24, v7
	s_delay_alu instid0(VALU_DEP_1)
	v_and_or_b32 v0, 0x80, v0, v10
; %bb.159:                              ;   in Loop: Header=BB22_120 Depth=1
	s_or_b32 exec_lo, exec_lo, s0
.LBB22_160:                             ;   in Loop: Header=BB22_120 Depth=1
	s_delay_alu instid0(SALU_CYCLE_1) | instskip(SKIP_2) | instid1(VALU_DEP_1)
	s_or_b32 exec_lo, exec_lo, s4
	v_lshrrev_b32_e32 v1, 16, v2
	s_mov_b32 s4, exec_lo
	v_cvt_f32_f16_e32 v1, v1
	s_delay_alu instid0(VALU_DEP_1) | instskip(NEXT) | instid1(VALU_DEP_1)
	v_div_scale_f32 v2, null, v18, v18, v1
	v_rcp_f32_e32 v7, v2
	s_waitcnt_depctr 0xfff
	v_fma_f32 v10, -v2, v7, 1.0
	s_delay_alu instid0(VALU_DEP_1) | instskip(SKIP_1) | instid1(VALU_DEP_1)
	v_fmac_f32_e32 v7, v10, v7
	v_div_scale_f32 v10, vcc_lo, v1, v18, v1
	v_mul_f32_e32 v13, v10, v7
	s_delay_alu instid0(VALU_DEP_1) | instskip(NEXT) | instid1(VALU_DEP_1)
	v_fma_f32 v14, -v2, v13, v10
	v_fmac_f32_e32 v13, v14, v7
	s_delay_alu instid0(VALU_DEP_1) | instskip(NEXT) | instid1(VALU_DEP_1)
	v_fma_f32 v2, -v2, v13, v10
	v_div_fmas_f32 v2, v2, v7, v13
	s_delay_alu instid0(VALU_DEP_1) | instskip(NEXT) | instid1(VALU_DEP_1)
	v_div_fixup_f32 v1, v2, v18, v1
	v_maxmin_f32 v1, v1, v16, v19
	s_delay_alu instid0(VALU_DEP_1) | instskip(NEXT) | instid1(VALU_DEP_1)
	v_and_b32_e32 v2, 0x7fffffff, v1
	v_cmpx_gt_u32_e32 0x43800000, v2
	s_cbranch_execz .LBB22_168
; %bb.161:                              ;   in Loop: Header=BB22_120 Depth=1
	v_cmp_lt_u32_e32 vcc_lo, 0x3bffffff, v2
	s_mov_b32 s5, 0
                                        ; implicit-def: $vgpr2
	s_and_saveexec_b32 s0, vcc_lo
	s_delay_alu instid0(SALU_CYCLE_1)
	s_xor_b32 s0, exec_lo, s0
; %bb.162:                              ;   in Loop: Header=BB22_120 Depth=1
	v_bfe_u32 v2, v1, 20, 1
	s_mov_b32 s5, exec_lo
	s_delay_alu instid0(VALU_DEP_1) | instskip(NEXT) | instid1(VALU_DEP_1)
	v_add3_u32 v2, v1, v2, 0x487ffff
	v_lshrrev_b32_e32 v2, 20, v2
; %bb.163:                              ;   in Loop: Header=BB22_120 Depth=1
	s_or_saveexec_b32 s6, s0
                                        ; implicit-def: $sgpr0_sgpr1
	s_delay_alu instid0(SALU_CYCLE_1)
	s_xor_b32 exec_lo, exec_lo, s6
; %bb.164:                              ;   in Loop: Header=BB22_120 Depth=1
	v_add_f32_e64 v2, 0x46000000, |v1|
	s_and_not1_b32 s5, s5, exec_lo
	s_mov_b64 s[0:1], 0
	s_delay_alu instid0(VALU_DEP_1) | instskip(NEXT) | instid1(VALU_DEP_1)
	v_and_b32_e32 v2, 0xff, v2
	v_cmp_ne_u32_e32 vcc_lo, 0, v2
	s_and_b32 s7, vcc_lo, exec_lo
	s_delay_alu instid0(SALU_CYCLE_1)
	s_or_b32 s5, s5, s7
; %bb.165:                              ;   in Loop: Header=BB22_120 Depth=1
	s_or_b32 exec_lo, exec_lo, s6
	v_dual_mov_b32 v13, s1 :: v_dual_mov_b32 v12, s0
	s_and_saveexec_b32 s0, s5
; %bb.166:                              ;   in Loop: Header=BB22_120 Depth=1
	v_lshrrev_b32_e32 v1, 24, v1
	s_delay_alu instid0(VALU_DEP_1)
	v_and_or_b32 v12, 0x80, v1, v2
; %bb.167:                              ;   in Loop: Header=BB22_120 Depth=1
	s_or_b32 exec_lo, exec_lo, s0
.LBB22_168:                             ;   in Loop: Header=BB22_120 Depth=1
	s_delay_alu instid0(SALU_CYCLE_1) | instskip(SKIP_2) | instid1(VALU_DEP_1)
	s_or_b32 exec_lo, exec_lo, s4
	v_cvt_f32_f16_e32 v1, v3
	s_mov_b32 s4, exec_lo
	v_div_scale_f32 v2, null, v18, v18, v1
	v_div_scale_f32 v13, vcc_lo, v1, v18, v1
	s_delay_alu instid0(VALU_DEP_2) | instskip(SKIP_2) | instid1(VALU_DEP_1)
	v_rcp_f32_e32 v7, v2
	s_waitcnt_depctr 0xfff
	v_fma_f32 v10, -v2, v7, 1.0
	v_fmac_f32_e32 v7, v10, v7
	s_delay_alu instid0(VALU_DEP_1) | instskip(NEXT) | instid1(VALU_DEP_1)
	v_mul_f32_e32 v10, v13, v7
	v_fma_f32 v14, -v2, v10, v13
	s_delay_alu instid0(VALU_DEP_1) | instskip(NEXT) | instid1(VALU_DEP_1)
	v_fmac_f32_e32 v10, v14, v7
	v_fma_f32 v2, -v2, v10, v13
	s_delay_alu instid0(VALU_DEP_1) | instskip(NEXT) | instid1(VALU_DEP_1)
	v_div_fmas_f32 v2, v2, v7, v10
	v_div_fixup_f32 v1, v2, v18, v1
	s_delay_alu instid0(VALU_DEP_1) | instskip(SKIP_2) | instid1(VALU_DEP_3)
	v_maxmin_f32 v7, v1, v16, v19
	v_mov_b32_e32 v1, 0x80
	v_mov_b32_e32 v2, 0
	v_and_b32_e32 v10, 0x7fffffff, v7
	s_delay_alu instid0(VALU_DEP_2) | instskip(NEXT) | instid1(VALU_DEP_2)
	v_dual_mov_b32 v14, v2 :: v_dual_mov_b32 v13, v1
	v_cmpx_gt_u32_e32 0x43800000, v10
	s_cbranch_execz .LBB22_176
; %bb.169:                              ;   in Loop: Header=BB22_120 Depth=1
	s_mov_b32 s5, 0
	s_mov_b32 s0, exec_lo
                                        ; implicit-def: $vgpr2
	v_cmpx_lt_u32_e32 0x3bffffff, v10
	s_xor_b32 s0, exec_lo, s0
; %bb.170:                              ;   in Loop: Header=BB22_120 Depth=1
	v_bfe_u32 v2, v7, 20, 1
	s_mov_b32 s5, exec_lo
	s_delay_alu instid0(VALU_DEP_1) | instskip(NEXT) | instid1(VALU_DEP_1)
	v_add3_u32 v2, v7, v2, 0x487ffff
	v_lshrrev_b32_e32 v2, 20, v2
; %bb.171:                              ;   in Loop: Header=BB22_120 Depth=1
	s_or_saveexec_b32 s6, s0
                                        ; implicit-def: $sgpr0_sgpr1
	s_delay_alu instid0(SALU_CYCLE_1)
	s_xor_b32 exec_lo, exec_lo, s6
; %bb.172:                              ;   in Loop: Header=BB22_120 Depth=1
	v_add_f32_e64 v2, 0x46000000, |v7|
	s_and_not1_b32 s5, s5, exec_lo
	s_mov_b64 s[0:1], 0
	s_delay_alu instid0(VALU_DEP_1) | instskip(NEXT) | instid1(VALU_DEP_1)
	v_and_b32_e32 v2, 0xff, v2
	v_cmp_ne_u32_e32 vcc_lo, 0, v2
	s_and_b32 s7, vcc_lo, exec_lo
	s_delay_alu instid0(SALU_CYCLE_1)
	s_or_b32 s5, s5, s7
; %bb.173:                              ;   in Loop: Header=BB22_120 Depth=1
	s_or_b32 exec_lo, exec_lo, s6
	v_dual_mov_b32 v14, s1 :: v_dual_mov_b32 v13, s0
	s_and_saveexec_b32 s0, s5
; %bb.174:                              ;   in Loop: Header=BB22_120 Depth=1
	v_lshrrev_b32_e32 v7, 24, v7
	s_delay_alu instid0(VALU_DEP_1)
	v_and_or_b32 v13, 0x80, v7, v2
; %bb.175:                              ;   in Loop: Header=BB22_120 Depth=1
	s_or_b32 exec_lo, exec_lo, s0
.LBB22_176:                             ;   in Loop: Header=BB22_120 Depth=1
	s_delay_alu instid0(SALU_CYCLE_1) | instskip(SKIP_2) | instid1(VALU_DEP_1)
	s_or_b32 exec_lo, exec_lo, s4
	v_lshrrev_b32_e32 v2, 16, v3
	s_mov_b32 s4, exec_lo
	v_cvt_f32_f16_e32 v2, v2
	s_delay_alu instid0(VALU_DEP_1) | instskip(NEXT) | instid1(VALU_DEP_1)
	v_div_scale_f32 v3, null, v18, v18, v2
	v_rcp_f32_e32 v7, v3
	s_waitcnt_depctr 0xfff
	v_fma_f32 v10, -v3, v7, 1.0
	s_delay_alu instid0(VALU_DEP_1) | instskip(SKIP_1) | instid1(VALU_DEP_1)
	v_fmac_f32_e32 v7, v10, v7
	v_div_scale_f32 v10, vcc_lo, v2, v18, v2
	v_mul_f32_e32 v14, v10, v7
	s_delay_alu instid0(VALU_DEP_1) | instskip(NEXT) | instid1(VALU_DEP_1)
	v_fma_f32 v20, -v3, v14, v10
	v_fmac_f32_e32 v14, v20, v7
	s_delay_alu instid0(VALU_DEP_1) | instskip(NEXT) | instid1(VALU_DEP_1)
	v_fma_f32 v3, -v3, v14, v10
	v_div_fmas_f32 v3, v3, v7, v14
	s_delay_alu instid0(VALU_DEP_1) | instskip(NEXT) | instid1(VALU_DEP_1)
	v_div_fixup_f32 v2, v3, v18, v2
	v_maxmin_f32 v3, v2, v16, v19
	s_delay_alu instid0(VALU_DEP_1) | instskip(NEXT) | instid1(VALU_DEP_1)
	v_and_b32_e32 v2, 0x7fffffff, v3
	v_cmpx_gt_u32_e32 0x43800000, v2
	s_cbranch_execz .LBB22_119
; %bb.177:                              ;   in Loop: Header=BB22_120 Depth=1
	s_mov_b32 s5, 0
	s_mov_b32 s0, exec_lo
                                        ; implicit-def: $vgpr7
	v_cmpx_lt_u32_e32 0x3bffffff, v2
	s_xor_b32 s0, exec_lo, s0
; %bb.178:                              ;   in Loop: Header=BB22_120 Depth=1
	v_bfe_u32 v1, v3, 20, 1
	s_mov_b32 s5, exec_lo
	s_delay_alu instid0(VALU_DEP_1) | instskip(NEXT) | instid1(VALU_DEP_1)
	v_add3_u32 v1, v3, v1, 0x487ffff
	v_lshrrev_b32_e32 v7, 20, v1
; %bb.179:                              ;   in Loop: Header=BB22_120 Depth=1
	s_or_saveexec_b32 s6, s0
                                        ; implicit-def: $sgpr0_sgpr1
	s_delay_alu instid0(SALU_CYCLE_1)
	s_xor_b32 exec_lo, exec_lo, s6
; %bb.180:                              ;   in Loop: Header=BB22_120 Depth=1
	v_add_f32_e64 v1, 0x46000000, |v3|
	s_and_not1_b32 s5, s5, exec_lo
	s_mov_b64 s[0:1], 0
	s_delay_alu instid0(VALU_DEP_1) | instskip(NEXT) | instid1(VALU_DEP_1)
	v_and_b32_e32 v7, 0xff, v1
	v_cmp_ne_u32_e32 vcc_lo, 0, v7
	s_and_b32 s7, vcc_lo, exec_lo
	s_delay_alu instid0(SALU_CYCLE_1)
	s_or_b32 s5, s5, s7
; %bb.181:                              ;   in Loop: Header=BB22_120 Depth=1
	s_or_b32 exec_lo, exec_lo, s6
	v_dual_mov_b32 v2, s1 :: v_dual_mov_b32 v1, s0
	s_and_saveexec_b32 s0, s5
	s_cbranch_execz .LBB22_118
; %bb.182:                              ;   in Loop: Header=BB22_120 Depth=1
	v_lshrrev_b32_e32 v1, 24, v3
	s_delay_alu instid0(VALU_DEP_1)
	v_and_or_b32 v1, 0x80, v1, v7
	s_branch .LBB22_118
.LBB22_183:
	s_nop 0
	s_sendmsg sendmsg(MSG_DEALLOC_VGPRS)
	s_endpgm
.LBB22_184:
	v_bfe_u32 v1, v0, 20, 1
	s_mov_b32 s2, exec_lo
	s_delay_alu instid0(VALU_DEP_1) | instskip(NEXT) | instid1(VALU_DEP_1)
	v_add3_u32 v1, v0, v1, 0x487ffff
	v_lshrrev_b32_e32 v1, 20, v1
	s_or_saveexec_b32 s3, s3
                                        ; implicit-def: $sgpr4
	s_delay_alu instid0(SALU_CYCLE_1)
	s_xor_b32 exec_lo, exec_lo, s3
	s_cbranch_execz .LBB22_25
.LBB22_185:
	v_add_f32_e64 v1, 0x46000000, |v0|
	s_and_not1_b32 s2, s2, exec_lo
	s_mov_b32 s4, 0
	s_delay_alu instid0(VALU_DEP_1) | instskip(NEXT) | instid1(VALU_DEP_1)
	v_and_b32_e32 v1, 0xff, v1
	v_cmp_ne_u32_e32 vcc_lo, 0, v1
	s_and_b32 s5, vcc_lo, exec_lo
	s_delay_alu instid0(SALU_CYCLE_1)
	s_or_b32 s2, s2, s5
	s_or_b32 exec_lo, exec_lo, s3
	v_mov_b32_e32 v2, s4
	s_and_saveexec_b32 s3, s2
	s_cbranch_execnz .LBB22_26
	s_branch .LBB22_27
	.section	.rodata,"a",@progbits
	.p2align	6, 0x0
	.amdhsa_kernel _Z33per_token_group_quant_8bit_kernelIN3c104HalfENS0_15Float8_e4m3fnuzELb0ELb1EfEvPKT_PvPT3_iiifffii
		.amdhsa_group_segment_fixed_size 0
		.amdhsa_private_segment_fixed_size 0
		.amdhsa_kernarg_size 56
		.amdhsa_user_sgpr_count 15
		.amdhsa_user_sgpr_dispatch_ptr 0
		.amdhsa_user_sgpr_queue_ptr 0
		.amdhsa_user_sgpr_kernarg_segment_ptr 1
		.amdhsa_user_sgpr_dispatch_id 0
		.amdhsa_user_sgpr_private_segment_size 0
		.amdhsa_wavefront_size32 1
		.amdhsa_uses_dynamic_stack 0
		.amdhsa_enable_private_segment 0
		.amdhsa_system_sgpr_workgroup_id_x 1
		.amdhsa_system_sgpr_workgroup_id_y 0
		.amdhsa_system_sgpr_workgroup_id_z 0
		.amdhsa_system_sgpr_workgroup_info 0
		.amdhsa_system_vgpr_workitem_id 0
		.amdhsa_next_free_vgpr 38
		.amdhsa_next_free_sgpr 16
		.amdhsa_reserve_vcc 1
		.amdhsa_float_round_mode_32 0
		.amdhsa_float_round_mode_16_64 0
		.amdhsa_float_denorm_mode_32 3
		.amdhsa_float_denorm_mode_16_64 3
		.amdhsa_dx10_clamp 1
		.amdhsa_ieee_mode 1
		.amdhsa_fp16_overflow 0
		.amdhsa_workgroup_processor_mode 1
		.amdhsa_memory_ordered 1
		.amdhsa_forward_progress 0
		.amdhsa_shared_vgpr_count 0
		.amdhsa_exception_fp_ieee_invalid_op 0
		.amdhsa_exception_fp_denorm_src 0
		.amdhsa_exception_fp_ieee_div_zero 0
		.amdhsa_exception_fp_ieee_overflow 0
		.amdhsa_exception_fp_ieee_underflow 0
		.amdhsa_exception_fp_ieee_inexact 0
		.amdhsa_exception_int_div_zero 0
	.end_amdhsa_kernel
	.section	.text._Z33per_token_group_quant_8bit_kernelIN3c104HalfENS0_15Float8_e4m3fnuzELb0ELb1EfEvPKT_PvPT3_iiifffii,"axG",@progbits,_Z33per_token_group_quant_8bit_kernelIN3c104HalfENS0_15Float8_e4m3fnuzELb0ELb1EfEvPKT_PvPT3_iiifffii,comdat
.Lfunc_end22:
	.size	_Z33per_token_group_quant_8bit_kernelIN3c104HalfENS0_15Float8_e4m3fnuzELb0ELb1EfEvPKT_PvPT3_iiifffii, .Lfunc_end22-_Z33per_token_group_quant_8bit_kernelIN3c104HalfENS0_15Float8_e4m3fnuzELb0ELb1EfEvPKT_PvPT3_iiifffii
                                        ; -- End function
	.section	.AMDGPU.csdata,"",@progbits
; Kernel info:
; codeLenInByte = 9232
; NumSgprs: 18
; NumVgprs: 38
; ScratchSize: 0
; MemoryBound: 0
; FloatMode: 240
; IeeeMode: 1
; LDSByteSize: 0 bytes/workgroup (compile time only)
; SGPRBlocks: 2
; VGPRBlocks: 4
; NumSGPRsForWavesPerEU: 18
; NumVGPRsForWavesPerEU: 38
; Occupancy: 16
; WaveLimiterHint : 0
; COMPUTE_PGM_RSRC2:SCRATCH_EN: 0
; COMPUTE_PGM_RSRC2:USER_SGPR: 15
; COMPUTE_PGM_RSRC2:TRAP_HANDLER: 0
; COMPUTE_PGM_RSRC2:TGID_X_EN: 1
; COMPUTE_PGM_RSRC2:TGID_Y_EN: 0
; COMPUTE_PGM_RSRC2:TGID_Z_EN: 0
; COMPUTE_PGM_RSRC2:TIDIG_COMP_CNT: 0
	.section	.text._Z33per_token_group_quant_8bit_kernelIN3c104HalfENS0_15Float8_e4m3fnuzELb0ELb0EfEvPKT_PvPT3_iiifffii,"axG",@progbits,_Z33per_token_group_quant_8bit_kernelIN3c104HalfENS0_15Float8_e4m3fnuzELb0ELb0EfEvPKT_PvPT3_iiifffii,comdat
	.protected	_Z33per_token_group_quant_8bit_kernelIN3c104HalfENS0_15Float8_e4m3fnuzELb0ELb0EfEvPKT_PvPT3_iiifffii ; -- Begin function _Z33per_token_group_quant_8bit_kernelIN3c104HalfENS0_15Float8_e4m3fnuzELb0ELb0EfEvPKT_PvPT3_iiifffii
	.globl	_Z33per_token_group_quant_8bit_kernelIN3c104HalfENS0_15Float8_e4m3fnuzELb0ELb0EfEvPKT_PvPT3_iiifffii
	.p2align	8
	.type	_Z33per_token_group_quant_8bit_kernelIN3c104HalfENS0_15Float8_e4m3fnuzELb0ELb0EfEvPKT_PvPT3_iiifffii,@function
_Z33per_token_group_quant_8bit_kernelIN3c104HalfENS0_15Float8_e4m3fnuzELb0ELb0EfEvPKT_PvPT3_iiifffii: ; @_Z33per_token_group_quant_8bit_kernelIN3c104HalfENS0_15Float8_e4m3fnuzELb0ELb0EfEvPKT_PvPT3_iiifffii
; %bb.0:
	s_clause 0x1
	s_load_b128 s[4:7], s[0:1], 0x20
	s_load_b32 s10, s[0:1], 0x18
	v_lshrrev_b32_e32 v3, 4, v0
	v_and_b32_e32 v17, 15, v0
	s_waitcnt lgkmcnt(0)
	s_mul_i32 s15, s15, s4
	s_ashr_i32 s4, s10, 31
	v_add_co_u32 v1, s2, s15, v3
	s_delay_alu instid0(VALU_DEP_1) | instskip(SKIP_1) | instid1(VALU_DEP_2)
	v_add_co_ci_u32_e64 v2, null, 0, 0, s2
	s_load_b64 s[2:3], s[0:1], 0x0
	v_mul_lo_u32 v7, v1, s4
	v_mad_u64_u32 v[4:5], null, v1, s10, 0
	s_delay_alu instid0(VALU_DEP_3) | instskip(SKIP_2) | instid1(SALU_CYCLE_1)
	v_mul_lo_u32 v6, v2, s10
	v_mul_lo_u32 v19, v3, s10
	s_and_b32 s8, s10, 7
                                        ; implicit-def: $vgpr3
	s_cmp_eq_u32 s8, 0
	s_cselect_b32 s4, -1, 0
	s_cmp_lg_u32 s8, 0
	s_delay_alu instid0(VALU_DEP_2) | instskip(NEXT) | instid1(VALU_DEP_2)
	v_add3_u32 v5, v5, v7, v6
	v_lshl_add_u32 v0, v19, 1, 0
	s_cselect_b32 s8, -1, 0
	s_delay_alu instid0(VALU_DEP_2) | instskip(SKIP_1) | instid1(VALU_DEP_1)
	v_lshlrev_b64 v[6:7], 1, v[4:5]
	s_waitcnt lgkmcnt(0)
	v_add_co_u32 v8, vcc_lo, s2, v6
	v_mov_b32_e32 v11, 0
	s_delay_alu instid0(VALU_DEP_3) | instskip(NEXT) | instid1(VALU_DEP_3)
	v_add_co_ci_u32_e32 v9, vcc_lo, s3, v7, vcc_lo
	v_and_b32_e32 v10, 15, v8
	s_delay_alu instid0(VALU_DEP_1) | instskip(SKIP_1) | instid1(SALU_CYCLE_1)
	v_cmp_ne_u64_e32 vcc_lo, 0, v[10:11]
	s_or_b32 s8, s8, vcc_lo
	s_and_saveexec_b32 s9, s8
	s_delay_alu instid0(SALU_CYCLE_1)
	s_xor_b32 s8, exec_lo, s9
	s_cbranch_execz .LBB23_12
; %bb.1:
	v_sub_nc_u32_e32 v3, 0, v8
	s_mov_b32 s9, exec_lo
	s_delay_alu instid0(VALU_DEP_1) | instskip(NEXT) | instid1(VALU_DEP_1)
	v_bfe_u32 v3, v3, 1, 3
	v_min_i32_e32 v10, s10, v3
	v_mov_b32_e32 v3, s5
	s_delay_alu instid0(VALU_DEP_2)
	v_cmpx_gt_i32_e64 v10, v17
	s_cbranch_execz .LBB23_3
; %bb.2:
	v_lshlrev_b32_e32 v3, 1, v17
	v_max_f32_e64 v11, s5, s5
	s_delay_alu instid0(VALU_DEP_2) | instskip(SKIP_4) | instid1(VALU_DEP_1)
	v_add_co_u32 v8, vcc_lo, v8, v3
	v_add_co_ci_u32_e32 v9, vcc_lo, 0, v9, vcc_lo
	global_load_u16 v8, v[8:9], off
	s_waitcnt vmcnt(0)
	v_cvt_f32_f16_e64 v9, |v8|
	v_dual_max_f32 v3, v11, v9 :: v_dual_add_nc_u32 v12, v0, v3
	ds_store_b16 v12, v8
.LBB23_3:
	s_or_b32 exec_lo, exec_lo, s9
	v_sub_nc_u32_e32 v12, s10, v10
	v_ashrrev_i32_e32 v11, 31, v10
	v_lshlrev_b32_e32 v13, 1, v10
	s_mov_b32 s9, exec_lo
	s_delay_alu instid0(VALU_DEP_3) | instskip(NEXT) | instid1(VALU_DEP_1)
	v_ashrrev_i32_e32 v8, 31, v12
	v_lshrrev_b32_e32 v8, 29, v8
	s_delay_alu instid0(VALU_DEP_1) | instskip(NEXT) | instid1(VALU_DEP_1)
	v_add_nc_u32_e32 v8, v12, v8
	v_ashrrev_i32_e32 v14, 3, v8
	v_lshlrev_b64 v[8:9], 1, v[10:11]
	s_delay_alu instid0(VALU_DEP_2)
	v_cmpx_gt_i32_e64 v14, v17
	s_cbranch_execz .LBB23_7
; %bb.4:
	v_lshlrev_b32_e32 v10, 4, v17
	s_mov_b32 s11, 0
	s_delay_alu instid0(VALU_DEP_1) | instskip(SKIP_2) | instid1(VALU_DEP_3)
	v_add_co_u32 v11, vcc_lo, v6, v10
	v_add_co_ci_u32_e32 v15, vcc_lo, 0, v7, vcc_lo
	v_lshl_add_u32 v10, v19, 1, v10
	v_add_co_u32 v11, vcc_lo, v11, v8
	s_delay_alu instid0(VALU_DEP_3) | instskip(NEXT) | instid1(VALU_DEP_2)
	v_add_co_ci_u32_e32 v15, vcc_lo, v15, v9, vcc_lo
	v_add_co_u32 v11, vcc_lo, v11, s2
	s_delay_alu instid0(VALU_DEP_2) | instskip(SKIP_1) | instid1(VALU_DEP_3)
	v_add_co_ci_u32_e32 v16, vcc_lo, s3, v15, vcc_lo
	v_add3_u32 v15, v10, v13, 0
	v_add_co_u32 v10, vcc_lo, v11, 8
	s_delay_alu instid0(VALU_DEP_3)
	v_add_co_ci_u32_e32 v11, vcc_lo, 0, v16, vcc_lo
	v_mov_b32_e32 v16, v17
	s_set_inst_prefetch_distance 0x1
	.p2align	6
.LBB23_5:                               ; =>This Inner Loop Header: Depth=1
	global_load_b128 v[20:23], v[10:11], off offset:-8
	v_add_nc_u32_e32 v16, 16, v16
	v_add_co_u32 v10, vcc_lo, 0x100, v10
	v_add_co_ci_u32_e32 v11, vcc_lo, 0, v11, vcc_lo
	s_delay_alu instid0(VALU_DEP_3)
	v_cmp_ge_i32_e32 vcc_lo, v16, v14
	s_or_b32 s11, vcc_lo, s11
	s_waitcnt vmcnt(0)
	v_lshrrev_b32_e32 v18, 16, v20
	v_cvt_f32_f16_e64 v24, |v20|
	v_lshrrev_b32_e32 v25, 16, v21
	v_cvt_f32_f16_e64 v26, |v21|
	;; [unrolled: 2-line block ×3, first 2 shown]
	ds_store_b128 v15, v[20:23]
	v_cvt_f32_f16_e64 v25, |v25|
	v_add_nc_u32_e32 v15, 0x100, v15
	v_cvt_f32_f16_e64 v27, |v27|
	v_max3_f32 v3, v3, v24, v18
	v_cvt_f32_f16_e64 v18, |v22|
	v_lshrrev_b32_e32 v24, 16, v23
	s_delay_alu instid0(VALU_DEP_3) | instskip(SKIP_1) | instid1(VALU_DEP_3)
	v_max3_f32 v3, v3, v26, v25
	v_cvt_f32_f16_e64 v25, |v23|
	v_cvt_f32_f16_e64 v24, |v24|
	s_delay_alu instid0(VALU_DEP_3) | instskip(NEXT) | instid1(VALU_DEP_1)
	v_max3_f32 v3, v3, v18, v27
	v_max3_f32 v3, v3, v25, v24
	s_and_not1_b32 exec_lo, exec_lo, s11
	s_cbranch_execnz .LBB23_5
; %bb.6:
	s_set_inst_prefetch_distance 0x2
	s_or_b32 exec_lo, exec_lo, s11
.LBB23_7:
	s_delay_alu instid0(SALU_CYCLE_1) | instskip(SKIP_2) | instid1(VALU_DEP_1)
	s_or_b32 exec_lo, exec_lo, s9
	v_lshl_add_u32 v10, v14, 3, v17
	s_mov_b32 s9, exec_lo
	v_cmpx_lt_i32_e64 v10, v12
	s_cbranch_execz .LBB23_11
; %bb.8:
	v_ashrrev_i32_e32 v11, 31, v10
	v_lshlrev_b32_e32 v18, 4, v14
	v_add_co_u32 v6, vcc_lo, v6, v8
	v_lshlrev_b32_e32 v16, 1, v19
	s_delay_alu instid0(VALU_DEP_4) | instskip(SKIP_2) | instid1(VALU_DEP_4)
	v_lshlrev_b64 v[14:15], 1, v[10:11]
	v_add_co_ci_u32_e32 v7, vcc_lo, v7, v9, vcc_lo
	v_lshlrev_b32_e32 v20, 1, v17
	v_add3_u32 v8, v16, v18, v13
	s_mov_b32 s11, 0
	s_delay_alu instid0(VALU_DEP_4) | instskip(SKIP_1) | instid1(VALU_DEP_3)
	v_add_co_u32 v6, vcc_lo, v6, v14
	v_add_co_ci_u32_e32 v7, vcc_lo, v7, v15, vcc_lo
	v_add3_u32 v8, v8, v20, 0
	s_delay_alu instid0(VALU_DEP_3) | instskip(NEXT) | instid1(VALU_DEP_3)
	v_add_co_u32 v6, vcc_lo, s2, v6
	v_add_co_ci_u32_e32 v7, vcc_lo, s3, v7, vcc_lo
	.p2align	6
.LBB23_9:                               ; =>This Inner Loop Header: Depth=1
	global_load_u16 v9, v[6:7], off
	v_dual_max_f32 v3, v3, v3 :: v_dual_add_nc_u32 v10, 16, v10
	v_add_co_u32 v6, vcc_lo, v6, 32
	v_add_co_ci_u32_e32 v7, vcc_lo, 0, v7, vcc_lo
	s_delay_alu instid0(VALU_DEP_3)
	v_cmp_ge_i32_e32 vcc_lo, v10, v12
	s_or_b32 s11, vcc_lo, s11
	s_waitcnt vmcnt(0)
	v_cvt_f32_f16_e64 v11, |v9|
	ds_store_b16 v8, v9
	v_dual_max_f32 v3, v3, v11 :: v_dual_add_nc_u32 v8, 32, v8
	s_and_not1_b32 exec_lo, exec_lo, s11
	s_cbranch_execnz .LBB23_9
; %bb.10:
	s_or_b32 exec_lo, exec_lo, s11
.LBB23_11:
	s_delay_alu instid0(SALU_CYCLE_1)
	s_or_b32 exec_lo, exec_lo, s9
                                        ; implicit-def: $vgpr6_vgpr7
.LBB23_12:
	s_and_not1_saveexec_b32 s8, s8
	s_cbranch_execz .LBB23_18
; %bb.13:
	v_mov_b32_e32 v3, s5
	s_ashr_i32 s11, s10, 3
	s_mov_b32 s9, exec_lo
	v_cmpx_gt_i32_e64 s11, v17
	s_cbranch_execz .LBB23_17
; %bb.14:
	v_dual_mov_b32 v3, s5 :: v_dual_lshlrev_b32 v8, 4, v17
	v_lshlrev_b32_e32 v9, 1, v19
	s_delay_alu instid0(VALU_DEP_2) | instskip(SKIP_1) | instid1(VALU_DEP_3)
	v_add_co_u32 v6, vcc_lo, v6, v8
	v_add_co_ci_u32_e32 v7, vcc_lo, 0, v7, vcc_lo
	v_add3_u32 v8, v9, v8, 0
	s_delay_alu instid0(VALU_DEP_3) | instskip(NEXT) | instid1(VALU_DEP_3)
	v_add_co_u32 v6, vcc_lo, v6, s2
	v_add_co_ci_u32_e32 v7, vcc_lo, s3, v7, vcc_lo
	v_mov_b32_e32 v9, v17
	s_delay_alu instid0(VALU_DEP_3) | instskip(NEXT) | instid1(VALU_DEP_3)
	v_add_co_u32 v6, vcc_lo, v6, 8
	v_add_co_ci_u32_e32 v7, vcc_lo, 0, v7, vcc_lo
	s_mov_b32 s2, 0
	s_set_inst_prefetch_distance 0x1
	.p2align	6
.LBB23_15:                              ; =>This Inner Loop Header: Depth=1
	global_load_b128 v[10:13], v[6:7], off offset:-8
	v_add_nc_u32_e32 v9, 16, v9
	v_add_co_u32 v6, vcc_lo, 0x100, v6
	v_add_co_ci_u32_e32 v7, vcc_lo, 0, v7, vcc_lo
	s_delay_alu instid0(VALU_DEP_3)
	v_cmp_le_i32_e32 vcc_lo, s11, v9
	s_or_b32 s2, vcc_lo, s2
	s_waitcnt vmcnt(0)
	v_lshrrev_b32_e32 v14, 16, v10
	v_cvt_f32_f16_e64 v15, |v10|
	v_lshrrev_b32_e32 v16, 16, v11
	v_cvt_f32_f16_e64 v18, |v11|
	;; [unrolled: 2-line block ×3, first 2 shown]
	ds_store_b128 v8, v[10:13]
	v_cvt_f32_f16_e64 v16, |v16|
	v_add_nc_u32_e32 v8, 0x100, v8
	v_cvt_f32_f16_e64 v20, |v20|
	v_max3_f32 v3, v3, v15, v14
	v_cvt_f32_f16_e64 v14, |v12|
	v_lshrrev_b32_e32 v15, 16, v13
	s_delay_alu instid0(VALU_DEP_3) | instskip(SKIP_1) | instid1(VALU_DEP_3)
	v_max3_f32 v3, v3, v18, v16
	v_cvt_f32_f16_e64 v16, |v13|
	v_cvt_f32_f16_e64 v15, |v15|
	s_delay_alu instid0(VALU_DEP_3) | instskip(NEXT) | instid1(VALU_DEP_1)
	v_max3_f32 v3, v3, v14, v20
	v_max3_f32 v3, v3, v16, v15
	s_and_not1_b32 exec_lo, exec_lo, s2
	s_cbranch_execnz .LBB23_15
; %bb.16:
	s_set_inst_prefetch_distance 0x2
	s_or_b32 exec_lo, exec_lo, s2
.LBB23_17:
	s_delay_alu instid0(SALU_CYCLE_1)
	s_or_b32 exec_lo, exec_lo, s9
.LBB23_18:
	s_delay_alu instid0(SALU_CYCLE_1) | instskip(SKIP_3) | instid1(VALU_DEP_1)
	s_or_b32 exec_lo, exec_lo, s8
	v_mbcnt_lo_u32_b32 v6, -1, 0
	s_load_b64 s[8:9], s[0:1], 0x8
	s_mov_b32 s2, exec_lo
	v_xor_b32_e32 v8, 8, v6
	v_and_b32_e32 v7, 16, v6
	v_xor_b32_e32 v9, 4, v6
	s_delay_alu instid0(VALU_DEP_2) | instskip(NEXT) | instid1(VALU_DEP_1)
	v_add_nc_u32_e32 v7, 16, v7
	v_cmp_lt_i32_e32 vcc_lo, v8, v7
	v_cndmask_b32_e32 v8, v6, v8, vcc_lo
	s_delay_alu instid0(VALU_DEP_1) | instskip(SKIP_4) | instid1(VALU_DEP_2)
	v_lshlrev_b32_e32 v8, 2, v8
	ds_bpermute_b32 v8, v8, v3
	s_waitcnt lgkmcnt(0)
	v_dual_max_f32 v3, v3, v3 :: v_dual_max_f32 v8, v8, v8
	v_cmp_lt_i32_e32 vcc_lo, v9, v7
	v_max_f32_e32 v3, v3, v8
	v_cndmask_b32_e32 v9, v6, v9, vcc_lo
	s_delay_alu instid0(VALU_DEP_1) | instskip(SKIP_2) | instid1(VALU_DEP_1)
	v_lshlrev_b32_e32 v9, 2, v9
	ds_bpermute_b32 v8, v9, v3
	v_xor_b32_e32 v9, 2, v6
	v_cmp_lt_i32_e32 vcc_lo, v9, v7
	v_cndmask_b32_e32 v9, v6, v9, vcc_lo
	s_waitcnt lgkmcnt(0)
	s_delay_alu instid0(VALU_DEP_1) | instskip(NEXT) | instid1(VALU_DEP_1)
	v_dual_max_f32 v8, v8, v8 :: v_dual_lshlrev_b32 v9, 2, v9
	v_max_f32_e32 v3, v3, v8
	ds_bpermute_b32 v8, v9, v3
	v_xor_b32_e32 v9, 1, v6
	s_delay_alu instid0(VALU_DEP_1) | instskip(SKIP_2) | instid1(VALU_DEP_1)
	v_cmp_lt_i32_e32 vcc_lo, v9, v7
	v_cndmask_b32_e32 v6, v6, v9, vcc_lo
	s_waitcnt lgkmcnt(0)
	v_dual_max_f32 v7, v8, v8 :: v_dual_lshlrev_b32 v6, 2, v6
	s_delay_alu instid0(VALU_DEP_1) | instskip(SKIP_3) | instid1(VALU_DEP_1)
	v_max_f32_e32 v3, v3, v7
	ds_bpermute_b32 v6, v6, v3
	s_waitcnt lgkmcnt(0)
	v_max_f32_e32 v6, v6, v6
	v_max_f32_e32 v3, v3, v6
	s_delay_alu instid0(VALU_DEP_1) | instskip(SKIP_1) | instid1(VALU_DEP_2)
	v_div_scale_f32 v6, null, s7, s7, v3
	v_div_scale_f32 v9, vcc_lo, v3, s7, v3
	v_rcp_f32_e32 v7, v6
	s_waitcnt_depctr 0xfff
	v_fma_f32 v8, -v6, v7, 1.0
	s_delay_alu instid0(VALU_DEP_1) | instskip(NEXT) | instid1(VALU_DEP_1)
	v_fmac_f32_e32 v7, v8, v7
	v_mul_f32_e32 v8, v9, v7
	s_delay_alu instid0(VALU_DEP_1) | instskip(NEXT) | instid1(VALU_DEP_1)
	v_fma_f32 v10, -v6, v8, v9
	v_fmac_f32_e32 v8, v10, v7
	s_delay_alu instid0(VALU_DEP_1) | instskip(NEXT) | instid1(VALU_DEP_1)
	v_fma_f32 v6, -v6, v8, v9
	v_div_fmas_f32 v6, v6, v7, v8
	s_delay_alu instid0(VALU_DEP_1)
	v_div_fixup_f32 v18, v6, s7, v3
	v_cmpx_eq_u32_e32 0, v17
	s_cbranch_execz .LBB23_20
; %bb.19:
	s_load_b64 s[0:1], s[0:1], 0x10
	v_lshlrev_b64 v[1:2], 2, v[1:2]
	s_waitcnt lgkmcnt(0)
	s_delay_alu instid0(VALU_DEP_1) | instskip(NEXT) | instid1(VALU_DEP_2)
	v_add_co_u32 v1, vcc_lo, s0, v1
	v_add_co_ci_u32_e32 v2, vcc_lo, s1, v2, vcc_lo
	global_store_b32 v[1:2], v18, off
.LBB23_20:
	s_or_b32 exec_lo, exec_lo, s2
	v_dual_mov_b32 v2, 0 :: v_dual_and_b32 v1, 15, v0
	s_xor_b32 s0, s4, -1
	s_waitcnt_vscnt null, 0x0
	s_barrier
	buffer_gl0_inv
	v_cmp_ne_u64_e32 vcc_lo, 0, v[1:2]
	s_or_b32 s0, s0, vcc_lo
	s_delay_alu instid0(SALU_CYCLE_1) | instskip(NEXT) | instid1(SALU_CYCLE_1)
	s_and_saveexec_b32 s1, s0
	s_xor_b32 s11, exec_lo, s1
	s_cbranch_execz .LBB23_115
; %bb.21:
	v_sub_nc_u32_e32 v1, 0, v0
	v_add_co_u32 v24, vcc_lo, s8, v4
	v_add_co_ci_u32_e32 v25, vcc_lo, s9, v5, vcc_lo
	s_delay_alu instid0(VALU_DEP_3) | instskip(SKIP_1) | instid1(VALU_DEP_1)
	v_bfe_u32 v1, v1, 1, 3
	s_mov_b32 s0, exec_lo
	v_min_i32_e32 v21, s10, v1
	s_delay_alu instid0(VALU_DEP_1)
	v_cmpx_gt_i32_e64 v21, v17
	s_cbranch_execz .LBB23_29
; %bb.22:
	v_lshl_add_u32 v0, v17, 1, v0
	s_mov_b32 s1, exec_lo
	ds_load_u16 v0, v0
	s_waitcnt lgkmcnt(0)
	v_cvt_f32_f16_e32 v0, v0
	s_delay_alu instid0(VALU_DEP_1) | instskip(SKIP_1) | instid1(VALU_DEP_2)
	v_div_scale_f32 v1, null, v18, v18, v0
	v_div_scale_f32 v6, vcc_lo, v0, v18, v0
	v_rcp_f32_e32 v2, v1
	s_waitcnt_depctr 0xfff
	v_fma_f32 v3, -v1, v2, 1.0
	s_delay_alu instid0(VALU_DEP_1) | instskip(NEXT) | instid1(VALU_DEP_1)
	v_fmac_f32_e32 v2, v3, v2
	v_mul_f32_e32 v3, v6, v2
	s_delay_alu instid0(VALU_DEP_1) | instskip(NEXT) | instid1(VALU_DEP_1)
	v_fma_f32 v7, -v1, v3, v6
	v_fmac_f32_e32 v3, v7, v2
	s_delay_alu instid0(VALU_DEP_1) | instskip(NEXT) | instid1(VALU_DEP_1)
	v_fma_f32 v1, -v1, v3, v6
	v_div_fmas_f32 v1, v1, v2, v3
	v_max_f32_e64 v2, s6, s6
	v_max_f32_e64 v3, s7, s7
	s_delay_alu instid0(VALU_DEP_3) | instskip(NEXT) | instid1(VALU_DEP_1)
	v_div_fixup_f32 v0, v1, v18, v0
	v_maxmin_f32 v0, v0, v2, v3
	v_mov_b32_e32 v2, 0x80
	s_delay_alu instid0(VALU_DEP_2) | instskip(NEXT) | instid1(VALU_DEP_1)
	v_and_b32_e32 v1, 0x7fffffff, v0
	v_cmpx_gt_u32_e32 0x43800000, v1
	s_cbranch_execz .LBB23_28
; %bb.23:
	v_cmp_lt_u32_e32 vcc_lo, 0x3bffffff, v1
	s_mov_b32 s2, 0
                                        ; implicit-def: $vgpr1
	s_and_saveexec_b32 s3, vcc_lo
	s_delay_alu instid0(SALU_CYCLE_1)
	s_xor_b32 s3, exec_lo, s3
	s_cbranch_execnz .LBB23_184
; %bb.24:
	s_or_saveexec_b32 s3, s3
                                        ; implicit-def: $sgpr4
	s_delay_alu instid0(SALU_CYCLE_1)
	s_xor_b32 exec_lo, exec_lo, s3
	s_cbranch_execnz .LBB23_185
.LBB23_25:
	s_or_b32 exec_lo, exec_lo, s3
	v_mov_b32_e32 v2, s4
	s_and_saveexec_b32 s3, s2
.LBB23_26:
	v_lshrrev_b32_e32 v0, 24, v0
	s_delay_alu instid0(VALU_DEP_1)
	v_and_or_b32 v2, 0x80, v0, v1
.LBB23_27:
	s_or_b32 exec_lo, exec_lo, s3
.LBB23_28:
	s_delay_alu instid0(SALU_CYCLE_1)
	s_or_b32 exec_lo, exec_lo, s1
	v_add_co_u32 v0, vcc_lo, v24, v17
	v_add_co_ci_u32_e32 v1, vcc_lo, 0, v25, vcc_lo
	global_store_b8 v[0:1], v2, off
.LBB23_29:
	s_or_b32 exec_lo, exec_lo, s0
	v_sub_nc_u32_e32 v20, s10, v21
	v_ashrrev_i32_e32 v22, 31, v21
	v_lshlrev_b32_e32 v23, 1, v21
	s_mov_b32 s2, exec_lo
	s_delay_alu instid0(VALU_DEP_3) | instskip(NEXT) | instid1(VALU_DEP_1)
	v_ashrrev_i32_e32 v0, 31, v20
	v_lshrrev_b32_e32 v0, 29, v0
	s_delay_alu instid0(VALU_DEP_1) | instskip(NEXT) | instid1(VALU_DEP_1)
	v_add_nc_u32_e32 v0, v20, v0
	v_ashrrev_i32_e32 v26, 3, v0
	s_delay_alu instid0(VALU_DEP_1)
	v_cmpx_gt_i32_e64 v26, v17
	s_cbranch_execz .LBB23_96
; %bb.30:
	v_lshlrev_b32_e32 v0, 4, v17
	v_dual_mov_b32 v30, v17 :: v_dual_lshlrev_b32 v1, 3, v17
	v_add_co_u32 v2, vcc_lo, v21, v4
	v_add_co_ci_u32_e32 v3, vcc_lo, v22, v5, vcc_lo
	s_delay_alu instid0(VALU_DEP_4) | instskip(SKIP_1) | instid1(VALU_DEP_4)
	v_lshl_add_u32 v0, v19, 1, v0
	v_lshlrev_b32_e32 v6, 1, v21
	v_add_co_u32 v1, vcc_lo, v2, v1
	s_delay_alu instid0(VALU_DEP_4) | instskip(NEXT) | instid1(VALU_DEP_3)
	v_add_co_ci_u32_e32 v2, vcc_lo, 0, v3, vcc_lo
	v_add3_u32 v27, v0, v6, 0
	s_delay_alu instid0(VALU_DEP_3) | instskip(NEXT) | instid1(VALU_DEP_3)
	v_add_co_u32 v6, vcc_lo, s8, v1
	v_add_co_ci_u32_e32 v7, vcc_lo, s9, v2, vcc_lo
	v_max_f32_e64 v28, s6, s6
	v_max_f32_e64 v29, s7, s7
	s_mov_b32 s3, 0
	s_branch .LBB23_33
.LBB23_31:                              ;   in Loop: Header=BB23_33 Depth=1
	s_or_b32 exec_lo, exec_lo, s0
.LBB23_32:                              ;   in Loop: Header=BB23_33 Depth=1
	s_delay_alu instid0(SALU_CYCLE_1)
	s_or_b32 exec_lo, exec_lo, s4
	v_lshlrev_b32_e32 v2, 16, v15
	v_lshlrev_b32_e32 v3, 16, v13
	;; [unrolled: 1-line block ×5, first 2 shown]
	v_and_b32_e32 v2, 0xff0000, v2
	v_perm_b32 v3, v11, v3, 0x4020c0c
	v_and_b32_e32 v0, 0xff, v0
	v_and_b32_e32 v10, 0xff, v10
	v_and_b32_e32 v9, 0xff00, v9
	v_or_b32_e32 v1, v1, v2
	v_and_or_b32 v2, 0xff00, v8, v3
	v_add_nc_u32_e32 v30, 16, v30
	v_add_nc_u32_e32 v27, 0x100, v27
	s_delay_alu instid0(VALU_DEP_4) | instskip(NEXT) | instid1(VALU_DEP_4)
	v_or3_b32 v1, v1, v9, v0
	v_or_b32_e32 v0, v2, v10
	s_delay_alu instid0(VALU_DEP_4) | instskip(SKIP_2) | instid1(VALU_DEP_1)
	v_cmp_ge_i32_e32 vcc_lo, v30, v26
	global_store_b64 v[6:7], v[0:1], off
	v_add_co_u32 v6, s0, 0x80, v6
	v_add_co_ci_u32_e64 v7, s0, 0, v7, s0
	s_or_b32 s3, vcc_lo, s3
	s_delay_alu instid0(SALU_CYCLE_1)
	s_and_not1_b32 exec_lo, exec_lo, s3
	s_cbranch_execz .LBB23_96
.LBB23_33:                              ; =>This Inner Loop Header: Depth=1
	ds_load_b128 v[0:3], v27
	s_mov_b32 s4, exec_lo
	s_waitcnt lgkmcnt(0)
	v_cvt_f32_f16_e32 v8, v0
	s_delay_alu instid0(VALU_DEP_1) | instskip(SKIP_1) | instid1(VALU_DEP_2)
	v_div_scale_f32 v9, null, v18, v18, v8
	v_div_scale_f32 v12, vcc_lo, v8, v18, v8
	v_rcp_f32_e32 v10, v9
	s_waitcnt_depctr 0xfff
	v_fma_f32 v11, -v9, v10, 1.0
	s_delay_alu instid0(VALU_DEP_1) | instskip(NEXT) | instid1(VALU_DEP_1)
	v_fmac_f32_e32 v10, v11, v10
	v_mul_f32_e32 v11, v12, v10
	s_delay_alu instid0(VALU_DEP_1) | instskip(NEXT) | instid1(VALU_DEP_1)
	v_fma_f32 v13, -v9, v11, v12
	v_fmac_f32_e32 v11, v13, v10
	s_delay_alu instid0(VALU_DEP_1) | instskip(NEXT) | instid1(VALU_DEP_1)
	v_fma_f32 v9, -v9, v11, v12
	v_div_fmas_f32 v9, v9, v10, v11
	s_delay_alu instid0(VALU_DEP_1) | instskip(NEXT) | instid1(VALU_DEP_1)
	v_div_fixup_f32 v8, v9, v18, v8
	v_maxmin_f32 v12, v8, v28, v29
	v_mov_b32_e32 v8, 0x80
	v_mov_b32_e32 v9, 0
	s_delay_alu instid0(VALU_DEP_3) | instskip(NEXT) | instid1(VALU_DEP_2)
	v_and_b32_e32 v13, 0x7fffffff, v12
	v_dual_mov_b32 v11, v9 :: v_dual_mov_b32 v10, v8
	s_delay_alu instid0(VALU_DEP_2)
	v_cmpx_gt_u32_e32 0x43800000, v13
	s_cbranch_execz .LBB23_41
; %bb.34:                               ;   in Loop: Header=BB23_33 Depth=1
	s_mov_b32 s5, 0
	s_mov_b32 s0, exec_lo
                                        ; implicit-def: $vgpr9
	v_cmpx_lt_u32_e32 0x3bffffff, v13
	s_xor_b32 s0, exec_lo, s0
; %bb.35:                               ;   in Loop: Header=BB23_33 Depth=1
	v_bfe_u32 v9, v12, 20, 1
	s_mov_b32 s5, exec_lo
	s_delay_alu instid0(VALU_DEP_1) | instskip(NEXT) | instid1(VALU_DEP_1)
	v_add3_u32 v9, v12, v9, 0x487ffff
	v_lshrrev_b32_e32 v9, 20, v9
; %bb.36:                               ;   in Loop: Header=BB23_33 Depth=1
	s_or_saveexec_b32 s12, s0
                                        ; implicit-def: $sgpr0_sgpr1
	s_delay_alu instid0(SALU_CYCLE_1)
	s_xor_b32 exec_lo, exec_lo, s12
; %bb.37:                               ;   in Loop: Header=BB23_33 Depth=1
	v_add_f32_e64 v9, 0x46000000, |v12|
	s_and_not1_b32 s5, s5, exec_lo
	s_mov_b64 s[0:1], 0
	s_delay_alu instid0(VALU_DEP_1) | instskip(NEXT) | instid1(VALU_DEP_1)
	v_and_b32_e32 v9, 0xff, v9
	v_cmp_ne_u32_e32 vcc_lo, 0, v9
	s_and_b32 s13, vcc_lo, exec_lo
	s_delay_alu instid0(SALU_CYCLE_1)
	s_or_b32 s5, s5, s13
; %bb.38:                               ;   in Loop: Header=BB23_33 Depth=1
	s_or_b32 exec_lo, exec_lo, s12
	v_dual_mov_b32 v11, s1 :: v_dual_mov_b32 v10, s0
	s_and_saveexec_b32 s0, s5
; %bb.39:                               ;   in Loop: Header=BB23_33 Depth=1
	v_lshrrev_b32_e32 v10, 24, v12
	s_delay_alu instid0(VALU_DEP_1)
	v_and_or_b32 v10, 0x80, v10, v9
; %bb.40:                               ;   in Loop: Header=BB23_33 Depth=1
	s_or_b32 exec_lo, exec_lo, s0
.LBB23_41:                              ;   in Loop: Header=BB23_33 Depth=1
	s_delay_alu instid0(SALU_CYCLE_1) | instskip(SKIP_2) | instid1(VALU_DEP_1)
	s_or_b32 exec_lo, exec_lo, s4
	v_lshrrev_b32_e32 v0, 16, v0
	s_mov_b32 s4, exec_lo
	v_cvt_f32_f16_e32 v0, v0
	s_delay_alu instid0(VALU_DEP_1) | instskip(NEXT) | instid1(VALU_DEP_1)
	v_div_scale_f32 v9, null, v18, v18, v0
	v_rcp_f32_e32 v11, v9
	s_waitcnt_depctr 0xfff
	v_fma_f32 v12, -v9, v11, 1.0
	s_delay_alu instid0(VALU_DEP_1) | instskip(SKIP_1) | instid1(VALU_DEP_1)
	v_fmac_f32_e32 v11, v12, v11
	v_div_scale_f32 v12, vcc_lo, v0, v18, v0
	v_mul_f32_e32 v13, v12, v11
	s_delay_alu instid0(VALU_DEP_1) | instskip(NEXT) | instid1(VALU_DEP_1)
	v_fma_f32 v14, -v9, v13, v12
	v_fmac_f32_e32 v13, v14, v11
	s_delay_alu instid0(VALU_DEP_1) | instskip(NEXT) | instid1(VALU_DEP_1)
	v_fma_f32 v9, -v9, v13, v12
	v_div_fmas_f32 v9, v9, v11, v13
	s_delay_alu instid0(VALU_DEP_1) | instskip(NEXT) | instid1(VALU_DEP_1)
	v_div_fixup_f32 v0, v9, v18, v0
	v_maxmin_f32 v0, v0, v28, v29
	s_delay_alu instid0(VALU_DEP_1) | instskip(NEXT) | instid1(VALU_DEP_1)
	v_and_b32_e32 v9, 0x7fffffff, v0
	v_cmpx_gt_u32_e32 0x43800000, v9
	s_cbranch_execz .LBB23_49
; %bb.42:                               ;   in Loop: Header=BB23_33 Depth=1
	s_mov_b32 s5, 0
	s_mov_b32 s0, exec_lo
                                        ; implicit-def: $vgpr11
	v_cmpx_lt_u32_e32 0x3bffffff, v9
	s_xor_b32 s0, exec_lo, s0
; %bb.43:                               ;   in Loop: Header=BB23_33 Depth=1
	v_bfe_u32 v8, v0, 20, 1
	s_mov_b32 s5, exec_lo
	s_delay_alu instid0(VALU_DEP_1) | instskip(NEXT) | instid1(VALU_DEP_1)
	v_add3_u32 v8, v0, v8, 0x487ffff
	v_lshrrev_b32_e32 v11, 20, v8
; %bb.44:                               ;   in Loop: Header=BB23_33 Depth=1
	s_or_saveexec_b32 s12, s0
                                        ; implicit-def: $sgpr0_sgpr1
	s_delay_alu instid0(SALU_CYCLE_1)
	s_xor_b32 exec_lo, exec_lo, s12
; %bb.45:                               ;   in Loop: Header=BB23_33 Depth=1
	v_add_f32_e64 v8, 0x46000000, |v0|
	s_and_not1_b32 s5, s5, exec_lo
	s_mov_b64 s[0:1], 0
	s_delay_alu instid0(VALU_DEP_1) | instskip(NEXT) | instid1(VALU_DEP_1)
	v_and_b32_e32 v11, 0xff, v8
	v_cmp_ne_u32_e32 vcc_lo, 0, v11
	s_and_b32 s13, vcc_lo, exec_lo
	s_delay_alu instid0(SALU_CYCLE_1)
	s_or_b32 s5, s5, s13
; %bb.46:                               ;   in Loop: Header=BB23_33 Depth=1
	s_or_b32 exec_lo, exec_lo, s12
	v_dual_mov_b32 v9, s1 :: v_dual_mov_b32 v8, s0
	s_and_saveexec_b32 s0, s5
; %bb.47:                               ;   in Loop: Header=BB23_33 Depth=1
	v_lshrrev_b32_e32 v0, 24, v0
	s_delay_alu instid0(VALU_DEP_1)
	v_and_or_b32 v8, 0x80, v0, v11
; %bb.48:                               ;   in Loop: Header=BB23_33 Depth=1
	s_or_b32 exec_lo, exec_lo, s0
.LBB23_49:                              ;   in Loop: Header=BB23_33 Depth=1
	s_delay_alu instid0(SALU_CYCLE_1) | instskip(SKIP_2) | instid1(VALU_DEP_1)
	s_or_b32 exec_lo, exec_lo, s4
	v_cvt_f32_f16_e32 v0, v1
	s_mov_b32 s4, exec_lo
	v_div_scale_f32 v9, null, v18, v18, v0
	v_div_scale_f32 v13, vcc_lo, v0, v18, v0
	s_delay_alu instid0(VALU_DEP_2) | instskip(SKIP_2) | instid1(VALU_DEP_1)
	v_rcp_f32_e32 v11, v9
	s_waitcnt_depctr 0xfff
	v_fma_f32 v12, -v9, v11, 1.0
	v_fmac_f32_e32 v11, v12, v11
	s_delay_alu instid0(VALU_DEP_1) | instskip(NEXT) | instid1(VALU_DEP_1)
	v_mul_f32_e32 v12, v13, v11
	v_fma_f32 v14, -v9, v12, v13
	s_delay_alu instid0(VALU_DEP_1) | instskip(NEXT) | instid1(VALU_DEP_1)
	v_fmac_f32_e32 v12, v14, v11
	v_fma_f32 v9, -v9, v12, v13
	s_delay_alu instid0(VALU_DEP_1) | instskip(SKIP_2) | instid1(VALU_DEP_3)
	v_div_fmas_f32 v9, v9, v11, v12
	v_mov_b32_e32 v11, 0x80
	v_mov_b32_e32 v12, 0
	v_div_fixup_f32 v0, v9, v18, v0
	s_delay_alu instid0(VALU_DEP_2) | instskip(NEXT) | instid1(VALU_DEP_2)
	v_dual_mov_b32 v14, v12 :: v_dual_mov_b32 v13, v11
	v_maxmin_f32 v0, v0, v28, v29
	s_delay_alu instid0(VALU_DEP_1) | instskip(NEXT) | instid1(VALU_DEP_1)
	v_and_b32_e32 v9, 0x7fffffff, v0
	v_cmpx_gt_u32_e32 0x43800000, v9
	s_cbranch_execz .LBB23_57
; %bb.50:                               ;   in Loop: Header=BB23_33 Depth=1
	v_cmp_lt_u32_e32 vcc_lo, 0x3bffffff, v9
	s_mov_b32 s5, 0
                                        ; implicit-def: $vgpr9
	s_and_saveexec_b32 s0, vcc_lo
	s_delay_alu instid0(SALU_CYCLE_1)
	s_xor_b32 s0, exec_lo, s0
; %bb.51:                               ;   in Loop: Header=BB23_33 Depth=1
	v_bfe_u32 v9, v0, 20, 1
	s_mov_b32 s5, exec_lo
	s_delay_alu instid0(VALU_DEP_1) | instskip(NEXT) | instid1(VALU_DEP_1)
	v_add3_u32 v9, v0, v9, 0x487ffff
	v_lshrrev_b32_e32 v9, 20, v9
; %bb.52:                               ;   in Loop: Header=BB23_33 Depth=1
	s_or_saveexec_b32 s12, s0
                                        ; implicit-def: $sgpr0_sgpr1
	s_delay_alu instid0(SALU_CYCLE_1)
	s_xor_b32 exec_lo, exec_lo, s12
; %bb.53:                               ;   in Loop: Header=BB23_33 Depth=1
	v_add_f32_e64 v9, 0x46000000, |v0|
	s_and_not1_b32 s5, s5, exec_lo
	s_mov_b64 s[0:1], 0
	s_delay_alu instid0(VALU_DEP_1) | instskip(NEXT) | instid1(VALU_DEP_1)
	v_and_b32_e32 v9, 0xff, v9
	v_cmp_ne_u32_e32 vcc_lo, 0, v9
	s_and_b32 s13, vcc_lo, exec_lo
	s_delay_alu instid0(SALU_CYCLE_1)
	s_or_b32 s5, s5, s13
; %bb.54:                               ;   in Loop: Header=BB23_33 Depth=1
	s_or_b32 exec_lo, exec_lo, s12
	v_dual_mov_b32 v14, s1 :: v_dual_mov_b32 v13, s0
	s_and_saveexec_b32 s0, s5
; %bb.55:                               ;   in Loop: Header=BB23_33 Depth=1
	v_lshrrev_b32_e32 v0, 24, v0
	s_delay_alu instid0(VALU_DEP_1)
	v_and_or_b32 v13, 0x80, v0, v9
; %bb.56:                               ;   in Loop: Header=BB23_33 Depth=1
	s_or_b32 exec_lo, exec_lo, s0
.LBB23_57:                              ;   in Loop: Header=BB23_33 Depth=1
	s_delay_alu instid0(SALU_CYCLE_1) | instskip(SKIP_2) | instid1(VALU_DEP_1)
	s_or_b32 exec_lo, exec_lo, s4
	v_lshrrev_b32_e32 v0, 16, v1
	s_mov_b32 s4, exec_lo
	v_cvt_f32_f16_e32 v0, v0
	s_delay_alu instid0(VALU_DEP_1) | instskip(NEXT) | instid1(VALU_DEP_1)
	v_div_scale_f32 v1, null, v18, v18, v0
	v_rcp_f32_e32 v9, v1
	s_waitcnt_depctr 0xfff
	v_fma_f32 v12, -v1, v9, 1.0
	s_delay_alu instid0(VALU_DEP_1) | instskip(SKIP_1) | instid1(VALU_DEP_1)
	v_fmac_f32_e32 v9, v12, v9
	v_div_scale_f32 v12, vcc_lo, v0, v18, v0
	v_mul_f32_e32 v14, v12, v9
	s_delay_alu instid0(VALU_DEP_1) | instskip(NEXT) | instid1(VALU_DEP_1)
	v_fma_f32 v15, -v1, v14, v12
	v_fmac_f32_e32 v14, v15, v9
	s_delay_alu instid0(VALU_DEP_1) | instskip(NEXT) | instid1(VALU_DEP_1)
	v_fma_f32 v1, -v1, v14, v12
	v_div_fmas_f32 v1, v1, v9, v14
	s_delay_alu instid0(VALU_DEP_1) | instskip(NEXT) | instid1(VALU_DEP_1)
	v_div_fixup_f32 v0, v1, v18, v0
	v_maxmin_f32 v0, v0, v28, v29
	s_delay_alu instid0(VALU_DEP_1) | instskip(NEXT) | instid1(VALU_DEP_1)
	v_and_b32_e32 v1, 0x7fffffff, v0
	v_cmpx_gt_u32_e32 0x43800000, v1
	s_cbranch_execz .LBB23_65
; %bb.58:                               ;   in Loop: Header=BB23_33 Depth=1
	v_cmp_lt_u32_e32 vcc_lo, 0x3bffffff, v1
	s_mov_b32 s5, 0
                                        ; implicit-def: $vgpr1
	s_and_saveexec_b32 s0, vcc_lo
	s_delay_alu instid0(SALU_CYCLE_1)
	s_xor_b32 s0, exec_lo, s0
; %bb.59:                               ;   in Loop: Header=BB23_33 Depth=1
	v_bfe_u32 v1, v0, 20, 1
	s_mov_b32 s5, exec_lo
	s_delay_alu instid0(VALU_DEP_1) | instskip(NEXT) | instid1(VALU_DEP_1)
	v_add3_u32 v1, v0, v1, 0x487ffff
	v_lshrrev_b32_e32 v1, 20, v1
; %bb.60:                               ;   in Loop: Header=BB23_33 Depth=1
	s_or_saveexec_b32 s12, s0
                                        ; implicit-def: $sgpr0_sgpr1
	s_delay_alu instid0(SALU_CYCLE_1)
	s_xor_b32 exec_lo, exec_lo, s12
; %bb.61:                               ;   in Loop: Header=BB23_33 Depth=1
	v_add_f32_e64 v1, 0x46000000, |v0|
	s_and_not1_b32 s5, s5, exec_lo
	s_mov_b64 s[0:1], 0
	s_delay_alu instid0(VALU_DEP_1) | instskip(NEXT) | instid1(VALU_DEP_1)
	v_and_b32_e32 v1, 0xff, v1
	v_cmp_ne_u32_e32 vcc_lo, 0, v1
	s_and_b32 s13, vcc_lo, exec_lo
	s_delay_alu instid0(SALU_CYCLE_1)
	s_or_b32 s5, s5, s13
; %bb.62:                               ;   in Loop: Header=BB23_33 Depth=1
	s_or_b32 exec_lo, exec_lo, s12
	v_dual_mov_b32 v12, s1 :: v_dual_mov_b32 v11, s0
	s_and_saveexec_b32 s0, s5
; %bb.63:                               ;   in Loop: Header=BB23_33 Depth=1
	v_lshrrev_b32_e32 v0, 24, v0
	s_delay_alu instid0(VALU_DEP_1)
	v_and_or_b32 v11, 0x80, v0, v1
; %bb.64:                               ;   in Loop: Header=BB23_33 Depth=1
	s_or_b32 exec_lo, exec_lo, s0
.LBB23_65:                              ;   in Loop: Header=BB23_33 Depth=1
	s_delay_alu instid0(SALU_CYCLE_1) | instskip(SKIP_2) | instid1(VALU_DEP_1)
	s_or_b32 exec_lo, exec_lo, s4
	v_cvt_f32_f16_e32 v0, v2
	s_mov_b32 s4, exec_lo
	v_div_scale_f32 v1, null, v18, v18, v0
	v_div_scale_f32 v14, vcc_lo, v0, v18, v0
	s_delay_alu instid0(VALU_DEP_2) | instskip(SKIP_2) | instid1(VALU_DEP_1)
	v_rcp_f32_e32 v9, v1
	s_waitcnt_depctr 0xfff
	v_fma_f32 v12, -v1, v9, 1.0
	v_fmac_f32_e32 v9, v12, v9
	s_delay_alu instid0(VALU_DEP_1) | instskip(NEXT) | instid1(VALU_DEP_1)
	v_mul_f32_e32 v12, v14, v9
	v_fma_f32 v15, -v1, v12, v14
	s_delay_alu instid0(VALU_DEP_1) | instskip(NEXT) | instid1(VALU_DEP_1)
	v_fmac_f32_e32 v12, v15, v9
	v_fma_f32 v1, -v1, v12, v14
	v_mov_b32_e32 v14, 0x80
	v_mov_b32_e32 v15, 0
	s_delay_alu instid0(VALU_DEP_3) | instskip(NEXT) | instid1(VALU_DEP_1)
	v_div_fmas_f32 v1, v1, v9, v12
	v_div_fixup_f32 v0, v1, v18, v0
	s_delay_alu instid0(VALU_DEP_1) | instskip(NEXT) | instid1(VALU_DEP_4)
	v_maxmin_f32 v9, v0, v28, v29
	v_dual_mov_b32 v0, v14 :: v_dual_mov_b32 v1, v15
	s_delay_alu instid0(VALU_DEP_2) | instskip(NEXT) | instid1(VALU_DEP_1)
	v_and_b32_e32 v12, 0x7fffffff, v9
	v_cmpx_gt_u32_e32 0x43800000, v12
	s_cbranch_execz .LBB23_73
; %bb.66:                               ;   in Loop: Header=BB23_33 Depth=1
	v_cmp_lt_u32_e32 vcc_lo, 0x3bffffff, v12
	s_mov_b32 s5, 0
                                        ; implicit-def: $vgpr12
	s_and_saveexec_b32 s0, vcc_lo
	s_delay_alu instid0(SALU_CYCLE_1)
	s_xor_b32 s0, exec_lo, s0
; %bb.67:                               ;   in Loop: Header=BB23_33 Depth=1
	v_bfe_u32 v0, v9, 20, 1
	s_mov_b32 s5, exec_lo
	s_delay_alu instid0(VALU_DEP_1) | instskip(NEXT) | instid1(VALU_DEP_1)
	v_add3_u32 v0, v9, v0, 0x487ffff
	v_lshrrev_b32_e32 v12, 20, v0
; %bb.68:                               ;   in Loop: Header=BB23_33 Depth=1
	s_or_saveexec_b32 s12, s0
                                        ; implicit-def: $sgpr0_sgpr1
	s_delay_alu instid0(SALU_CYCLE_1)
	s_xor_b32 exec_lo, exec_lo, s12
; %bb.69:                               ;   in Loop: Header=BB23_33 Depth=1
	v_add_f32_e64 v0, 0x46000000, |v9|
	s_and_not1_b32 s5, s5, exec_lo
	s_mov_b64 s[0:1], 0
	s_delay_alu instid0(VALU_DEP_1) | instskip(NEXT) | instid1(VALU_DEP_1)
	v_and_b32_e32 v12, 0xff, v0
	v_cmp_ne_u32_e32 vcc_lo, 0, v12
	s_and_b32 s13, vcc_lo, exec_lo
	s_delay_alu instid0(SALU_CYCLE_1)
	s_or_b32 s5, s5, s13
; %bb.70:                               ;   in Loop: Header=BB23_33 Depth=1
	s_or_b32 exec_lo, exec_lo, s12
	v_dual_mov_b32 v0, s0 :: v_dual_mov_b32 v1, s1
	s_and_saveexec_b32 s0, s5
; %bb.71:                               ;   in Loop: Header=BB23_33 Depth=1
	v_lshrrev_b32_e32 v0, 24, v9
	s_delay_alu instid0(VALU_DEP_1)
	v_and_or_b32 v0, 0x80, v0, v12
; %bb.72:                               ;   in Loop: Header=BB23_33 Depth=1
	s_or_b32 exec_lo, exec_lo, s0
.LBB23_73:                              ;   in Loop: Header=BB23_33 Depth=1
	s_delay_alu instid0(SALU_CYCLE_1) | instskip(SKIP_2) | instid1(VALU_DEP_1)
	s_or_b32 exec_lo, exec_lo, s4
	v_lshrrev_b32_e32 v1, 16, v2
	s_mov_b32 s4, exec_lo
	v_cvt_f32_f16_e32 v1, v1
	s_delay_alu instid0(VALU_DEP_1) | instskip(NEXT) | instid1(VALU_DEP_1)
	v_div_scale_f32 v2, null, v18, v18, v1
	v_rcp_f32_e32 v9, v2
	s_waitcnt_depctr 0xfff
	v_fma_f32 v12, -v2, v9, 1.0
	s_delay_alu instid0(VALU_DEP_1) | instskip(SKIP_1) | instid1(VALU_DEP_1)
	v_fmac_f32_e32 v9, v12, v9
	v_div_scale_f32 v12, vcc_lo, v1, v18, v1
	v_mul_f32_e32 v15, v12, v9
	s_delay_alu instid0(VALU_DEP_1) | instskip(NEXT) | instid1(VALU_DEP_1)
	v_fma_f32 v16, -v2, v15, v12
	v_fmac_f32_e32 v15, v16, v9
	s_delay_alu instid0(VALU_DEP_1) | instskip(NEXT) | instid1(VALU_DEP_1)
	v_fma_f32 v2, -v2, v15, v12
	v_div_fmas_f32 v2, v2, v9, v15
	s_delay_alu instid0(VALU_DEP_1) | instskip(NEXT) | instid1(VALU_DEP_1)
	v_div_fixup_f32 v1, v2, v18, v1
	v_maxmin_f32 v1, v1, v28, v29
	s_delay_alu instid0(VALU_DEP_1) | instskip(NEXT) | instid1(VALU_DEP_1)
	v_and_b32_e32 v2, 0x7fffffff, v1
	v_cmpx_gt_u32_e32 0x43800000, v2
	s_cbranch_execz .LBB23_81
; %bb.74:                               ;   in Loop: Header=BB23_33 Depth=1
	v_cmp_lt_u32_e32 vcc_lo, 0x3bffffff, v2
	s_mov_b32 s5, 0
                                        ; implicit-def: $vgpr2
	s_and_saveexec_b32 s0, vcc_lo
	s_delay_alu instid0(SALU_CYCLE_1)
	s_xor_b32 s0, exec_lo, s0
; %bb.75:                               ;   in Loop: Header=BB23_33 Depth=1
	v_bfe_u32 v2, v1, 20, 1
	s_mov_b32 s5, exec_lo
	s_delay_alu instid0(VALU_DEP_1) | instskip(NEXT) | instid1(VALU_DEP_1)
	v_add3_u32 v2, v1, v2, 0x487ffff
	v_lshrrev_b32_e32 v2, 20, v2
; %bb.76:                               ;   in Loop: Header=BB23_33 Depth=1
	s_or_saveexec_b32 s12, s0
                                        ; implicit-def: $sgpr0_sgpr1
	s_delay_alu instid0(SALU_CYCLE_1)
	s_xor_b32 exec_lo, exec_lo, s12
; %bb.77:                               ;   in Loop: Header=BB23_33 Depth=1
	v_add_f32_e64 v2, 0x46000000, |v1|
	s_and_not1_b32 s5, s5, exec_lo
	s_mov_b64 s[0:1], 0
	s_delay_alu instid0(VALU_DEP_1) | instskip(NEXT) | instid1(VALU_DEP_1)
	v_and_b32_e32 v2, 0xff, v2
	v_cmp_ne_u32_e32 vcc_lo, 0, v2
	s_and_b32 s13, vcc_lo, exec_lo
	s_delay_alu instid0(SALU_CYCLE_1)
	s_or_b32 s5, s5, s13
; %bb.78:                               ;   in Loop: Header=BB23_33 Depth=1
	s_or_b32 exec_lo, exec_lo, s12
	v_dual_mov_b32 v15, s1 :: v_dual_mov_b32 v14, s0
	s_and_saveexec_b32 s0, s5
; %bb.79:                               ;   in Loop: Header=BB23_33 Depth=1
	v_lshrrev_b32_e32 v1, 24, v1
	s_delay_alu instid0(VALU_DEP_1)
	v_and_or_b32 v14, 0x80, v1, v2
; %bb.80:                               ;   in Loop: Header=BB23_33 Depth=1
	s_or_b32 exec_lo, exec_lo, s0
.LBB23_81:                              ;   in Loop: Header=BB23_33 Depth=1
	s_delay_alu instid0(SALU_CYCLE_1) | instskip(SKIP_2) | instid1(VALU_DEP_1)
	s_or_b32 exec_lo, exec_lo, s4
	v_cvt_f32_f16_e32 v1, v3
	s_mov_b32 s4, exec_lo
	v_div_scale_f32 v2, null, v18, v18, v1
	v_div_scale_f32 v15, vcc_lo, v1, v18, v1
	s_delay_alu instid0(VALU_DEP_2) | instskip(SKIP_2) | instid1(VALU_DEP_1)
	v_rcp_f32_e32 v9, v2
	s_waitcnt_depctr 0xfff
	v_fma_f32 v12, -v2, v9, 1.0
	v_fmac_f32_e32 v9, v12, v9
	s_delay_alu instid0(VALU_DEP_1) | instskip(NEXT) | instid1(VALU_DEP_1)
	v_mul_f32_e32 v12, v15, v9
	v_fma_f32 v16, -v2, v12, v15
	s_delay_alu instid0(VALU_DEP_1) | instskip(NEXT) | instid1(VALU_DEP_1)
	v_fmac_f32_e32 v12, v16, v9
	v_fma_f32 v2, -v2, v12, v15
	s_delay_alu instid0(VALU_DEP_1) | instskip(NEXT) | instid1(VALU_DEP_1)
	v_div_fmas_f32 v2, v2, v9, v12
	v_div_fixup_f32 v1, v2, v18, v1
	s_delay_alu instid0(VALU_DEP_1) | instskip(SKIP_2) | instid1(VALU_DEP_3)
	v_maxmin_f32 v9, v1, v28, v29
	v_mov_b32_e32 v1, 0x80
	v_mov_b32_e32 v2, 0
	v_and_b32_e32 v12, 0x7fffffff, v9
	s_delay_alu instid0(VALU_DEP_2) | instskip(NEXT) | instid1(VALU_DEP_2)
	v_dual_mov_b32 v16, v2 :: v_dual_mov_b32 v15, v1
	v_cmpx_gt_u32_e32 0x43800000, v12
	s_cbranch_execz .LBB23_89
; %bb.82:                               ;   in Loop: Header=BB23_33 Depth=1
	s_mov_b32 s5, 0
	s_mov_b32 s0, exec_lo
                                        ; implicit-def: $vgpr2
	v_cmpx_lt_u32_e32 0x3bffffff, v12
	s_xor_b32 s0, exec_lo, s0
; %bb.83:                               ;   in Loop: Header=BB23_33 Depth=1
	v_bfe_u32 v2, v9, 20, 1
	s_mov_b32 s5, exec_lo
	s_delay_alu instid0(VALU_DEP_1) | instskip(NEXT) | instid1(VALU_DEP_1)
	v_add3_u32 v2, v9, v2, 0x487ffff
	v_lshrrev_b32_e32 v2, 20, v2
; %bb.84:                               ;   in Loop: Header=BB23_33 Depth=1
	s_or_saveexec_b32 s12, s0
                                        ; implicit-def: $sgpr0_sgpr1
	s_delay_alu instid0(SALU_CYCLE_1)
	s_xor_b32 exec_lo, exec_lo, s12
; %bb.85:                               ;   in Loop: Header=BB23_33 Depth=1
	v_add_f32_e64 v2, 0x46000000, |v9|
	s_and_not1_b32 s5, s5, exec_lo
	s_mov_b64 s[0:1], 0
	s_delay_alu instid0(VALU_DEP_1) | instskip(NEXT) | instid1(VALU_DEP_1)
	v_and_b32_e32 v2, 0xff, v2
	v_cmp_ne_u32_e32 vcc_lo, 0, v2
	s_and_b32 s13, vcc_lo, exec_lo
	s_delay_alu instid0(SALU_CYCLE_1)
	s_or_b32 s5, s5, s13
; %bb.86:                               ;   in Loop: Header=BB23_33 Depth=1
	s_or_b32 exec_lo, exec_lo, s12
	v_dual_mov_b32 v16, s1 :: v_dual_mov_b32 v15, s0
	s_and_saveexec_b32 s0, s5
; %bb.87:                               ;   in Loop: Header=BB23_33 Depth=1
	v_lshrrev_b32_e32 v9, 24, v9
	s_delay_alu instid0(VALU_DEP_1)
	v_and_or_b32 v15, 0x80, v9, v2
; %bb.88:                               ;   in Loop: Header=BB23_33 Depth=1
	s_or_b32 exec_lo, exec_lo, s0
.LBB23_89:                              ;   in Loop: Header=BB23_33 Depth=1
	s_delay_alu instid0(SALU_CYCLE_1) | instskip(SKIP_2) | instid1(VALU_DEP_1)
	s_or_b32 exec_lo, exec_lo, s4
	v_lshrrev_b32_e32 v2, 16, v3
	s_mov_b32 s4, exec_lo
	v_cvt_f32_f16_e32 v2, v2
	s_delay_alu instid0(VALU_DEP_1) | instskip(NEXT) | instid1(VALU_DEP_1)
	v_div_scale_f32 v3, null, v18, v18, v2
	v_rcp_f32_e32 v9, v3
	s_waitcnt_depctr 0xfff
	v_fma_f32 v12, -v3, v9, 1.0
	s_delay_alu instid0(VALU_DEP_1) | instskip(SKIP_1) | instid1(VALU_DEP_1)
	v_fmac_f32_e32 v9, v12, v9
	v_div_scale_f32 v12, vcc_lo, v2, v18, v2
	v_mul_f32_e32 v16, v12, v9
	s_delay_alu instid0(VALU_DEP_1) | instskip(NEXT) | instid1(VALU_DEP_1)
	v_fma_f32 v31, -v3, v16, v12
	v_fmac_f32_e32 v16, v31, v9
	s_delay_alu instid0(VALU_DEP_1) | instskip(NEXT) | instid1(VALU_DEP_1)
	v_fma_f32 v3, -v3, v16, v12
	v_div_fmas_f32 v3, v3, v9, v16
	s_delay_alu instid0(VALU_DEP_1) | instskip(NEXT) | instid1(VALU_DEP_1)
	v_div_fixup_f32 v2, v3, v18, v2
	v_maxmin_f32 v3, v2, v28, v29
	s_delay_alu instid0(VALU_DEP_1) | instskip(NEXT) | instid1(VALU_DEP_1)
	v_and_b32_e32 v2, 0x7fffffff, v3
	v_cmpx_gt_u32_e32 0x43800000, v2
	s_cbranch_execz .LBB23_32
; %bb.90:                               ;   in Loop: Header=BB23_33 Depth=1
	s_mov_b32 s5, 0
	s_mov_b32 s0, exec_lo
                                        ; implicit-def: $vgpr9
	v_cmpx_lt_u32_e32 0x3bffffff, v2
	s_xor_b32 s0, exec_lo, s0
; %bb.91:                               ;   in Loop: Header=BB23_33 Depth=1
	v_bfe_u32 v1, v3, 20, 1
	s_mov_b32 s5, exec_lo
	s_delay_alu instid0(VALU_DEP_1) | instskip(NEXT) | instid1(VALU_DEP_1)
	v_add3_u32 v1, v3, v1, 0x487ffff
	v_lshrrev_b32_e32 v9, 20, v1
; %bb.92:                               ;   in Loop: Header=BB23_33 Depth=1
	s_or_saveexec_b32 s12, s0
                                        ; implicit-def: $sgpr0_sgpr1
	s_delay_alu instid0(SALU_CYCLE_1)
	s_xor_b32 exec_lo, exec_lo, s12
; %bb.93:                               ;   in Loop: Header=BB23_33 Depth=1
	v_add_f32_e64 v1, 0x46000000, |v3|
	s_and_not1_b32 s5, s5, exec_lo
	s_mov_b64 s[0:1], 0
	s_delay_alu instid0(VALU_DEP_1) | instskip(NEXT) | instid1(VALU_DEP_1)
	v_and_b32_e32 v9, 0xff, v1
	v_cmp_ne_u32_e32 vcc_lo, 0, v9
	s_and_b32 s13, vcc_lo, exec_lo
	s_delay_alu instid0(SALU_CYCLE_1)
	s_or_b32 s5, s5, s13
; %bb.94:                               ;   in Loop: Header=BB23_33 Depth=1
	s_or_b32 exec_lo, exec_lo, s12
	v_dual_mov_b32 v2, s1 :: v_dual_mov_b32 v1, s0
	s_and_saveexec_b32 s0, s5
	s_cbranch_execz .LBB23_31
; %bb.95:                               ;   in Loop: Header=BB23_33 Depth=1
	v_lshrrev_b32_e32 v1, 24, v3
	s_delay_alu instid0(VALU_DEP_1)
	v_and_or_b32 v1, 0x80, v1, v9
	s_branch .LBB23_31
.LBB23_96:
	s_or_b32 exec_lo, exec_lo, s2
	v_lshlrev_b32_e32 v2, 3, v26
	s_mov_b32 s12, exec_lo
	s_delay_alu instid0(VALU_DEP_1) | instskip(NEXT) | instid1(VALU_DEP_1)
	v_add_nc_u32_e32 v0, v2, v17
	v_cmpx_lt_i32_e64 v0, v20
	s_cbranch_execz .LBB23_114
; %bb.97:
	v_add_nc_u32_e32 v1, 16, v0
	s_mov_b32 s0, 0
	s_mov_b32 s1, exec_lo
	s_delay_alu instid0(VALU_DEP_1) | instskip(NEXT) | instid1(VALU_DEP_1)
	v_max_i32_e32 v3, v1, v20
	v_xad_u32 v3, v17, -1, v3
	s_delay_alu instid0(VALU_DEP_1) | instskip(NEXT) | instid1(VALU_DEP_1)
	v_sub_nc_u32_e32 v2, v3, v2
                                        ; implicit-def: $vgpr3
	v_cmpx_lt_u32_e32 15, v2
	s_xor_b32 s13, exec_lo, s1
	s_cbranch_execnz .LBB23_100
; %bb.98:
	s_and_not1_saveexec_b32 s1, s13
	s_cbranch_execnz .LBB23_103
.LBB23_99:
	s_or_b32 exec_lo, exec_lo, s1
	s_delay_alu instid0(SALU_CYCLE_1)
	s_and_b32 exec_lo, exec_lo, s0
	s_cbranch_execnz .LBB23_104
	s_branch .LBB23_114
.LBB23_100:
	v_lshrrev_b32_e32 v2, 4, v2
	v_dual_mov_b32 v10, v18 :: v_dual_lshlrev_b32 v3, 1, v19
	v_lshlrev_b32_e32 v23, 1, v21
	v_add_co_u32 v8, vcc_lo, v24, v21
	s_delay_alu instid0(VALU_DEP_4)
	v_add_nc_u32_e32 v6, 1, v2
	s_mov_b32 s0, s6
	s_mov_b32 s1, s6
	;; [unrolled: 1-line block ×4, first 2 shown]
	v_and_b32_e32 v7, 0x1ffffffe, v6
	v_lshlrev_b32_e32 v11, 4, v26
	v_add_co_ci_u32_e32 v9, vcc_lo, v25, v22, vcc_lo
	v_max_f32_e64 v12, s0, s0
	s_delay_alu instid0(VALU_DEP_4) | instskip(NEXT) | instid1(VALU_DEP_4)
	v_mov_b32_e32 v16, v7
	v_add3_u32 v2, v3, v11, v23
	v_lshlrev_b32_e32 v11, 1, v17
	v_max_f32_e64 v13, s1, s1
	v_max_f32_e64 v14, s3, s3
	v_max_f32_e64 v15, s2, s2
	s_mov_b32 s14, 0
	v_add3_u32 v11, v2, v11, 0
	v_mov_b32_e32 v2, v1
	v_mov_b32_e32 v1, v0
.LBB23_101:                             ; =>This Inner Loop Header: Depth=1
	ds_load_u16 v17, v11
	ds_load_u16 v19, v11 offset:32
	v_ashrrev_i32_e32 v25, 31, v1
	v_add_co_u32 v24, vcc_lo, v8, v1
	v_ashrrev_i32_e32 v27, 31, v2
	v_dual_mov_b32 v26, v2 :: v_dual_add_nc_u32 v1, 32, v1
	s_delay_alu instid0(VALU_DEP_4) | instskip(SKIP_1) | instid1(VALU_DEP_3)
	v_add_co_ci_u32_e32 v25, vcc_lo, v9, v25, vcc_lo
	v_add_nc_u32_e32 v11, 64, v11
	v_add_co_u32 v26, s0, v8, v26
	s_delay_alu instid0(VALU_DEP_1) | instskip(SKIP_4) | instid1(VALU_DEP_2)
	v_add_co_ci_u32_e64 v27, s0, v9, v27, s0
	s_waitcnt lgkmcnt(1)
	v_cvt_f32_f16_e32 v17, v17
	s_waitcnt lgkmcnt(0)
	v_cvt_f32_f16_e32 v19, v19
	v_div_scale_f32 v28, null, v18, v18, v17
	s_delay_alu instid0(VALU_DEP_2) | instskip(SKIP_1) | instid1(VALU_DEP_3)
	v_div_scale_f32 v29, null, v10, v10, v19
	v_div_scale_f32 v30, vcc_lo, v17, v18, v17
	v_rcp_f32_e32 v31, v28
	s_delay_alu instid0(VALU_DEP_2) | instskip(SKIP_4) | instid1(VALU_DEP_2)
	v_rcp_f32_e32 v32, v29
	v_div_scale_f32 v33, s1, v19, v10, v19
	s_waitcnt_depctr 0xfff
	v_fma_f32 v34, -v28, v31, 1.0
	v_fma_f32 v35, -v29, v32, 1.0
	v_dual_fmac_f32 v31, v34, v31 :: v_dual_add_nc_u32 v2, 32, v2
	s_delay_alu instid0(VALU_DEP_2) | instskip(NEXT) | instid1(VALU_DEP_1)
	v_fmac_f32_e32 v32, v35, v32
	v_dual_mul_f32 v34, v30, v31 :: v_dual_mul_f32 v35, v33, v32
	s_delay_alu instid0(VALU_DEP_1) | instskip(NEXT) | instid1(VALU_DEP_2)
	v_fma_f32 v36, -v28, v34, v30
	v_fma_f32 v37, -v29, v35, v33
	s_delay_alu instid0(VALU_DEP_1) | instskip(NEXT) | instid1(VALU_DEP_1)
	v_dual_fmac_f32 v34, v36, v31 :: v_dual_fmac_f32 v35, v37, v32
	v_fma_f32 v28, -v28, v34, v30
	s_delay_alu instid0(VALU_DEP_2) | instskip(NEXT) | instid1(VALU_DEP_2)
	v_fma_f32 v29, -v29, v35, v33
	v_div_fmas_f32 v28, v28, v31, v34
	s_mov_b32 vcc_lo, s1
	s_delay_alu instid0(VALU_DEP_2) | instskip(NEXT) | instid1(VALU_DEP_2)
	v_div_fmas_f32 v29, v29, v32, v35
	v_div_fixup_f32 v17, v28, v18, v17
	s_delay_alu instid0(VALU_DEP_2) | instskip(NEXT) | instid1(VALU_DEP_2)
	v_div_fixup_f32 v19, v29, v10, v19
	v_maxmin_f32 v17, v17, v12, v15
	s_delay_alu instid0(VALU_DEP_2) | instskip(NEXT) | instid1(VALU_DEP_2)
	v_maxmin_f32 v19, v19, v13, v14
	v_bfe_u32 v29, v17, 20, 1
	v_and_b32_e32 v28, 0x7fffffff, v17
	v_add_f32_e64 v30, 0x46000000, |v17|
	s_delay_alu instid0(VALU_DEP_4)
	v_bfe_u32 v33, v19, 20, 1
	v_and_b32_e32 v32, 0x7fffffff, v19
	v_lshrrev_b32_e32 v31, 24, v17
	v_add3_u32 v17, v17, v29, 0x487ffff
	v_add_f32_e64 v34, 0x46000000, |v19|
	v_lshrrev_b32_e32 v35, 24, v19
	v_add3_u32 v19, v19, v33, 0x487ffff
	v_cmp_gt_u32_e32 vcc_lo, 0x43800000, v28
	v_cmp_gt_u32_e64 s1, 0x3c000000, v28
	v_cmp_gt_u32_e64 s2, 0x43800000, v32
	v_cmp_gt_u32_e64 s3, 0x3c000000, v32
	v_lshrrev_b32_e32 v17, 20, v17
	v_lshrrev_b32_e32 v19, 20, v19
	s_xor_b32 s4, s1, vcc_lo
	v_and_b32_e32 v28, 0xff, v30
	s_xor_b32 s5, s3, s2
	v_cndmask_b32_e64 v17, v30, v17, s4
	v_cndmask_b32_e64 v19, v34, v19, s5
	v_and_b32_e32 v29, 0xff, v34
	v_cmp_eq_u32_e64 s0, 0, v28
	s_delay_alu instid0(VALU_DEP_4) | instskip(NEXT) | instid1(VALU_DEP_4)
	v_and_or_b32 v17, 0x80, v31, v17
	v_and_or_b32 v19, 0x80, v35, v19
	v_add_nc_u32_e32 v16, -2, v16
	v_cmp_eq_u32_e64 s4, 0, v29
	s_and_b32 s0, s1, s0
	v_cndmask_b32_e32 v17, 0xffffff80, v17, vcc_lo
	v_cndmask_b32_e64 v19, 0xffffff80, v19, s2
	v_cmp_eq_u32_e32 vcc_lo, 0, v16
	s_and_b32 s1, s3, s4
	s_delay_alu instid0(VALU_DEP_3) | instskip(NEXT) | instid1(VALU_DEP_3)
	v_cndmask_b32_e64 v17, v17, 0, s0
	v_cndmask_b32_e64 v19, v19, 0, s1
	s_or_b32 s14, vcc_lo, s14
	s_clause 0x1
	global_store_b8 v[24:25], v17, off
	global_store_b8 v[26:27], v19, off
	s_and_not1_b32 exec_lo, exec_lo, s14
	s_cbranch_execnz .LBB23_101
; %bb.102:
	s_or_b32 exec_lo, exec_lo, s14
	v_cmp_ne_u32_e32 vcc_lo, v6, v7
	v_lshl_add_u32 v0, v7, 4, v0
                                        ; implicit-def: $vgpr19
	s_and_b32 s0, vcc_lo, exec_lo
	s_and_not1_saveexec_b32 s1, s13
	s_cbranch_execz .LBB23_99
.LBB23_103:
	v_lshlrev_b32_e32 v3, 1, v19
	s_or_b32 s0, s0, exec_lo
	s_or_b32 exec_lo, exec_lo, s1
	s_delay_alu instid0(SALU_CYCLE_1)
	s_and_b32 exec_lo, exec_lo, s0
	s_cbranch_execz .LBB23_114
.LBB23_104:
	v_add_co_u32 v1, vcc_lo, v21, v4
	v_add_co_ci_u32_e32 v2, vcc_lo, v22, v5, vcc_lo
	v_ashrrev_i32_e32 v4, 31, v0
	s_delay_alu instid0(VALU_DEP_3) | instskip(SKIP_2) | instid1(VALU_DEP_4)
	v_add_co_u32 v1, vcc_lo, v1, v0
	v_lshl_add_u32 v3, v0, 1, v3
	v_max_f32_e64 v5, s7, s7
	v_add_co_ci_u32_e32 v2, vcc_lo, v2, v4, vcc_lo
	s_delay_alu instid0(VALU_DEP_4) | instskip(NEXT) | instid1(VALU_DEP_4)
	v_add_co_u32 v1, vcc_lo, s8, v1
	v_add3_u32 v3, v3, v23, 0
	s_delay_alu instid0(VALU_DEP_3)
	v_add_co_ci_u32_e32 v2, vcc_lo, s9, v2, vcc_lo
	v_max_f32_e64 v4, s6, s6
	s_mov_b32 s1, 0
	s_branch .LBB23_107
.LBB23_105:                             ;   in Loop: Header=BB23_107 Depth=1
	s_or_b32 exec_lo, exec_lo, s3
.LBB23_106:                             ;   in Loop: Header=BB23_107 Depth=1
	s_delay_alu instid0(SALU_CYCLE_1)
	s_or_b32 exec_lo, exec_lo, s0
	v_add_nc_u32_e32 v0, 16, v0
	global_store_b8 v[1:2], v8, off
	v_add_co_u32 v1, s0, v1, 16
	v_add_nc_u32_e32 v3, 32, v3
	v_cmp_ge_i32_e32 vcc_lo, v0, v20
	v_add_co_ci_u32_e64 v2, s0, 0, v2, s0
	s_or_b32 s1, vcc_lo, s1
	s_delay_alu instid0(SALU_CYCLE_1)
	s_and_not1_b32 exec_lo, exec_lo, s1
	s_cbranch_execz .LBB23_114
.LBB23_107:                             ; =>This Inner Loop Header: Depth=1
	ds_load_u16 v6, v3
	s_mov_b32 s0, exec_lo
	s_waitcnt lgkmcnt(0)
	v_cvt_f32_f16_e32 v6, v6
	s_delay_alu instid0(VALU_DEP_1) | instskip(SKIP_1) | instid1(VALU_DEP_2)
	v_div_scale_f32 v7, null, v18, v18, v6
	v_div_scale_f32 v10, vcc_lo, v6, v18, v6
	v_rcp_f32_e32 v8, v7
	s_waitcnt_depctr 0xfff
	v_fma_f32 v9, -v7, v8, 1.0
	s_delay_alu instid0(VALU_DEP_1) | instskip(NEXT) | instid1(VALU_DEP_1)
	v_fmac_f32_e32 v8, v9, v8
	v_mul_f32_e32 v9, v10, v8
	s_delay_alu instid0(VALU_DEP_1) | instskip(NEXT) | instid1(VALU_DEP_1)
	v_fma_f32 v11, -v7, v9, v10
	v_fmac_f32_e32 v9, v11, v8
	s_delay_alu instid0(VALU_DEP_1) | instskip(NEXT) | instid1(VALU_DEP_1)
	v_fma_f32 v7, -v7, v9, v10
	v_div_fmas_f32 v7, v7, v8, v9
	v_mov_b32_e32 v8, 0x80
	s_delay_alu instid0(VALU_DEP_2) | instskip(NEXT) | instid1(VALU_DEP_1)
	v_div_fixup_f32 v6, v7, v18, v6
	v_maxmin_f32 v6, v6, v4, v5
	s_delay_alu instid0(VALU_DEP_1) | instskip(NEXT) | instid1(VALU_DEP_1)
	v_and_b32_e32 v7, 0x7fffffff, v6
	v_cmpx_gt_u32_e32 0x43800000, v7
	s_cbranch_execz .LBB23_106
; %bb.108:                              ;   in Loop: Header=BB23_107 Depth=1
	v_cmp_lt_u32_e32 vcc_lo, 0x3bffffff, v7
	s_mov_b32 s2, 0
                                        ; implicit-def: $vgpr7
	s_and_saveexec_b32 s3, vcc_lo
	s_delay_alu instid0(SALU_CYCLE_1)
	s_xor_b32 s3, exec_lo, s3
	s_cbranch_execnz .LBB23_111
; %bb.109:                              ;   in Loop: Header=BB23_107 Depth=1
	s_or_saveexec_b32 s3, s3
                                        ; implicit-def: $sgpr4
	s_delay_alu instid0(SALU_CYCLE_1)
	s_xor_b32 exec_lo, exec_lo, s3
	s_cbranch_execnz .LBB23_112
.LBB23_110:                             ;   in Loop: Header=BB23_107 Depth=1
	s_or_b32 exec_lo, exec_lo, s3
	v_mov_b32_e32 v8, s4
	s_and_saveexec_b32 s3, s2
	s_cbranch_execz .LBB23_105
	s_branch .LBB23_113
.LBB23_111:                             ;   in Loop: Header=BB23_107 Depth=1
	v_bfe_u32 v7, v6, 20, 1
	s_mov_b32 s2, exec_lo
	s_delay_alu instid0(VALU_DEP_1) | instskip(NEXT) | instid1(VALU_DEP_1)
	v_add3_u32 v7, v6, v7, 0x487ffff
	v_lshrrev_b32_e32 v7, 20, v7
	s_or_saveexec_b32 s3, s3
                                        ; implicit-def: $sgpr4
	s_delay_alu instid0(SALU_CYCLE_1)
	s_xor_b32 exec_lo, exec_lo, s3
	s_cbranch_execz .LBB23_110
.LBB23_112:                             ;   in Loop: Header=BB23_107 Depth=1
	v_add_f32_e64 v7, 0x46000000, |v6|
	s_and_not1_b32 s2, s2, exec_lo
	s_mov_b32 s4, 0
	s_delay_alu instid0(VALU_DEP_1) | instskip(NEXT) | instid1(VALU_DEP_1)
	v_and_b32_e32 v7, 0xff, v7
	v_cmp_ne_u32_e32 vcc_lo, 0, v7
	s_and_b32 s5, vcc_lo, exec_lo
	s_delay_alu instid0(SALU_CYCLE_1)
	s_or_b32 s2, s2, s5
	s_or_b32 exec_lo, exec_lo, s3
	v_mov_b32_e32 v8, s4
	s_and_saveexec_b32 s3, s2
	s_cbranch_execz .LBB23_105
.LBB23_113:                             ;   in Loop: Header=BB23_107 Depth=1
	v_lshrrev_b32_e32 v6, 24, v6
	s_delay_alu instid0(VALU_DEP_1)
	v_and_or_b32 v8, 0x80, v6, v7
	s_branch .LBB23_105
.LBB23_114:
	s_or_b32 exec_lo, exec_lo, s12
                                        ; implicit-def: $vgpr17
                                        ; implicit-def: $vgpr18
                                        ; implicit-def: $vgpr19
                                        ; implicit-def: $vgpr4_vgpr5
.LBB23_115:
	s_and_not1_saveexec_b32 s0, s11
	s_cbranch_execz .LBB23_183
; %bb.116:
	s_ashr_i32 s2, s10, 3
	s_mov_b32 s0, exec_lo
	v_cmpx_gt_i32_e64 s2, v17
	s_cbranch_execz .LBB23_183
; %bb.117:
	v_lshlrev_b32_e32 v0, 3, v17
	v_lshlrev_b32_e32 v1, 1, v19
	;; [unrolled: 1-line block ×3, first 2 shown]
	v_max_f32_e64 v16, s6, s6
	v_max_f32_e64 v19, s7, s7
	v_add_co_u32 v0, vcc_lo, v4, v0
	v_add_co_ci_u32_e32 v3, vcc_lo, 0, v5, vcc_lo
	v_add3_u32 v15, v1, v2, 0
	s_delay_alu instid0(VALU_DEP_3) | instskip(NEXT) | instid1(VALU_DEP_3)
	v_add_co_u32 v4, vcc_lo, s8, v0
	v_add_co_ci_u32_e32 v5, vcc_lo, s9, v3, vcc_lo
	s_mov_b32 s3, 0
	s_branch .LBB23_120
.LBB23_118:                             ;   in Loop: Header=BB23_120 Depth=1
	s_or_b32 exec_lo, exec_lo, s0
.LBB23_119:                             ;   in Loop: Header=BB23_120 Depth=1
	s_delay_alu instid0(SALU_CYCLE_1)
	s_or_b32 exec_lo, exec_lo, s4
	v_lshlrev_b32_e32 v2, 16, v13
	v_lshlrev_b32_e32 v3, 16, v11
	;; [unrolled: 1-line block ×5, first 2 shown]
	v_and_b32_e32 v2, 0xff0000, v2
	v_perm_b32 v3, v9, v3, 0x4020c0c
	v_and_b32_e32 v0, 0xff, v0
	v_and_b32_e32 v8, 0xff, v8
	;; [unrolled: 1-line block ×3, first 2 shown]
	v_or_b32_e32 v1, v1, v2
	v_and_or_b32 v2, 0xff00, v6, v3
	v_add_nc_u32_e32 v17, 16, v17
	v_add_nc_u32_e32 v15, 0x100, v15
	s_delay_alu instid0(VALU_DEP_4) | instskip(NEXT) | instid1(VALU_DEP_4)
	v_or3_b32 v1, v1, v7, v0
	v_or_b32_e32 v0, v2, v8
	s_delay_alu instid0(VALU_DEP_4) | instskip(SKIP_2) | instid1(VALU_DEP_1)
	v_cmp_le_i32_e32 vcc_lo, s2, v17
	global_store_b64 v[4:5], v[0:1], off
	v_add_co_u32 v4, s0, 0x80, v4
	v_add_co_ci_u32_e64 v5, s0, 0, v5, s0
	s_or_b32 s3, vcc_lo, s3
	s_delay_alu instid0(SALU_CYCLE_1)
	s_and_not1_b32 exec_lo, exec_lo, s3
	s_cbranch_execz .LBB23_183
.LBB23_120:                             ; =>This Inner Loop Header: Depth=1
	ds_load_b128 v[0:3], v15
	s_mov_b32 s4, exec_lo
	s_waitcnt lgkmcnt(0)
	v_cvt_f32_f16_e32 v6, v0
	s_delay_alu instid0(VALU_DEP_1) | instskip(SKIP_1) | instid1(VALU_DEP_2)
	v_div_scale_f32 v7, null, v18, v18, v6
	v_div_scale_f32 v10, vcc_lo, v6, v18, v6
	v_rcp_f32_e32 v8, v7
	s_waitcnt_depctr 0xfff
	v_fma_f32 v9, -v7, v8, 1.0
	s_delay_alu instid0(VALU_DEP_1) | instskip(NEXT) | instid1(VALU_DEP_1)
	v_fmac_f32_e32 v8, v9, v8
	v_mul_f32_e32 v9, v10, v8
	s_delay_alu instid0(VALU_DEP_1) | instskip(NEXT) | instid1(VALU_DEP_1)
	v_fma_f32 v11, -v7, v9, v10
	v_fmac_f32_e32 v9, v11, v8
	s_delay_alu instid0(VALU_DEP_1) | instskip(NEXT) | instid1(VALU_DEP_1)
	v_fma_f32 v7, -v7, v9, v10
	v_div_fmas_f32 v7, v7, v8, v9
	s_delay_alu instid0(VALU_DEP_1) | instskip(NEXT) | instid1(VALU_DEP_1)
	v_div_fixup_f32 v6, v7, v18, v6
	v_maxmin_f32 v10, v6, v16, v19
	v_mov_b32_e32 v6, 0x80
	v_mov_b32_e32 v7, 0
	s_delay_alu instid0(VALU_DEP_3) | instskip(NEXT) | instid1(VALU_DEP_2)
	v_and_b32_e32 v11, 0x7fffffff, v10
	v_dual_mov_b32 v9, v7 :: v_dual_mov_b32 v8, v6
	s_delay_alu instid0(VALU_DEP_2)
	v_cmpx_gt_u32_e32 0x43800000, v11
	s_cbranch_execz .LBB23_128
; %bb.121:                              ;   in Loop: Header=BB23_120 Depth=1
	s_mov_b32 s5, 0
	s_mov_b32 s0, exec_lo
                                        ; implicit-def: $vgpr7
	v_cmpx_lt_u32_e32 0x3bffffff, v11
	s_xor_b32 s0, exec_lo, s0
; %bb.122:                              ;   in Loop: Header=BB23_120 Depth=1
	v_bfe_u32 v7, v10, 20, 1
	s_mov_b32 s5, exec_lo
	s_delay_alu instid0(VALU_DEP_1) | instskip(NEXT) | instid1(VALU_DEP_1)
	v_add3_u32 v7, v10, v7, 0x487ffff
	v_lshrrev_b32_e32 v7, 20, v7
; %bb.123:                              ;   in Loop: Header=BB23_120 Depth=1
	s_or_saveexec_b32 s6, s0
                                        ; implicit-def: $sgpr0_sgpr1
	s_delay_alu instid0(SALU_CYCLE_1)
	s_xor_b32 exec_lo, exec_lo, s6
; %bb.124:                              ;   in Loop: Header=BB23_120 Depth=1
	v_add_f32_e64 v7, 0x46000000, |v10|
	s_and_not1_b32 s5, s5, exec_lo
	s_mov_b64 s[0:1], 0
	s_delay_alu instid0(VALU_DEP_1) | instskip(NEXT) | instid1(VALU_DEP_1)
	v_and_b32_e32 v7, 0xff, v7
	v_cmp_ne_u32_e32 vcc_lo, 0, v7
	s_and_b32 s7, vcc_lo, exec_lo
	s_delay_alu instid0(SALU_CYCLE_1)
	s_or_b32 s5, s5, s7
; %bb.125:                              ;   in Loop: Header=BB23_120 Depth=1
	s_or_b32 exec_lo, exec_lo, s6
	v_dual_mov_b32 v9, s1 :: v_dual_mov_b32 v8, s0
	s_and_saveexec_b32 s0, s5
; %bb.126:                              ;   in Loop: Header=BB23_120 Depth=1
	v_lshrrev_b32_e32 v8, 24, v10
	s_delay_alu instid0(VALU_DEP_1)
	v_and_or_b32 v8, 0x80, v8, v7
; %bb.127:                              ;   in Loop: Header=BB23_120 Depth=1
	s_or_b32 exec_lo, exec_lo, s0
.LBB23_128:                             ;   in Loop: Header=BB23_120 Depth=1
	s_delay_alu instid0(SALU_CYCLE_1) | instskip(SKIP_2) | instid1(VALU_DEP_1)
	s_or_b32 exec_lo, exec_lo, s4
	v_lshrrev_b32_e32 v0, 16, v0
	s_mov_b32 s4, exec_lo
	v_cvt_f32_f16_e32 v0, v0
	s_delay_alu instid0(VALU_DEP_1) | instskip(NEXT) | instid1(VALU_DEP_1)
	v_div_scale_f32 v7, null, v18, v18, v0
	v_rcp_f32_e32 v9, v7
	s_waitcnt_depctr 0xfff
	v_fma_f32 v10, -v7, v9, 1.0
	s_delay_alu instid0(VALU_DEP_1) | instskip(SKIP_1) | instid1(VALU_DEP_1)
	v_fmac_f32_e32 v9, v10, v9
	v_div_scale_f32 v10, vcc_lo, v0, v18, v0
	v_mul_f32_e32 v11, v10, v9
	s_delay_alu instid0(VALU_DEP_1) | instskip(NEXT) | instid1(VALU_DEP_1)
	v_fma_f32 v12, -v7, v11, v10
	v_fmac_f32_e32 v11, v12, v9
	s_delay_alu instid0(VALU_DEP_1) | instskip(NEXT) | instid1(VALU_DEP_1)
	v_fma_f32 v7, -v7, v11, v10
	v_div_fmas_f32 v7, v7, v9, v11
	s_delay_alu instid0(VALU_DEP_1) | instskip(NEXT) | instid1(VALU_DEP_1)
	v_div_fixup_f32 v0, v7, v18, v0
	v_maxmin_f32 v0, v0, v16, v19
	s_delay_alu instid0(VALU_DEP_1) | instskip(NEXT) | instid1(VALU_DEP_1)
	v_and_b32_e32 v7, 0x7fffffff, v0
	v_cmpx_gt_u32_e32 0x43800000, v7
	s_cbranch_execz .LBB23_136
; %bb.129:                              ;   in Loop: Header=BB23_120 Depth=1
	s_mov_b32 s5, 0
	s_mov_b32 s0, exec_lo
                                        ; implicit-def: $vgpr9
	v_cmpx_lt_u32_e32 0x3bffffff, v7
	s_xor_b32 s0, exec_lo, s0
; %bb.130:                              ;   in Loop: Header=BB23_120 Depth=1
	v_bfe_u32 v6, v0, 20, 1
	s_mov_b32 s5, exec_lo
	s_delay_alu instid0(VALU_DEP_1) | instskip(NEXT) | instid1(VALU_DEP_1)
	v_add3_u32 v6, v0, v6, 0x487ffff
	v_lshrrev_b32_e32 v9, 20, v6
; %bb.131:                              ;   in Loop: Header=BB23_120 Depth=1
	s_or_saveexec_b32 s6, s0
                                        ; implicit-def: $sgpr0_sgpr1
	s_delay_alu instid0(SALU_CYCLE_1)
	s_xor_b32 exec_lo, exec_lo, s6
; %bb.132:                              ;   in Loop: Header=BB23_120 Depth=1
	v_add_f32_e64 v6, 0x46000000, |v0|
	s_and_not1_b32 s5, s5, exec_lo
	s_mov_b64 s[0:1], 0
	s_delay_alu instid0(VALU_DEP_1) | instskip(NEXT) | instid1(VALU_DEP_1)
	v_and_b32_e32 v9, 0xff, v6
	v_cmp_ne_u32_e32 vcc_lo, 0, v9
	s_and_b32 s7, vcc_lo, exec_lo
	s_delay_alu instid0(SALU_CYCLE_1)
	s_or_b32 s5, s5, s7
; %bb.133:                              ;   in Loop: Header=BB23_120 Depth=1
	s_or_b32 exec_lo, exec_lo, s6
	v_dual_mov_b32 v7, s1 :: v_dual_mov_b32 v6, s0
	s_and_saveexec_b32 s0, s5
; %bb.134:                              ;   in Loop: Header=BB23_120 Depth=1
	v_lshrrev_b32_e32 v0, 24, v0
	s_delay_alu instid0(VALU_DEP_1)
	v_and_or_b32 v6, 0x80, v0, v9
; %bb.135:                              ;   in Loop: Header=BB23_120 Depth=1
	s_or_b32 exec_lo, exec_lo, s0
.LBB23_136:                             ;   in Loop: Header=BB23_120 Depth=1
	s_delay_alu instid0(SALU_CYCLE_1) | instskip(SKIP_2) | instid1(VALU_DEP_1)
	s_or_b32 exec_lo, exec_lo, s4
	v_cvt_f32_f16_e32 v0, v1
	s_mov_b32 s4, exec_lo
	v_div_scale_f32 v7, null, v18, v18, v0
	v_div_scale_f32 v11, vcc_lo, v0, v18, v0
	s_delay_alu instid0(VALU_DEP_2) | instskip(SKIP_2) | instid1(VALU_DEP_1)
	v_rcp_f32_e32 v9, v7
	s_waitcnt_depctr 0xfff
	v_fma_f32 v10, -v7, v9, 1.0
	v_fmac_f32_e32 v9, v10, v9
	s_delay_alu instid0(VALU_DEP_1) | instskip(NEXT) | instid1(VALU_DEP_1)
	v_mul_f32_e32 v10, v11, v9
	v_fma_f32 v12, -v7, v10, v11
	s_delay_alu instid0(VALU_DEP_1) | instskip(NEXT) | instid1(VALU_DEP_1)
	v_fmac_f32_e32 v10, v12, v9
	v_fma_f32 v7, -v7, v10, v11
	s_delay_alu instid0(VALU_DEP_1) | instskip(SKIP_2) | instid1(VALU_DEP_3)
	v_div_fmas_f32 v7, v7, v9, v10
	v_mov_b32_e32 v9, 0x80
	v_mov_b32_e32 v10, 0
	v_div_fixup_f32 v0, v7, v18, v0
	s_delay_alu instid0(VALU_DEP_2) | instskip(NEXT) | instid1(VALU_DEP_2)
	v_dual_mov_b32 v12, v10 :: v_dual_mov_b32 v11, v9
	v_maxmin_f32 v0, v0, v16, v19
	s_delay_alu instid0(VALU_DEP_1) | instskip(NEXT) | instid1(VALU_DEP_1)
	v_and_b32_e32 v7, 0x7fffffff, v0
	v_cmpx_gt_u32_e32 0x43800000, v7
	s_cbranch_execz .LBB23_144
; %bb.137:                              ;   in Loop: Header=BB23_120 Depth=1
	v_cmp_lt_u32_e32 vcc_lo, 0x3bffffff, v7
	s_mov_b32 s5, 0
                                        ; implicit-def: $vgpr7
	s_and_saveexec_b32 s0, vcc_lo
	s_delay_alu instid0(SALU_CYCLE_1)
	s_xor_b32 s0, exec_lo, s0
; %bb.138:                              ;   in Loop: Header=BB23_120 Depth=1
	v_bfe_u32 v7, v0, 20, 1
	s_mov_b32 s5, exec_lo
	s_delay_alu instid0(VALU_DEP_1) | instskip(NEXT) | instid1(VALU_DEP_1)
	v_add3_u32 v7, v0, v7, 0x487ffff
	v_lshrrev_b32_e32 v7, 20, v7
; %bb.139:                              ;   in Loop: Header=BB23_120 Depth=1
	s_or_saveexec_b32 s6, s0
                                        ; implicit-def: $sgpr0_sgpr1
	s_delay_alu instid0(SALU_CYCLE_1)
	s_xor_b32 exec_lo, exec_lo, s6
; %bb.140:                              ;   in Loop: Header=BB23_120 Depth=1
	v_add_f32_e64 v7, 0x46000000, |v0|
	s_and_not1_b32 s5, s5, exec_lo
	s_mov_b64 s[0:1], 0
	s_delay_alu instid0(VALU_DEP_1) | instskip(NEXT) | instid1(VALU_DEP_1)
	v_and_b32_e32 v7, 0xff, v7
	v_cmp_ne_u32_e32 vcc_lo, 0, v7
	s_and_b32 s7, vcc_lo, exec_lo
	s_delay_alu instid0(SALU_CYCLE_1)
	s_or_b32 s5, s5, s7
; %bb.141:                              ;   in Loop: Header=BB23_120 Depth=1
	s_or_b32 exec_lo, exec_lo, s6
	v_dual_mov_b32 v12, s1 :: v_dual_mov_b32 v11, s0
	s_and_saveexec_b32 s0, s5
; %bb.142:                              ;   in Loop: Header=BB23_120 Depth=1
	v_lshrrev_b32_e32 v0, 24, v0
	s_delay_alu instid0(VALU_DEP_1)
	v_and_or_b32 v11, 0x80, v0, v7
; %bb.143:                              ;   in Loop: Header=BB23_120 Depth=1
	s_or_b32 exec_lo, exec_lo, s0
.LBB23_144:                             ;   in Loop: Header=BB23_120 Depth=1
	s_delay_alu instid0(SALU_CYCLE_1) | instskip(SKIP_2) | instid1(VALU_DEP_1)
	s_or_b32 exec_lo, exec_lo, s4
	v_lshrrev_b32_e32 v0, 16, v1
	s_mov_b32 s4, exec_lo
	v_cvt_f32_f16_e32 v0, v0
	s_delay_alu instid0(VALU_DEP_1) | instskip(NEXT) | instid1(VALU_DEP_1)
	v_div_scale_f32 v1, null, v18, v18, v0
	v_rcp_f32_e32 v7, v1
	s_waitcnt_depctr 0xfff
	v_fma_f32 v10, -v1, v7, 1.0
	s_delay_alu instid0(VALU_DEP_1) | instskip(SKIP_1) | instid1(VALU_DEP_1)
	v_fmac_f32_e32 v7, v10, v7
	v_div_scale_f32 v10, vcc_lo, v0, v18, v0
	v_mul_f32_e32 v12, v10, v7
	s_delay_alu instid0(VALU_DEP_1) | instskip(NEXT) | instid1(VALU_DEP_1)
	v_fma_f32 v13, -v1, v12, v10
	v_fmac_f32_e32 v12, v13, v7
	s_delay_alu instid0(VALU_DEP_1) | instskip(NEXT) | instid1(VALU_DEP_1)
	v_fma_f32 v1, -v1, v12, v10
	v_div_fmas_f32 v1, v1, v7, v12
	s_delay_alu instid0(VALU_DEP_1) | instskip(NEXT) | instid1(VALU_DEP_1)
	v_div_fixup_f32 v0, v1, v18, v0
	v_maxmin_f32 v0, v0, v16, v19
	s_delay_alu instid0(VALU_DEP_1) | instskip(NEXT) | instid1(VALU_DEP_1)
	v_and_b32_e32 v1, 0x7fffffff, v0
	v_cmpx_gt_u32_e32 0x43800000, v1
	s_cbranch_execz .LBB23_152
; %bb.145:                              ;   in Loop: Header=BB23_120 Depth=1
	v_cmp_lt_u32_e32 vcc_lo, 0x3bffffff, v1
	s_mov_b32 s5, 0
                                        ; implicit-def: $vgpr1
	s_and_saveexec_b32 s0, vcc_lo
	s_delay_alu instid0(SALU_CYCLE_1)
	s_xor_b32 s0, exec_lo, s0
; %bb.146:                              ;   in Loop: Header=BB23_120 Depth=1
	v_bfe_u32 v1, v0, 20, 1
	s_mov_b32 s5, exec_lo
	s_delay_alu instid0(VALU_DEP_1) | instskip(NEXT) | instid1(VALU_DEP_1)
	v_add3_u32 v1, v0, v1, 0x487ffff
	v_lshrrev_b32_e32 v1, 20, v1
; %bb.147:                              ;   in Loop: Header=BB23_120 Depth=1
	s_or_saveexec_b32 s6, s0
                                        ; implicit-def: $sgpr0_sgpr1
	s_delay_alu instid0(SALU_CYCLE_1)
	s_xor_b32 exec_lo, exec_lo, s6
; %bb.148:                              ;   in Loop: Header=BB23_120 Depth=1
	v_add_f32_e64 v1, 0x46000000, |v0|
	s_and_not1_b32 s5, s5, exec_lo
	s_mov_b64 s[0:1], 0
	s_delay_alu instid0(VALU_DEP_1) | instskip(NEXT) | instid1(VALU_DEP_1)
	v_and_b32_e32 v1, 0xff, v1
	v_cmp_ne_u32_e32 vcc_lo, 0, v1
	s_and_b32 s7, vcc_lo, exec_lo
	s_delay_alu instid0(SALU_CYCLE_1)
	s_or_b32 s5, s5, s7
; %bb.149:                              ;   in Loop: Header=BB23_120 Depth=1
	s_or_b32 exec_lo, exec_lo, s6
	v_dual_mov_b32 v10, s1 :: v_dual_mov_b32 v9, s0
	s_and_saveexec_b32 s0, s5
; %bb.150:                              ;   in Loop: Header=BB23_120 Depth=1
	v_lshrrev_b32_e32 v0, 24, v0
	s_delay_alu instid0(VALU_DEP_1)
	v_and_or_b32 v9, 0x80, v0, v1
; %bb.151:                              ;   in Loop: Header=BB23_120 Depth=1
	s_or_b32 exec_lo, exec_lo, s0
.LBB23_152:                             ;   in Loop: Header=BB23_120 Depth=1
	s_delay_alu instid0(SALU_CYCLE_1) | instskip(SKIP_2) | instid1(VALU_DEP_1)
	s_or_b32 exec_lo, exec_lo, s4
	v_cvt_f32_f16_e32 v0, v2
	s_mov_b32 s4, exec_lo
	v_div_scale_f32 v1, null, v18, v18, v0
	v_div_scale_f32 v12, vcc_lo, v0, v18, v0
	s_delay_alu instid0(VALU_DEP_2) | instskip(SKIP_2) | instid1(VALU_DEP_1)
	v_rcp_f32_e32 v7, v1
	s_waitcnt_depctr 0xfff
	v_fma_f32 v10, -v1, v7, 1.0
	v_fmac_f32_e32 v7, v10, v7
	s_delay_alu instid0(VALU_DEP_1) | instskip(NEXT) | instid1(VALU_DEP_1)
	v_mul_f32_e32 v10, v12, v7
	v_fma_f32 v13, -v1, v10, v12
	s_delay_alu instid0(VALU_DEP_1) | instskip(NEXT) | instid1(VALU_DEP_1)
	v_fmac_f32_e32 v10, v13, v7
	v_fma_f32 v1, -v1, v10, v12
	v_mov_b32_e32 v12, 0x80
	v_mov_b32_e32 v13, 0
	s_delay_alu instid0(VALU_DEP_3) | instskip(NEXT) | instid1(VALU_DEP_1)
	v_div_fmas_f32 v1, v1, v7, v10
	v_div_fixup_f32 v0, v1, v18, v0
	s_delay_alu instid0(VALU_DEP_1) | instskip(NEXT) | instid1(VALU_DEP_4)
	v_maxmin_f32 v7, v0, v16, v19
	v_dual_mov_b32 v0, v12 :: v_dual_mov_b32 v1, v13
	s_delay_alu instid0(VALU_DEP_2) | instskip(NEXT) | instid1(VALU_DEP_1)
	v_and_b32_e32 v10, 0x7fffffff, v7
	v_cmpx_gt_u32_e32 0x43800000, v10
	s_cbranch_execz .LBB23_160
; %bb.153:                              ;   in Loop: Header=BB23_120 Depth=1
	v_cmp_lt_u32_e32 vcc_lo, 0x3bffffff, v10
	s_mov_b32 s5, 0
                                        ; implicit-def: $vgpr10
	s_and_saveexec_b32 s0, vcc_lo
	s_delay_alu instid0(SALU_CYCLE_1)
	s_xor_b32 s0, exec_lo, s0
; %bb.154:                              ;   in Loop: Header=BB23_120 Depth=1
	v_bfe_u32 v0, v7, 20, 1
	s_mov_b32 s5, exec_lo
	s_delay_alu instid0(VALU_DEP_1) | instskip(NEXT) | instid1(VALU_DEP_1)
	v_add3_u32 v0, v7, v0, 0x487ffff
	v_lshrrev_b32_e32 v10, 20, v0
; %bb.155:                              ;   in Loop: Header=BB23_120 Depth=1
	s_or_saveexec_b32 s6, s0
                                        ; implicit-def: $sgpr0_sgpr1
	s_delay_alu instid0(SALU_CYCLE_1)
	s_xor_b32 exec_lo, exec_lo, s6
; %bb.156:                              ;   in Loop: Header=BB23_120 Depth=1
	v_add_f32_e64 v0, 0x46000000, |v7|
	s_and_not1_b32 s5, s5, exec_lo
	s_mov_b64 s[0:1], 0
	s_delay_alu instid0(VALU_DEP_1) | instskip(NEXT) | instid1(VALU_DEP_1)
	v_and_b32_e32 v10, 0xff, v0
	v_cmp_ne_u32_e32 vcc_lo, 0, v10
	s_and_b32 s7, vcc_lo, exec_lo
	s_delay_alu instid0(SALU_CYCLE_1)
	s_or_b32 s5, s5, s7
; %bb.157:                              ;   in Loop: Header=BB23_120 Depth=1
	s_or_b32 exec_lo, exec_lo, s6
	v_dual_mov_b32 v0, s0 :: v_dual_mov_b32 v1, s1
	s_and_saveexec_b32 s0, s5
; %bb.158:                              ;   in Loop: Header=BB23_120 Depth=1
	v_lshrrev_b32_e32 v0, 24, v7
	s_delay_alu instid0(VALU_DEP_1)
	v_and_or_b32 v0, 0x80, v0, v10
; %bb.159:                              ;   in Loop: Header=BB23_120 Depth=1
	s_or_b32 exec_lo, exec_lo, s0
.LBB23_160:                             ;   in Loop: Header=BB23_120 Depth=1
	s_delay_alu instid0(SALU_CYCLE_1) | instskip(SKIP_2) | instid1(VALU_DEP_1)
	s_or_b32 exec_lo, exec_lo, s4
	v_lshrrev_b32_e32 v1, 16, v2
	s_mov_b32 s4, exec_lo
	v_cvt_f32_f16_e32 v1, v1
	s_delay_alu instid0(VALU_DEP_1) | instskip(NEXT) | instid1(VALU_DEP_1)
	v_div_scale_f32 v2, null, v18, v18, v1
	v_rcp_f32_e32 v7, v2
	s_waitcnt_depctr 0xfff
	v_fma_f32 v10, -v2, v7, 1.0
	s_delay_alu instid0(VALU_DEP_1) | instskip(SKIP_1) | instid1(VALU_DEP_1)
	v_fmac_f32_e32 v7, v10, v7
	v_div_scale_f32 v10, vcc_lo, v1, v18, v1
	v_mul_f32_e32 v13, v10, v7
	s_delay_alu instid0(VALU_DEP_1) | instskip(NEXT) | instid1(VALU_DEP_1)
	v_fma_f32 v14, -v2, v13, v10
	v_fmac_f32_e32 v13, v14, v7
	s_delay_alu instid0(VALU_DEP_1) | instskip(NEXT) | instid1(VALU_DEP_1)
	v_fma_f32 v2, -v2, v13, v10
	v_div_fmas_f32 v2, v2, v7, v13
	s_delay_alu instid0(VALU_DEP_1) | instskip(NEXT) | instid1(VALU_DEP_1)
	v_div_fixup_f32 v1, v2, v18, v1
	v_maxmin_f32 v1, v1, v16, v19
	s_delay_alu instid0(VALU_DEP_1) | instskip(NEXT) | instid1(VALU_DEP_1)
	v_and_b32_e32 v2, 0x7fffffff, v1
	v_cmpx_gt_u32_e32 0x43800000, v2
	s_cbranch_execz .LBB23_168
; %bb.161:                              ;   in Loop: Header=BB23_120 Depth=1
	v_cmp_lt_u32_e32 vcc_lo, 0x3bffffff, v2
	s_mov_b32 s5, 0
                                        ; implicit-def: $vgpr2
	s_and_saveexec_b32 s0, vcc_lo
	s_delay_alu instid0(SALU_CYCLE_1)
	s_xor_b32 s0, exec_lo, s0
; %bb.162:                              ;   in Loop: Header=BB23_120 Depth=1
	v_bfe_u32 v2, v1, 20, 1
	s_mov_b32 s5, exec_lo
	s_delay_alu instid0(VALU_DEP_1) | instskip(NEXT) | instid1(VALU_DEP_1)
	v_add3_u32 v2, v1, v2, 0x487ffff
	v_lshrrev_b32_e32 v2, 20, v2
; %bb.163:                              ;   in Loop: Header=BB23_120 Depth=1
	s_or_saveexec_b32 s6, s0
                                        ; implicit-def: $sgpr0_sgpr1
	s_delay_alu instid0(SALU_CYCLE_1)
	s_xor_b32 exec_lo, exec_lo, s6
; %bb.164:                              ;   in Loop: Header=BB23_120 Depth=1
	v_add_f32_e64 v2, 0x46000000, |v1|
	s_and_not1_b32 s5, s5, exec_lo
	s_mov_b64 s[0:1], 0
	s_delay_alu instid0(VALU_DEP_1) | instskip(NEXT) | instid1(VALU_DEP_1)
	v_and_b32_e32 v2, 0xff, v2
	v_cmp_ne_u32_e32 vcc_lo, 0, v2
	s_and_b32 s7, vcc_lo, exec_lo
	s_delay_alu instid0(SALU_CYCLE_1)
	s_or_b32 s5, s5, s7
; %bb.165:                              ;   in Loop: Header=BB23_120 Depth=1
	s_or_b32 exec_lo, exec_lo, s6
	v_dual_mov_b32 v13, s1 :: v_dual_mov_b32 v12, s0
	s_and_saveexec_b32 s0, s5
; %bb.166:                              ;   in Loop: Header=BB23_120 Depth=1
	v_lshrrev_b32_e32 v1, 24, v1
	s_delay_alu instid0(VALU_DEP_1)
	v_and_or_b32 v12, 0x80, v1, v2
; %bb.167:                              ;   in Loop: Header=BB23_120 Depth=1
	s_or_b32 exec_lo, exec_lo, s0
.LBB23_168:                             ;   in Loop: Header=BB23_120 Depth=1
	s_delay_alu instid0(SALU_CYCLE_1) | instskip(SKIP_2) | instid1(VALU_DEP_1)
	s_or_b32 exec_lo, exec_lo, s4
	v_cvt_f32_f16_e32 v1, v3
	s_mov_b32 s4, exec_lo
	v_div_scale_f32 v2, null, v18, v18, v1
	v_div_scale_f32 v13, vcc_lo, v1, v18, v1
	s_delay_alu instid0(VALU_DEP_2) | instskip(SKIP_2) | instid1(VALU_DEP_1)
	v_rcp_f32_e32 v7, v2
	s_waitcnt_depctr 0xfff
	v_fma_f32 v10, -v2, v7, 1.0
	v_fmac_f32_e32 v7, v10, v7
	s_delay_alu instid0(VALU_DEP_1) | instskip(NEXT) | instid1(VALU_DEP_1)
	v_mul_f32_e32 v10, v13, v7
	v_fma_f32 v14, -v2, v10, v13
	s_delay_alu instid0(VALU_DEP_1) | instskip(NEXT) | instid1(VALU_DEP_1)
	v_fmac_f32_e32 v10, v14, v7
	v_fma_f32 v2, -v2, v10, v13
	s_delay_alu instid0(VALU_DEP_1) | instskip(NEXT) | instid1(VALU_DEP_1)
	v_div_fmas_f32 v2, v2, v7, v10
	v_div_fixup_f32 v1, v2, v18, v1
	s_delay_alu instid0(VALU_DEP_1) | instskip(SKIP_2) | instid1(VALU_DEP_3)
	v_maxmin_f32 v7, v1, v16, v19
	v_mov_b32_e32 v1, 0x80
	v_mov_b32_e32 v2, 0
	v_and_b32_e32 v10, 0x7fffffff, v7
	s_delay_alu instid0(VALU_DEP_2) | instskip(NEXT) | instid1(VALU_DEP_2)
	v_dual_mov_b32 v14, v2 :: v_dual_mov_b32 v13, v1
	v_cmpx_gt_u32_e32 0x43800000, v10
	s_cbranch_execz .LBB23_176
; %bb.169:                              ;   in Loop: Header=BB23_120 Depth=1
	s_mov_b32 s5, 0
	s_mov_b32 s0, exec_lo
                                        ; implicit-def: $vgpr2
	v_cmpx_lt_u32_e32 0x3bffffff, v10
	s_xor_b32 s0, exec_lo, s0
; %bb.170:                              ;   in Loop: Header=BB23_120 Depth=1
	v_bfe_u32 v2, v7, 20, 1
	s_mov_b32 s5, exec_lo
	s_delay_alu instid0(VALU_DEP_1) | instskip(NEXT) | instid1(VALU_DEP_1)
	v_add3_u32 v2, v7, v2, 0x487ffff
	v_lshrrev_b32_e32 v2, 20, v2
; %bb.171:                              ;   in Loop: Header=BB23_120 Depth=1
	s_or_saveexec_b32 s6, s0
                                        ; implicit-def: $sgpr0_sgpr1
	s_delay_alu instid0(SALU_CYCLE_1)
	s_xor_b32 exec_lo, exec_lo, s6
; %bb.172:                              ;   in Loop: Header=BB23_120 Depth=1
	v_add_f32_e64 v2, 0x46000000, |v7|
	s_and_not1_b32 s5, s5, exec_lo
	s_mov_b64 s[0:1], 0
	s_delay_alu instid0(VALU_DEP_1) | instskip(NEXT) | instid1(VALU_DEP_1)
	v_and_b32_e32 v2, 0xff, v2
	v_cmp_ne_u32_e32 vcc_lo, 0, v2
	s_and_b32 s7, vcc_lo, exec_lo
	s_delay_alu instid0(SALU_CYCLE_1)
	s_or_b32 s5, s5, s7
; %bb.173:                              ;   in Loop: Header=BB23_120 Depth=1
	s_or_b32 exec_lo, exec_lo, s6
	v_dual_mov_b32 v14, s1 :: v_dual_mov_b32 v13, s0
	s_and_saveexec_b32 s0, s5
; %bb.174:                              ;   in Loop: Header=BB23_120 Depth=1
	v_lshrrev_b32_e32 v7, 24, v7
	s_delay_alu instid0(VALU_DEP_1)
	v_and_or_b32 v13, 0x80, v7, v2
; %bb.175:                              ;   in Loop: Header=BB23_120 Depth=1
	s_or_b32 exec_lo, exec_lo, s0
.LBB23_176:                             ;   in Loop: Header=BB23_120 Depth=1
	s_delay_alu instid0(SALU_CYCLE_1) | instskip(SKIP_2) | instid1(VALU_DEP_1)
	s_or_b32 exec_lo, exec_lo, s4
	v_lshrrev_b32_e32 v2, 16, v3
	s_mov_b32 s4, exec_lo
	v_cvt_f32_f16_e32 v2, v2
	s_delay_alu instid0(VALU_DEP_1) | instskip(NEXT) | instid1(VALU_DEP_1)
	v_div_scale_f32 v3, null, v18, v18, v2
	v_rcp_f32_e32 v7, v3
	s_waitcnt_depctr 0xfff
	v_fma_f32 v10, -v3, v7, 1.0
	s_delay_alu instid0(VALU_DEP_1) | instskip(SKIP_1) | instid1(VALU_DEP_1)
	v_fmac_f32_e32 v7, v10, v7
	v_div_scale_f32 v10, vcc_lo, v2, v18, v2
	v_mul_f32_e32 v14, v10, v7
	s_delay_alu instid0(VALU_DEP_1) | instskip(NEXT) | instid1(VALU_DEP_1)
	v_fma_f32 v20, -v3, v14, v10
	v_fmac_f32_e32 v14, v20, v7
	s_delay_alu instid0(VALU_DEP_1) | instskip(NEXT) | instid1(VALU_DEP_1)
	v_fma_f32 v3, -v3, v14, v10
	v_div_fmas_f32 v3, v3, v7, v14
	s_delay_alu instid0(VALU_DEP_1) | instskip(NEXT) | instid1(VALU_DEP_1)
	v_div_fixup_f32 v2, v3, v18, v2
	v_maxmin_f32 v3, v2, v16, v19
	s_delay_alu instid0(VALU_DEP_1) | instskip(NEXT) | instid1(VALU_DEP_1)
	v_and_b32_e32 v2, 0x7fffffff, v3
	v_cmpx_gt_u32_e32 0x43800000, v2
	s_cbranch_execz .LBB23_119
; %bb.177:                              ;   in Loop: Header=BB23_120 Depth=1
	s_mov_b32 s5, 0
	s_mov_b32 s0, exec_lo
                                        ; implicit-def: $vgpr7
	v_cmpx_lt_u32_e32 0x3bffffff, v2
	s_xor_b32 s0, exec_lo, s0
; %bb.178:                              ;   in Loop: Header=BB23_120 Depth=1
	v_bfe_u32 v1, v3, 20, 1
	s_mov_b32 s5, exec_lo
	s_delay_alu instid0(VALU_DEP_1) | instskip(NEXT) | instid1(VALU_DEP_1)
	v_add3_u32 v1, v3, v1, 0x487ffff
	v_lshrrev_b32_e32 v7, 20, v1
; %bb.179:                              ;   in Loop: Header=BB23_120 Depth=1
	s_or_saveexec_b32 s6, s0
                                        ; implicit-def: $sgpr0_sgpr1
	s_delay_alu instid0(SALU_CYCLE_1)
	s_xor_b32 exec_lo, exec_lo, s6
; %bb.180:                              ;   in Loop: Header=BB23_120 Depth=1
	v_add_f32_e64 v1, 0x46000000, |v3|
	s_and_not1_b32 s5, s5, exec_lo
	s_mov_b64 s[0:1], 0
	s_delay_alu instid0(VALU_DEP_1) | instskip(NEXT) | instid1(VALU_DEP_1)
	v_and_b32_e32 v7, 0xff, v1
	v_cmp_ne_u32_e32 vcc_lo, 0, v7
	s_and_b32 s7, vcc_lo, exec_lo
	s_delay_alu instid0(SALU_CYCLE_1)
	s_or_b32 s5, s5, s7
; %bb.181:                              ;   in Loop: Header=BB23_120 Depth=1
	s_or_b32 exec_lo, exec_lo, s6
	v_dual_mov_b32 v2, s1 :: v_dual_mov_b32 v1, s0
	s_and_saveexec_b32 s0, s5
	s_cbranch_execz .LBB23_118
; %bb.182:                              ;   in Loop: Header=BB23_120 Depth=1
	v_lshrrev_b32_e32 v1, 24, v3
	s_delay_alu instid0(VALU_DEP_1)
	v_and_or_b32 v1, 0x80, v1, v7
	s_branch .LBB23_118
.LBB23_183:
	s_nop 0
	s_sendmsg sendmsg(MSG_DEALLOC_VGPRS)
	s_endpgm
.LBB23_184:
	v_bfe_u32 v1, v0, 20, 1
	s_mov_b32 s2, exec_lo
	s_delay_alu instid0(VALU_DEP_1) | instskip(NEXT) | instid1(VALU_DEP_1)
	v_add3_u32 v1, v0, v1, 0x487ffff
	v_lshrrev_b32_e32 v1, 20, v1
	s_or_saveexec_b32 s3, s3
                                        ; implicit-def: $sgpr4
	s_delay_alu instid0(SALU_CYCLE_1)
	s_xor_b32 exec_lo, exec_lo, s3
	s_cbranch_execz .LBB23_25
.LBB23_185:
	v_add_f32_e64 v1, 0x46000000, |v0|
	s_and_not1_b32 s2, s2, exec_lo
	s_mov_b32 s4, 0
	s_delay_alu instid0(VALU_DEP_1) | instskip(NEXT) | instid1(VALU_DEP_1)
	v_and_b32_e32 v1, 0xff, v1
	v_cmp_ne_u32_e32 vcc_lo, 0, v1
	s_and_b32 s5, vcc_lo, exec_lo
	s_delay_alu instid0(SALU_CYCLE_1)
	s_or_b32 s2, s2, s5
	s_or_b32 exec_lo, exec_lo, s3
	v_mov_b32_e32 v2, s4
	s_and_saveexec_b32 s3, s2
	s_cbranch_execnz .LBB23_26
	s_branch .LBB23_27
	.section	.rodata,"a",@progbits
	.p2align	6, 0x0
	.amdhsa_kernel _Z33per_token_group_quant_8bit_kernelIN3c104HalfENS0_15Float8_e4m3fnuzELb0ELb0EfEvPKT_PvPT3_iiifffii
		.amdhsa_group_segment_fixed_size 0
		.amdhsa_private_segment_fixed_size 0
		.amdhsa_kernarg_size 56
		.amdhsa_user_sgpr_count 15
		.amdhsa_user_sgpr_dispatch_ptr 0
		.amdhsa_user_sgpr_queue_ptr 0
		.amdhsa_user_sgpr_kernarg_segment_ptr 1
		.amdhsa_user_sgpr_dispatch_id 0
		.amdhsa_user_sgpr_private_segment_size 0
		.amdhsa_wavefront_size32 1
		.amdhsa_uses_dynamic_stack 0
		.amdhsa_enable_private_segment 0
		.amdhsa_system_sgpr_workgroup_id_x 1
		.amdhsa_system_sgpr_workgroup_id_y 0
		.amdhsa_system_sgpr_workgroup_id_z 0
		.amdhsa_system_sgpr_workgroup_info 0
		.amdhsa_system_vgpr_workitem_id 0
		.amdhsa_next_free_vgpr 38
		.amdhsa_next_free_sgpr 16
		.amdhsa_reserve_vcc 1
		.amdhsa_float_round_mode_32 0
		.amdhsa_float_round_mode_16_64 0
		.amdhsa_float_denorm_mode_32 3
		.amdhsa_float_denorm_mode_16_64 3
		.amdhsa_dx10_clamp 1
		.amdhsa_ieee_mode 1
		.amdhsa_fp16_overflow 0
		.amdhsa_workgroup_processor_mode 1
		.amdhsa_memory_ordered 1
		.amdhsa_forward_progress 0
		.amdhsa_shared_vgpr_count 0
		.amdhsa_exception_fp_ieee_invalid_op 0
		.amdhsa_exception_fp_denorm_src 0
		.amdhsa_exception_fp_ieee_div_zero 0
		.amdhsa_exception_fp_ieee_overflow 0
		.amdhsa_exception_fp_ieee_underflow 0
		.amdhsa_exception_fp_ieee_inexact 0
		.amdhsa_exception_int_div_zero 0
	.end_amdhsa_kernel
	.section	.text._Z33per_token_group_quant_8bit_kernelIN3c104HalfENS0_15Float8_e4m3fnuzELb0ELb0EfEvPKT_PvPT3_iiifffii,"axG",@progbits,_Z33per_token_group_quant_8bit_kernelIN3c104HalfENS0_15Float8_e4m3fnuzELb0ELb0EfEvPKT_PvPT3_iiifffii,comdat
.Lfunc_end23:
	.size	_Z33per_token_group_quant_8bit_kernelIN3c104HalfENS0_15Float8_e4m3fnuzELb0ELb0EfEvPKT_PvPT3_iiifffii, .Lfunc_end23-_Z33per_token_group_quant_8bit_kernelIN3c104HalfENS0_15Float8_e4m3fnuzELb0ELb0EfEvPKT_PvPT3_iiifffii
                                        ; -- End function
	.section	.AMDGPU.csdata,"",@progbits
; Kernel info:
; codeLenInByte = 9104
; NumSgprs: 18
; NumVgprs: 38
; ScratchSize: 0
; MemoryBound: 0
; FloatMode: 240
; IeeeMode: 1
; LDSByteSize: 0 bytes/workgroup (compile time only)
; SGPRBlocks: 2
; VGPRBlocks: 4
; NumSGPRsForWavesPerEU: 18
; NumVGPRsForWavesPerEU: 38
; Occupancy: 16
; WaveLimiterHint : 0
; COMPUTE_PGM_RSRC2:SCRATCH_EN: 0
; COMPUTE_PGM_RSRC2:USER_SGPR: 15
; COMPUTE_PGM_RSRC2:TRAP_HANDLER: 0
; COMPUTE_PGM_RSRC2:TGID_X_EN: 1
; COMPUTE_PGM_RSRC2:TGID_Y_EN: 0
; COMPUTE_PGM_RSRC2:TGID_Z_EN: 0
; COMPUTE_PGM_RSRC2:TIDIG_COMP_CNT: 0
	.section	.text._Z33per_token_group_quant_8bit_kernelIN3c108BFloat16EaLb1ELb1EfEvPKT_PvPT3_iiifffii,"axG",@progbits,_Z33per_token_group_quant_8bit_kernelIN3c108BFloat16EaLb1ELb1EfEvPKT_PvPT3_iiifffii,comdat
	.protected	_Z33per_token_group_quant_8bit_kernelIN3c108BFloat16EaLb1ELb1EfEvPKT_PvPT3_iiifffii ; -- Begin function _Z33per_token_group_quant_8bit_kernelIN3c108BFloat16EaLb1ELb1EfEvPKT_PvPT3_iiifffii
	.globl	_Z33per_token_group_quant_8bit_kernelIN3c108BFloat16EaLb1ELb1EfEvPKT_PvPT3_iiifffii
	.p2align	8
	.type	_Z33per_token_group_quant_8bit_kernelIN3c108BFloat16EaLb1ELb1EfEvPKT_PvPT3_iiifffii,@function
_Z33per_token_group_quant_8bit_kernelIN3c108BFloat16EaLb1ELb1EfEvPKT_PvPT3_iiifffii: ; @_Z33per_token_group_quant_8bit_kernelIN3c108BFloat16EaLb1ELb1EfEvPKT_PvPT3_iiifffii
; %bb.0:
	s_clause 0x1
	s_load_b128 s[8:11], s[0:1], 0x20
	s_load_b32 s14, s[0:1], 0x18
	v_lshrrev_b32_e32 v7, 4, v0
	s_load_b64 s[2:3], s[0:1], 0x30
	v_and_b32_e32 v9, 15, v0
                                        ; implicit-def: $vgpr13
	s_waitcnt lgkmcnt(0)
	s_mul_i32 s15, s15, s8
	s_ashr_i32 s6, s14, 31
	v_add_co_u32 v11, s4, s15, v7
	s_delay_alu instid0(VALU_DEP_1) | instskip(SKIP_1) | instid1(VALU_DEP_2)
	v_add_co_ci_u32_e64 v12, null, 0, 0, s4
	s_load_b64 s[4:5], s[0:1], 0x0
	v_mul_lo_u32 v4, v11, s6
	v_mad_u64_u32 v[1:2], null, v11, s14, 0
	s_delay_alu instid0(VALU_DEP_3) | instskip(SKIP_2) | instid1(SALU_CYCLE_1)
	v_mul_lo_u32 v3, v12, s14
	v_mul_lo_u32 v10, v7, s14
	s_and_b32 s6, s14, 7
	s_cmp_eq_u32 s6, 0
	s_cselect_b32 s15, -1, 0
	s_cmp_lg_u32 s6, 0
	s_delay_alu instid0(VALU_DEP_2) | instskip(NEXT) | instid1(VALU_DEP_2)
	v_add3_u32 v2, v2, v4, v3
	v_lshl_add_u32 v0, v10, 1, 0
	s_cselect_b32 s6, -1, 0
	s_delay_alu instid0(VALU_DEP_2) | instskip(SKIP_1) | instid1(VALU_DEP_1)
	v_lshlrev_b64 v[3:4], 1, v[1:2]
	s_waitcnt lgkmcnt(0)
	v_add_co_u32 v5, vcc_lo, s4, v3
	v_mov_b32_e32 v8, 0
	s_delay_alu instid0(VALU_DEP_3) | instskip(NEXT) | instid1(VALU_DEP_3)
	v_add_co_ci_u32_e32 v6, vcc_lo, s5, v4, vcc_lo
	v_and_b32_e32 v7, 15, v5
	s_delay_alu instid0(VALU_DEP_1) | instskip(SKIP_1) | instid1(SALU_CYCLE_1)
	v_cmp_ne_u64_e32 vcc_lo, 0, v[7:8]
	s_or_b32 s6, s6, vcc_lo
	s_and_saveexec_b32 s7, s6
	s_delay_alu instid0(SALU_CYCLE_1)
	s_xor_b32 s6, exec_lo, s7
	s_cbranch_execz .LBB24_12
; %bb.1:
	v_sub_nc_u32_e32 v7, 0, v5
	v_mov_b32_e32 v13, s9
	s_mov_b32 s7, exec_lo
	s_delay_alu instid0(VALU_DEP_2) | instskip(NEXT) | instid1(VALU_DEP_1)
	v_bfe_u32 v7, v7, 1, 3
	v_min_i32_e32 v7, s14, v7
	s_delay_alu instid0(VALU_DEP_1)
	v_cmpx_gt_i32_e64 v7, v9
	s_cbranch_execz .LBB24_3
; %bb.2:
	v_max_f32_e64 v13, s9, s9
	v_lshlrev_b32_e32 v8, 1, v9
	s_delay_alu instid0(VALU_DEP_1) | instskip(SKIP_4) | instid1(VALU_DEP_1)
	v_add_co_u32 v5, vcc_lo, v5, v8
	v_add_co_ci_u32_e32 v6, vcc_lo, 0, v6, vcc_lo
	global_load_u16 v5, v[5:6], off
	s_waitcnt vmcnt(0)
	v_lshlrev_b32_e32 v6, 16, v5
	v_max_f32_e64 v6, |v6|, |v6|
	s_delay_alu instid0(VALU_DEP_1)
	v_dual_max_f32 v13, v13, v6 :: v_dual_add_nc_u32 v8, v0, v8
	ds_store_b16 v8, v5
.LBB24_3:
	s_or_b32 exec_lo, exec_lo, s7
	v_sub_nc_u32_e32 v14, s14, v7
	v_ashrrev_i32_e32 v8, 31, v7
	v_lshlrev_b32_e32 v15, 1, v7
	s_mov_b32 s7, exec_lo
	s_delay_alu instid0(VALU_DEP_3) | instskip(NEXT) | instid1(VALU_DEP_1)
	v_ashrrev_i32_e32 v5, 31, v14
	v_lshrrev_b32_e32 v5, 29, v5
	s_delay_alu instid0(VALU_DEP_1) | instskip(NEXT) | instid1(VALU_DEP_1)
	v_add_nc_u32_e32 v5, v14, v5
	v_ashrrev_i32_e32 v16, 3, v5
	v_lshlrev_b64 v[5:6], 1, v[7:8]
	s_delay_alu instid0(VALU_DEP_2)
	v_cmpx_gt_i32_e64 v16, v9
	s_cbranch_execz .LBB24_7
; %bb.4:
	v_lshlrev_b32_e32 v7, 4, v9
	s_mov_b32 s8, 0
	s_delay_alu instid0(VALU_DEP_1) | instskip(SKIP_2) | instid1(VALU_DEP_3)
	v_add_co_u32 v8, vcc_lo, v3, v7
	v_add_co_ci_u32_e32 v17, vcc_lo, 0, v4, vcc_lo
	v_lshl_add_u32 v7, v10, 1, v7
	v_add_co_u32 v8, vcc_lo, v8, v5
	s_delay_alu instid0(VALU_DEP_3) | instskip(NEXT) | instid1(VALU_DEP_2)
	v_add_co_ci_u32_e32 v17, vcc_lo, v17, v6, vcc_lo
	v_add_co_u32 v8, vcc_lo, v8, s4
	s_delay_alu instid0(VALU_DEP_2) | instskip(SKIP_1) | instid1(VALU_DEP_3)
	v_add_co_ci_u32_e32 v18, vcc_lo, s5, v17, vcc_lo
	v_add3_u32 v17, v7, v15, 0
	v_add_co_u32 v7, vcc_lo, v8, 8
	s_delay_alu instid0(VALU_DEP_3)
	v_add_co_ci_u32_e32 v8, vcc_lo, 0, v18, vcc_lo
	v_mov_b32_e32 v18, v9
	s_set_inst_prefetch_distance 0x1
	.p2align	6
.LBB24_5:                               ; =>This Inner Loop Header: Depth=1
	global_load_b128 v[19:22], v[7:8], off offset:-8
	v_add_nc_u32_e32 v18, 16, v18
	v_add_co_u32 v7, vcc_lo, 0x100, v7
	v_add_co_ci_u32_e32 v8, vcc_lo, 0, v8, vcc_lo
	s_delay_alu instid0(VALU_DEP_3)
	v_cmp_ge_i32_e32 vcc_lo, v18, v16
	s_or_b32 s8, vcc_lo, s8
	s_waitcnt vmcnt(0)
	v_lshlrev_b32_e32 v23, 16, v19
	v_and_b32_e32 v24, 0xffff0000, v19
	v_lshlrev_b32_e32 v25, 16, v20
	v_and_b32_e32 v26, 0xffff0000, v20
	ds_store_b128 v17, v[19:22]
	v_add_nc_u32_e32 v17, 0x100, v17
	v_max3_f32 v13, v13, |v23|, |v24|
	v_lshlrev_b32_e32 v23, 16, v21
	v_and_b32_e32 v24, 0xffff0000, v21
	s_delay_alu instid0(VALU_DEP_3) | instskip(SKIP_2) | instid1(VALU_DEP_3)
	v_max3_f32 v13, v13, |v25|, |v26|
	v_lshlrev_b32_e32 v25, 16, v22
	v_and_b32_e32 v26, 0xffff0000, v22
	v_max3_f32 v13, v13, |v23|, |v24|
	s_delay_alu instid0(VALU_DEP_1)
	v_max3_f32 v13, v13, |v25|, |v26|
	s_and_not1_b32 exec_lo, exec_lo, s8
	s_cbranch_execnz .LBB24_5
; %bb.6:
	s_set_inst_prefetch_distance 0x2
	s_or_b32 exec_lo, exec_lo, s8
.LBB24_7:
	s_delay_alu instid0(SALU_CYCLE_1) | instskip(SKIP_2) | instid1(VALU_DEP_1)
	s_or_b32 exec_lo, exec_lo, s7
	v_lshl_add_u32 v7, v16, 3, v9
	s_mov_b32 s7, exec_lo
	v_cmpx_lt_i32_e64 v7, v14
	s_cbranch_execz .LBB24_11
; %bb.8:
	v_ashrrev_i32_e32 v8, 31, v7
	v_lshlrev_b32_e32 v19, 4, v16
	v_add_co_u32 v3, vcc_lo, v3, v5
	v_lshlrev_b32_e32 v18, 1, v10
	s_delay_alu instid0(VALU_DEP_4) | instskip(SKIP_2) | instid1(VALU_DEP_4)
	v_lshlrev_b64 v[16:17], 1, v[7:8]
	v_add_co_ci_u32_e32 v4, vcc_lo, v4, v6, vcc_lo
	v_lshlrev_b32_e32 v20, 1, v9
	v_add3_u32 v5, v18, v19, v15
	s_mov_b32 s8, 0
	s_delay_alu instid0(VALU_DEP_4) | instskip(SKIP_1) | instid1(VALU_DEP_3)
	v_add_co_u32 v3, vcc_lo, v3, v16
	v_add_co_ci_u32_e32 v4, vcc_lo, v4, v17, vcc_lo
	v_add3_u32 v5, v5, v20, 0
	s_delay_alu instid0(VALU_DEP_3) | instskip(NEXT) | instid1(VALU_DEP_3)
	v_add_co_u32 v3, vcc_lo, s4, v3
	v_add_co_ci_u32_e32 v4, vcc_lo, s5, v4, vcc_lo
	.p2align	6
.LBB24_9:                               ; =>This Inner Loop Header: Depth=1
	global_load_u16 v6, v[3:4], off
	v_dual_max_f32 v8, v13, v13 :: v_dual_add_nc_u32 v7, 16, v7
	v_add_co_u32 v3, vcc_lo, v3, 32
	v_add_co_ci_u32_e32 v4, vcc_lo, 0, v4, vcc_lo
	s_delay_alu instid0(VALU_DEP_3)
	v_cmp_ge_i32_e32 vcc_lo, v7, v14
	s_or_b32 s8, vcc_lo, s8
	s_waitcnt vmcnt(0)
	v_lshlrev_b32_e32 v13, 16, v6
	ds_store_b16 v5, v6
	v_add_nc_u32_e32 v5, 32, v5
	v_max_f32_e64 v13, |v13|, |v13|
	s_delay_alu instid0(VALU_DEP_1)
	v_max_f32_e32 v13, v8, v13
	s_and_not1_b32 exec_lo, exec_lo, s8
	s_cbranch_execnz .LBB24_9
; %bb.10:
	s_or_b32 exec_lo, exec_lo, s8
.LBB24_11:
	s_delay_alu instid0(SALU_CYCLE_1)
	s_or_b32 exec_lo, exec_lo, s7
                                        ; implicit-def: $vgpr3_vgpr4
.LBB24_12:
	s_and_not1_saveexec_b32 s6, s6
	s_cbranch_execz .LBB24_18
; %bb.13:
	v_mov_b32_e32 v13, s9
	s_ashr_i32 s8, s14, 3
	s_mov_b32 s7, exec_lo
	v_cmpx_gt_i32_e64 s8, v9
	s_cbranch_execz .LBB24_17
; %bb.14:
	v_lshlrev_b32_e32 v5, 4, v9
	v_dual_mov_b32 v13, s9 :: v_dual_lshlrev_b32 v6, 1, v10
	s_delay_alu instid0(VALU_DEP_2) | instskip(SKIP_1) | instid1(VALU_DEP_3)
	v_add_co_u32 v3, vcc_lo, v3, v5
	v_add_co_ci_u32_e32 v4, vcc_lo, 0, v4, vcc_lo
	v_add3_u32 v5, v6, v5, 0
	s_delay_alu instid0(VALU_DEP_3) | instskip(NEXT) | instid1(VALU_DEP_3)
	v_add_co_u32 v3, vcc_lo, v3, s4
	v_add_co_ci_u32_e32 v4, vcc_lo, s5, v4, vcc_lo
	v_mov_b32_e32 v6, v9
	s_delay_alu instid0(VALU_DEP_3) | instskip(NEXT) | instid1(VALU_DEP_3)
	v_add_co_u32 v3, vcc_lo, v3, 8
	v_add_co_ci_u32_e32 v4, vcc_lo, 0, v4, vcc_lo
	s_mov_b32 s4, 0
	s_set_inst_prefetch_distance 0x1
	.p2align	6
.LBB24_15:                              ; =>This Inner Loop Header: Depth=1
	global_load_b128 v[14:17], v[3:4], off offset:-8
	v_add_nc_u32_e32 v6, 16, v6
	v_add_co_u32 v3, vcc_lo, 0x100, v3
	v_add_co_ci_u32_e32 v4, vcc_lo, 0, v4, vcc_lo
	s_delay_alu instid0(VALU_DEP_3)
	v_cmp_le_i32_e32 vcc_lo, s8, v6
	s_or_b32 s4, vcc_lo, s4
	s_waitcnt vmcnt(0)
	v_lshlrev_b32_e32 v7, 16, v14
	v_and_b32_e32 v8, 0xffff0000, v14
	v_lshlrev_b32_e32 v18, 16, v15
	v_and_b32_e32 v19, 0xffff0000, v15
	ds_store_b128 v5, v[14:17]
	v_add_nc_u32_e32 v5, 0x100, v5
	v_max3_f32 v7, v13, |v7|, |v8|
	v_lshlrev_b32_e32 v8, 16, v16
	v_and_b32_e32 v13, 0xffff0000, v16
	s_delay_alu instid0(VALU_DEP_3) | instskip(SKIP_2) | instid1(VALU_DEP_3)
	v_max3_f32 v7, v7, |v18|, |v19|
	v_lshlrev_b32_e32 v18, 16, v17
	v_and_b32_e32 v19, 0xffff0000, v17
	v_max3_f32 v7, v7, |v8|, |v13|
	s_delay_alu instid0(VALU_DEP_1)
	v_max3_f32 v13, v7, |v18|, |v19|
	s_and_not1_b32 exec_lo, exec_lo, s4
	s_cbranch_execnz .LBB24_15
; %bb.16:
	s_set_inst_prefetch_distance 0x2
	s_or_b32 exec_lo, exec_lo, s4
.LBB24_17:
	s_delay_alu instid0(SALU_CYCLE_1)
	s_or_b32 exec_lo, exec_lo, s7
.LBB24_18:
	s_delay_alu instid0(SALU_CYCLE_1) | instskip(SKIP_4) | instid1(VALU_DEP_2)
	s_or_b32 exec_lo, exec_lo, s6
	v_mbcnt_lo_u32_b32 v3, -1, 0
	s_load_b64 s[8:9], s[0:1], 0x8
	s_mov_b32 s16, exec_lo
	v_max_f32_e32 v7, v13, v13
	v_xor_b32_e32 v5, 8, v3
	v_and_b32_e32 v4, 16, v3
	v_xor_b32_e32 v6, 4, v3
	s_delay_alu instid0(VALU_DEP_2) | instskip(NEXT) | instid1(VALU_DEP_1)
	v_add_nc_u32_e32 v4, 16, v4
	v_cmp_lt_i32_e32 vcc_lo, v5, v4
	v_cndmask_b32_e32 v5, v3, v5, vcc_lo
	s_delay_alu instid0(VALU_DEP_4) | instskip(NEXT) | instid1(VALU_DEP_2)
	v_cmp_lt_i32_e32 vcc_lo, v6, v4
	v_dual_cndmask_b32 v6, v3, v6 :: v_dual_lshlrev_b32 v5, 2, v5
	ds_bpermute_b32 v5, v5, v13
	s_waitcnt lgkmcnt(0)
	v_dual_max_f32 v5, v5, v5 :: v_dual_lshlrev_b32 v6, 2, v6
	s_delay_alu instid0(VALU_DEP_1)
	v_max_f32_e32 v5, v7, v5
	v_xor_b32_e32 v7, 2, v3
	ds_bpermute_b32 v6, v6, v5
	v_cmp_lt_i32_e32 vcc_lo, v7, v4
	s_waitcnt lgkmcnt(0)
	v_dual_cndmask_b32 v7, v3, v7 :: v_dual_max_f32 v6, v6, v6
	s_delay_alu instid0(VALU_DEP_1) | instskip(NEXT) | instid1(VALU_DEP_2)
	v_max_f32_e32 v5, v5, v6
	v_lshlrev_b32_e32 v7, 2, v7
	ds_bpermute_b32 v6, v7, v5
	v_xor_b32_e32 v7, 1, v3
	s_delay_alu instid0(VALU_DEP_1) | instskip(SKIP_2) | instid1(VALU_DEP_1)
	v_cmp_lt_i32_e32 vcc_lo, v7, v4
	v_cndmask_b32_e32 v3, v3, v7, vcc_lo
	s_waitcnt lgkmcnt(0)
	v_dual_max_f32 v4, v6, v6 :: v_dual_lshlrev_b32 v3, 2, v3
	s_delay_alu instid0(VALU_DEP_1) | instskip(SKIP_3) | instid1(VALU_DEP_1)
	v_max_f32_e32 v4, v5, v4
	ds_bpermute_b32 v3, v3, v4
	s_waitcnt lgkmcnt(0)
	v_max_f32_e32 v3, v3, v3
	v_max_f32_e32 v3, v4, v3
	s_delay_alu instid0(VALU_DEP_1) | instskip(SKIP_1) | instid1(VALU_DEP_2)
	v_div_scale_f32 v4, null, s11, s11, v3
	v_div_scale_f32 v7, vcc_lo, v3, s11, v3
	v_rcp_f32_e32 v5, v4
	s_waitcnt_depctr 0xfff
	v_fma_f32 v6, -v4, v5, 1.0
	s_delay_alu instid0(VALU_DEP_1) | instskip(NEXT) | instid1(VALU_DEP_1)
	v_fmac_f32_e32 v5, v6, v5
	v_mul_f32_e32 v6, v7, v5
	s_delay_alu instid0(VALU_DEP_1) | instskip(NEXT) | instid1(VALU_DEP_1)
	v_fma_f32 v8, -v4, v6, v7
	v_fmac_f32_e32 v6, v8, v5
	s_delay_alu instid0(VALU_DEP_1) | instskip(NEXT) | instid1(VALU_DEP_1)
	v_fma_f32 v4, -v4, v6, v7
	v_div_fmas_f32 v4, v4, v5, v6
	s_delay_alu instid0(VALU_DEP_1) | instskip(NEXT) | instid1(VALU_DEP_1)
	v_div_fixup_f32 v3, v4, s11, v3
	v_max_f32_e64 v3, 0x2edbe6ff, |v3|
	s_delay_alu instid0(VALU_DEP_1) | instskip(SKIP_1) | instid1(VALU_DEP_1)
	v_cmp_gt_f32_e32 vcc_lo, 0x800000, v3
	v_cndmask_b32_e64 v4, 1.0, 0x4f800000, vcc_lo
	v_mul_f32_e32 v3, v3, v4
	v_cndmask_b32_e64 v4, 0, 0x42000000, vcc_lo
	s_delay_alu instid0(VALU_DEP_2) | instskip(SKIP_2) | instid1(VALU_DEP_1)
	v_log_f32_e32 v3, v3
	s_waitcnt_depctr 0xfff
	v_sub_f32_e32 v3, v3, v4
	v_ceil_f32_e32 v3, v3
	s_delay_alu instid0(VALU_DEP_1) | instskip(SKIP_1) | instid1(VALU_DEP_1)
	v_cmp_gt_f32_e32 vcc_lo, 0xc2fc0000, v3
	v_cndmask_b32_e64 v4, 0, 0x42800000, vcc_lo
	v_add_f32_e32 v3, v3, v4
	v_cndmask_b32_e64 v4, 1.0, 0x1f800000, vcc_lo
	s_delay_alu instid0(VALU_DEP_2)
	v_exp_f32_e32 v3, v3
	s_waitcnt_depctr 0xfff
	v_mul_f32_e32 v5, v3, v4
	v_cmpx_eq_u32_e32 0, v9
	s_cbranch_execz .LBB24_24
; %bb.19:
	s_load_b64 s[4:5], s[0:1], 0x10
	s_ashr_i32 s0, s2, 31
	v_mov_b32_e32 v3, 0
	v_or_b32_e32 v4, s0, v12
	s_mov_b32 s1, s2
	s_delay_alu instid0(VALU_DEP_1) | instskip(SKIP_1) | instid1(SALU_CYCLE_1)
	v_cmp_ne_u64_e32 vcc_lo, 0, v[3:4]
                                        ; implicit-def: $vgpr3_vgpr4
	s_and_saveexec_b32 s2, vcc_lo
	s_xor_b32 s2, exec_lo, s2
	s_cbranch_execz .LBB24_21
; %bb.20:
	s_add_u32 s12, s1, s0
	s_mov_b32 s6, s0
	s_mov_b32 s7, s0
	s_addc_u32 s13, s0, s0
	s_delay_alu instid0(SALU_CYCLE_1) | instskip(NEXT) | instid1(SALU_CYCLE_1)
	s_xor_b64 s[12:13], s[12:13], s[6:7]
	v_cvt_f32_u32_e32 v3, s12
	v_cvt_f32_u32_e32 v4, s13
	s_sub_u32 s0, 0, s12
	s_subb_u32 s7, 0, s13
	s_delay_alu instid0(VALU_DEP_1) | instskip(NEXT) | instid1(VALU_DEP_1)
	v_fmamk_f32 v3, v4, 0x4f800000, v3
	v_rcp_f32_e32 v3, v3
	s_waitcnt_depctr 0xfff
	v_mul_f32_e32 v3, 0x5f7ffffc, v3
	s_delay_alu instid0(VALU_DEP_1) | instskip(NEXT) | instid1(VALU_DEP_1)
	v_mul_f32_e32 v4, 0x2f800000, v3
	v_trunc_f32_e32 v4, v4
	s_delay_alu instid0(VALU_DEP_1) | instskip(SKIP_1) | instid1(VALU_DEP_2)
	v_fmamk_f32 v3, v4, 0xcf800000, v3
	v_cvt_u32_f32_e32 v4, v4
	v_cvt_u32_f32_e32 v3, v3
	s_delay_alu instid0(VALU_DEP_2) | instskip(NEXT) | instid1(VALU_DEP_2)
	v_mul_lo_u32 v6, s0, v4
	v_mul_hi_u32 v7, s0, v3
	v_mul_lo_u32 v8, s7, v3
	s_delay_alu instid0(VALU_DEP_2) | instskip(SKIP_1) | instid1(VALU_DEP_2)
	v_add_nc_u32_e32 v6, v7, v6
	v_mul_lo_u32 v7, s0, v3
	v_add_nc_u32_e32 v6, v6, v8
	s_delay_alu instid0(VALU_DEP_2) | instskip(NEXT) | instid1(VALU_DEP_2)
	v_mul_hi_u32 v8, v3, v7
	v_mul_lo_u32 v13, v3, v6
	v_mul_hi_u32 v14, v3, v6
	v_mul_hi_u32 v15, v4, v7
	v_mul_lo_u32 v7, v4, v7
	v_mul_hi_u32 v16, v4, v6
	v_mul_lo_u32 v6, v4, v6
	v_add_co_u32 v8, vcc_lo, v8, v13
	v_add_co_ci_u32_e32 v13, vcc_lo, 0, v14, vcc_lo
	s_delay_alu instid0(VALU_DEP_2) | instskip(NEXT) | instid1(VALU_DEP_2)
	v_add_co_u32 v7, vcc_lo, v8, v7
	v_add_co_ci_u32_e32 v7, vcc_lo, v13, v15, vcc_lo
	v_add_co_ci_u32_e32 v8, vcc_lo, 0, v16, vcc_lo
	s_delay_alu instid0(VALU_DEP_2) | instskip(NEXT) | instid1(VALU_DEP_2)
	v_add_co_u32 v6, vcc_lo, v7, v6
	v_add_co_ci_u32_e32 v7, vcc_lo, 0, v8, vcc_lo
	s_delay_alu instid0(VALU_DEP_2) | instskip(NEXT) | instid1(VALU_DEP_2)
	v_add_co_u32 v3, vcc_lo, v3, v6
	v_add_co_ci_u32_e32 v4, vcc_lo, v4, v7, vcc_lo
	s_delay_alu instid0(VALU_DEP_2) | instskip(SKIP_1) | instid1(VALU_DEP_3)
	v_mul_hi_u32 v6, s0, v3
	v_mul_lo_u32 v8, s7, v3
	v_mul_lo_u32 v7, s0, v4
	s_delay_alu instid0(VALU_DEP_1) | instskip(SKIP_1) | instid1(VALU_DEP_2)
	v_add_nc_u32_e32 v6, v6, v7
	v_mul_lo_u32 v7, s0, v3
	v_add_nc_u32_e32 v6, v6, v8
	s_delay_alu instid0(VALU_DEP_2) | instskip(NEXT) | instid1(VALU_DEP_2)
	v_mul_hi_u32 v8, v3, v7
	v_mul_lo_u32 v13, v3, v6
	v_mul_hi_u32 v14, v3, v6
	v_mul_hi_u32 v15, v4, v7
	v_mul_lo_u32 v7, v4, v7
	v_mul_hi_u32 v16, v4, v6
	v_mul_lo_u32 v6, v4, v6
	v_add_co_u32 v8, vcc_lo, v8, v13
	v_add_co_ci_u32_e32 v13, vcc_lo, 0, v14, vcc_lo
	s_delay_alu instid0(VALU_DEP_2) | instskip(NEXT) | instid1(VALU_DEP_2)
	v_add_co_u32 v7, vcc_lo, v8, v7
	v_add_co_ci_u32_e32 v7, vcc_lo, v13, v15, vcc_lo
	v_add_co_ci_u32_e32 v8, vcc_lo, 0, v16, vcc_lo
	s_delay_alu instid0(VALU_DEP_2) | instskip(NEXT) | instid1(VALU_DEP_2)
	v_add_co_u32 v6, vcc_lo, v7, v6
	v_add_co_ci_u32_e32 v7, vcc_lo, 0, v8, vcc_lo
	s_delay_alu instid0(VALU_DEP_2) | instskip(NEXT) | instid1(VALU_DEP_2)
	v_add_co_u32 v8, vcc_lo, v3, v6
	v_add_co_ci_u32_e32 v15, vcc_lo, v4, v7, vcc_lo
	s_delay_alu instid0(VALU_DEP_2) | instskip(SKIP_1) | instid1(VALU_DEP_3)
	v_mul_hi_u32 v16, v11, v8
	v_mad_u64_u32 v[6:7], null, v12, v8, 0
	v_mad_u64_u32 v[3:4], null, v11, v15, 0
	;; [unrolled: 1-line block ×3, first 2 shown]
	s_delay_alu instid0(VALU_DEP_2) | instskip(NEXT) | instid1(VALU_DEP_3)
	v_add_co_u32 v3, vcc_lo, v16, v3
	v_add_co_ci_u32_e32 v4, vcc_lo, 0, v4, vcc_lo
	s_delay_alu instid0(VALU_DEP_2) | instskip(NEXT) | instid1(VALU_DEP_2)
	v_add_co_u32 v3, vcc_lo, v3, v6
	v_add_co_ci_u32_e32 v3, vcc_lo, v4, v7, vcc_lo
	v_add_co_ci_u32_e32 v4, vcc_lo, 0, v14, vcc_lo
	s_delay_alu instid0(VALU_DEP_2) | instskip(NEXT) | instid1(VALU_DEP_2)
	v_add_co_u32 v6, vcc_lo, v3, v13
	v_add_co_ci_u32_e32 v7, vcc_lo, 0, v4, vcc_lo
	s_delay_alu instid0(VALU_DEP_2) | instskip(SKIP_1) | instid1(VALU_DEP_3)
	v_mul_lo_u32 v8, s13, v6
	v_mad_u64_u32 v[3:4], null, s12, v6, 0
	v_mul_lo_u32 v7, s12, v7
	s_delay_alu instid0(VALU_DEP_2) | instskip(NEXT) | instid1(VALU_DEP_2)
	v_sub_co_u32 v3, vcc_lo, v11, v3
	v_add3_u32 v4, v4, v7, v8
	v_add_co_u32 v8, s0, v6, 2
	s_delay_alu instid0(VALU_DEP_2) | instskip(NEXT) | instid1(VALU_DEP_1)
	v_sub_nc_u32_e32 v7, v12, v4
	v_subrev_co_ci_u32_e64 v7, s0, s13, v7, vcc_lo
	v_sub_co_u32 v13, s0, v3, s12
	v_sub_co_ci_u32_e32 v4, vcc_lo, v12, v4, vcc_lo
	s_delay_alu instid0(VALU_DEP_3) | instskip(NEXT) | instid1(VALU_DEP_3)
	v_subrev_co_ci_u32_e64 v7, s0, 0, v7, s0
	v_cmp_le_u32_e32 vcc_lo, s12, v13
	v_cndmask_b32_e64 v12, 0, -1, vcc_lo
	s_delay_alu instid0(VALU_DEP_3)
	v_cmp_le_u32_e32 vcc_lo, s13, v7
	v_cndmask_b32_e64 v13, 0, -1, vcc_lo
	v_cmp_le_u32_e32 vcc_lo, s12, v3
	v_cndmask_b32_e64 v3, 0, -1, vcc_lo
	;; [unrolled: 2-line block ×3, first 2 shown]
	v_cmp_eq_u32_e32 vcc_lo, s13, v7
	v_cndmask_b32_e32 v7, v13, v12, vcc_lo
	v_add_co_u32 v12, vcc_lo, v6, 1
	v_cmp_eq_u32_e32 vcc_lo, s13, v4
	v_cndmask_b32_e32 v3, v14, v3, vcc_lo
	s_delay_alu instid0(VALU_DEP_4) | instskip(NEXT) | instid1(VALU_DEP_4)
	v_cmp_ne_u32_e32 vcc_lo, 0, v7
	v_cndmask_b32_e32 v4, v12, v8, vcc_lo
	s_delay_alu instid0(VALU_DEP_3) | instskip(NEXT) | instid1(VALU_DEP_2)
	v_cmp_ne_u32_e32 vcc_lo, 0, v3
	v_cndmask_b32_e32 v3, v6, v4, vcc_lo
	s_delay_alu instid0(VALU_DEP_1) | instskip(NEXT) | instid1(VALU_DEP_1)
	v_xor_b32_e32 v3, s6, v3
	v_sub_co_u32 v3, vcc_lo, v3, s6
.LBB24_21:
	s_and_not1_saveexec_b32 s0, s2
	s_cbranch_execz .LBB24_23
; %bb.22:
	v_cvt_f32_u32_e32 v3, s1
	s_sub_i32 s2, 0, s1
	s_delay_alu instid0(VALU_DEP_1) | instskip(SKIP_2) | instid1(VALU_DEP_1)
	v_rcp_iflag_f32_e32 v3, v3
	s_waitcnt_depctr 0xfff
	v_mul_f32_e32 v3, 0x4f7ffffe, v3
	v_cvt_u32_f32_e32 v3, v3
	s_delay_alu instid0(VALU_DEP_1) | instskip(NEXT) | instid1(VALU_DEP_1)
	v_mul_lo_u32 v4, s2, v3
	v_mul_hi_u32 v4, v3, v4
	s_delay_alu instid0(VALU_DEP_1) | instskip(NEXT) | instid1(VALU_DEP_1)
	v_add_nc_u32_e32 v3, v3, v4
	v_mul_hi_u32 v3, v11, v3
	s_delay_alu instid0(VALU_DEP_1) | instskip(SKIP_1) | instid1(VALU_DEP_2)
	v_mul_lo_u32 v4, v3, s1
	v_add_nc_u32_e32 v6, 1, v3
	v_sub_nc_u32_e32 v4, v11, v4
	s_delay_alu instid0(VALU_DEP_1) | instskip(SKIP_1) | instid1(VALU_DEP_2)
	v_subrev_nc_u32_e32 v7, s1, v4
	v_cmp_le_u32_e32 vcc_lo, s1, v4
	v_dual_cndmask_b32 v4, v4, v7 :: v_dual_cndmask_b32 v3, v3, v6
	s_delay_alu instid0(VALU_DEP_1) | instskip(NEXT) | instid1(VALU_DEP_2)
	v_cmp_le_u32_e32 vcc_lo, s1, v4
	v_add_nc_u32_e32 v6, 1, v3
	s_delay_alu instid0(VALU_DEP_1)
	v_cndmask_b32_e32 v3, v3, v6, vcc_lo
.LBB24_23:
	s_or_b32 exec_lo, exec_lo, s0
	s_delay_alu instid0(VALU_DEP_1) | instskip(NEXT) | instid1(VALU_DEP_1)
	v_mul_lo_u32 v4, v3, s1
	v_sub_nc_u32_e32 v4, v11, v4
	s_delay_alu instid0(VALU_DEP_1) | instskip(NEXT) | instid1(VALU_DEP_1)
	v_mad_u64_u32 v[6:7], null, v4, s3, v[3:4]
	v_ashrrev_i32_e32 v7, 31, v6
	s_delay_alu instid0(VALU_DEP_1) | instskip(SKIP_1) | instid1(VALU_DEP_1)
	v_lshlrev_b64 v[3:4], 2, v[6:7]
	s_waitcnt lgkmcnt(0)
	v_add_co_u32 v3, vcc_lo, s4, v3
	s_delay_alu instid0(VALU_DEP_2)
	v_add_co_ci_u32_e32 v4, vcc_lo, s5, v4, vcc_lo
	global_store_b32 v[3:4], v5, off
.LBB24_24:
	s_or_b32 exec_lo, exec_lo, s16
	v_dual_mov_b32 v4, 0 :: v_dual_and_b32 v3, 15, v0
	s_xor_b32 s0, s15, -1
	s_waitcnt_vscnt null, 0x0
	s_barrier
	buffer_gl0_inv
	v_cmp_ne_u64_e32 vcc_lo, 0, v[3:4]
	s_or_b32 s0, s0, vcc_lo
	s_delay_alu instid0(SALU_CYCLE_1) | instskip(NEXT) | instid1(SALU_CYCLE_1)
	s_and_saveexec_b32 s1, s0
	s_xor_b32 s12, exec_lo, s1
	s_cbranch_execz .LBB24_41
; %bb.25:
	v_sub_nc_u32_e32 v3, 0, v0
	v_add_co_u32 v7, vcc_lo, s8, v1
	v_add_co_ci_u32_e32 v8, vcc_lo, s9, v2, vcc_lo
	s_delay_alu instid0(VALU_DEP_3) | instskip(SKIP_1) | instid1(VALU_DEP_1)
	v_bfe_u32 v3, v3, 1, 3
	s_mov_b32 s0, exec_lo
	v_min_i32_e32 v6, s14, v3
	s_delay_alu instid0(VALU_DEP_1)
	v_cmpx_gt_i32_e64 v6, v9
	s_cbranch_execz .LBB24_27
; %bb.26:
	v_lshl_add_u32 v0, v9, 1, v0
	ds_load_u16 v0, v0
	s_waitcnt lgkmcnt(0)
	v_lshlrev_b32_e32 v0, 16, v0
	s_delay_alu instid0(VALU_DEP_1) | instskip(SKIP_1) | instid1(VALU_DEP_2)
	v_div_scale_f32 v3, null, v5, v5, v0
	v_div_scale_f32 v12, vcc_lo, v0, v5, v0
	v_rcp_f32_e32 v4, v3
	s_waitcnt_depctr 0xfff
	v_fma_f32 v11, -v3, v4, 1.0
	s_delay_alu instid0(VALU_DEP_1) | instskip(NEXT) | instid1(VALU_DEP_1)
	v_fmac_f32_e32 v4, v11, v4
	v_mul_f32_e32 v11, v12, v4
	s_delay_alu instid0(VALU_DEP_1) | instskip(NEXT) | instid1(VALU_DEP_1)
	v_fma_f32 v13, -v3, v11, v12
	v_fmac_f32_e32 v11, v13, v4
	s_delay_alu instid0(VALU_DEP_1) | instskip(NEXT) | instid1(VALU_DEP_1)
	v_fma_f32 v3, -v3, v11, v12
	v_div_fmas_f32 v3, v3, v4, v11
	v_max_f32_e64 v4, s10, s10
	s_delay_alu instid0(VALU_DEP_2) | instskip(SKIP_1) | instid1(VALU_DEP_1)
	v_div_fixup_f32 v0, v3, v5, v0
	v_max_f32_e64 v3, s11, s11
	v_maxmin_f32 v0, v0, v4, v3
	v_add_co_u32 v3, vcc_lo, v7, v9
	v_add_co_ci_u32_e32 v4, vcc_lo, 0, v8, vcc_lo
	s_delay_alu instid0(VALU_DEP_3)
	v_cvt_i32_f32_e32 v0, v0
	global_store_b8 v[3:4], v0, off
.LBB24_27:
	s_or_b32 exec_lo, exec_lo, s0
	v_sub_nc_u32_e32 v3, s14, v6
	v_ashrrev_i32_e32 v12, 31, v6
	v_lshlrev_b32_e32 v4, 1, v6
	s_mov_b32 s13, exec_lo
	s_delay_alu instid0(VALU_DEP_3) | instskip(NEXT) | instid1(VALU_DEP_1)
	v_ashrrev_i32_e32 v0, 31, v3
	v_lshrrev_b32_e32 v0, 29, v0
	s_delay_alu instid0(VALU_DEP_1) | instskip(NEXT) | instid1(VALU_DEP_1)
	v_add_nc_u32_e32 v0, v3, v0
	v_ashrrev_i32_e32 v11, 3, v0
	s_delay_alu instid0(VALU_DEP_1)
	v_cmpx_gt_i32_e64 v11, v9
	s_cbranch_execz .LBB24_30
; %bb.28:
	v_dual_mov_b32 v15, v9 :: v_dual_lshlrev_b32 v0, 4, v9
	v_lshlrev_b32_e32 v13, 3, v9
	v_add_co_u32 v1, vcc_lo, v6, v1
	v_add_co_ci_u32_e32 v2, vcc_lo, v12, v2, vcc_lo
	s_delay_alu instid0(VALU_DEP_4) | instskip(SKIP_1) | instid1(VALU_DEP_4)
	v_lshl_add_u32 v0, v10, 1, v0
	v_lshlrev_b32_e32 v14, 1, v6
	v_add_co_u32 v1, vcc_lo, v1, v13
	s_delay_alu instid0(VALU_DEP_4) | instskip(NEXT) | instid1(VALU_DEP_3)
	v_add_co_ci_u32_e32 v13, vcc_lo, 0, v2, vcc_lo
	v_add3_u32 v2, v0, v14, 0
	s_delay_alu instid0(VALU_DEP_3) | instskip(NEXT) | instid1(VALU_DEP_3)
	v_add_co_u32 v0, vcc_lo, s8, v1
	v_add_co_ci_u32_e32 v1, vcc_lo, s9, v13, vcc_lo
	v_max_f32_e64 v13, s10, s10
	v_max_f32_e64 v14, s11, s11
	s_mov_b32 s15, 0
.LBB24_29:                              ; =>This Inner Loop Header: Depth=1
	ds_load_b128 v[16:19], v2
	s_waitcnt lgkmcnt(0)
	v_lshlrev_b32_e32 v23, 16, v19
	v_and_b32_e32 v19, 0xffff0000, v19
	v_lshlrev_b32_e32 v21, 16, v17
	s_delay_alu instid0(VALU_DEP_3) | instskip(NEXT) | instid1(VALU_DEP_3)
	v_div_scale_f32 v36, null, v5, v5, v23
	v_div_scale_f32 v38, null, v5, v5, v19
	s_delay_alu instid0(VALU_DEP_3) | instskip(NEXT) | instid1(VALU_DEP_3)
	v_div_scale_f32 v28, null, v5, v5, v21
	v_rcp_f32_e32 v46, v36
	s_delay_alu instid0(VALU_DEP_2) | instskip(NEXT) | instid1(VALU_DEP_1)
	v_rcp_f32_e32 v47, v38
	v_rcp_f32_e32 v42, v28
	s_delay_alu instid0(TRANS32_DEP_3)
	v_fma_f32 v54, -v36, v46, 1.0
	s_waitcnt_depctr 0xfff
	v_fma_f32 v55, -v38, v47, 1.0
	v_lshlrev_b32_e32 v22, 16, v18
	v_and_b32_e32 v18, 0xffff0000, v18
	v_fma_f32 v50, -v28, v42, 1.0
	s_delay_alu instid0(VALU_DEP_4) | instskip(NEXT) | instid1(VALU_DEP_4)
	v_dual_fmac_f32 v46, v54, v46 :: v_dual_fmac_f32 v47, v55, v47
	v_div_scale_f32 v32, null, v5, v5, v22
	s_delay_alu instid0(VALU_DEP_4) | instskip(NEXT) | instid1(VALU_DEP_4)
	v_div_scale_f32 v34, null, v5, v5, v18
	v_fmac_f32_e32 v42, v50, v42
	s_delay_alu instid0(VALU_DEP_3) | instskip(SKIP_1) | instid1(VALU_DEP_3)
	v_rcp_f32_e32 v44, v32
	v_div_scale_f32 v29, s2, v21, v5, v21
	v_rcp_f32_e32 v45, v34
	v_div_scale_f32 v33, s4, v22, v5, v22
	v_div_scale_f32 v37, s6, v23, v5, v23
	s_waitcnt_depctr 0xfff
	v_fma_f32 v52, -v32, v44, 1.0
	v_and_b32_e32 v17, 0xffff0000, v17
	v_fma_f32 v53, -v34, v45, 1.0
	s_delay_alu instid0(VALU_DEP_3) | instskip(NEXT) | instid1(VALU_DEP_3)
	v_fmac_f32_e32 v44, v52, v44
	v_div_scale_f32 v30, null, v5, v5, v17
	v_div_scale_f32 v31, s3, v17, v5, v17
	s_delay_alu instid0(VALU_DEP_4) | instskip(NEXT) | instid1(VALU_DEP_3)
	v_fmac_f32_e32 v45, v53, v45
	v_rcp_f32_e32 v43, v30
	s_waitcnt_depctr 0xfff
	v_fma_f32 v51, -v30, v43, 1.0
	v_lshlrev_b32_e32 v20, 16, v16
	s_delay_alu instid0(VALU_DEP_2) | instskip(NEXT) | instid1(VALU_DEP_2)
	v_dual_fmac_f32 v43, v51, v43 :: v_dual_and_b32 v16, 0xffff0000, v16
	v_div_scale_f32 v24, null, v5, v5, v20
	s_delay_alu instid0(VALU_DEP_2) | instskip(SKIP_1) | instid1(VALU_DEP_3)
	v_div_scale_f32 v26, null, v5, v5, v16
	v_div_scale_f32 v25, vcc_lo, v20, v5, v20
	v_rcp_f32_e32 v40, v24
	s_delay_alu instid0(VALU_DEP_2) | instskip(SKIP_2) | instid1(VALU_DEP_1)
	v_rcp_f32_e32 v41, v26
	v_div_scale_f32 v27, s1, v16, v5, v16
	v_dual_mul_f32 v50, v29, v42 :: v_dual_mul_f32 v51, v31, v43
	v_fma_f32 v58, -v28, v50, v29
	s_waitcnt_depctr 0xfff
	v_fma_f32 v48, -v24, v40, 1.0
	v_fma_f32 v49, -v26, v41, 1.0
	v_add_nc_u32_e32 v15, 16, v15
	v_add_nc_u32_e32 v2, 0x100, v2
	v_fma_f32 v59, -v30, v51, v31
	s_delay_alu instid0(VALU_DEP_4) | instskip(SKIP_2) | instid1(VALU_DEP_3)
	v_dual_fmac_f32 v40, v48, v40 :: v_dual_fmac_f32 v41, v49, v41
	v_fmac_f32_e32 v50, v58, v42
	v_cmp_ge_i32_e64 s0, v15, v11
	v_dual_fmac_f32 v51, v59, v43 :: v_dual_mul_f32 v48, v25, v40
	s_delay_alu instid0(VALU_DEP_4) | instskip(SKIP_2) | instid1(VALU_DEP_4)
	v_mul_f32_e32 v49, v27, v41
	v_div_scale_f32 v35, s5, v18, v5, v18
	v_mul_f32_e32 v52, v33, v44
	v_fma_f32 v56, -v24, v48, v25
	s_delay_alu instid0(VALU_DEP_4) | instskip(NEXT) | instid1(VALU_DEP_4)
	v_fma_f32 v57, -v26, v49, v27
	v_mul_f32_e32 v53, v35, v45
	v_div_scale_f32 v39, s7, v19, v5, v19
	s_delay_alu instid0(VALU_DEP_3) | instskip(NEXT) | instid1(VALU_DEP_2)
	v_dual_fmac_f32 v48, v56, v40 :: v_dual_fmac_f32 v49, v57, v41
	v_dual_mul_f32 v54, v37, v46 :: v_dual_mul_f32 v55, v39, v47
	v_fma_f32 v60, -v32, v52, v33
	v_fma_f32 v61, -v34, v53, v35
	s_delay_alu instid0(VALU_DEP_4) | instskip(NEXT) | instid1(VALU_DEP_4)
	v_fma_f32 v24, -v24, v48, v25
	v_fma_f32 v62, -v36, v54, v37
	;; [unrolled: 1-line block ×3, first 2 shown]
	s_delay_alu instid0(VALU_DEP_4)
	v_dual_fmac_f32 v52, v60, v44 :: v_dual_fmac_f32 v53, v61, v45
	v_fma_f32 v26, -v28, v50, v29
	v_div_fmas_f32 v24, v24, v40, v48
	s_mov_b32 vcc_lo, s1
	v_fma_f32 v27, -v30, v51, v31
	v_fma_f32 v63, -v38, v55, v39
	v_fmac_f32_e32 v54, v62, v46
	v_div_fmas_f32 v25, v25, v41, v49
	s_mov_b32 vcc_lo, s2
	v_fma_f32 v28, -v32, v52, v33
	v_fmac_f32_e32 v55, v63, v47
	v_div_fmas_f32 v26, v26, v42, v50
	s_mov_b32 vcc_lo, s3
	v_fma_f32 v29, -v34, v53, v35
	v_div_fixup_f32 v20, v24, v5, v20
	v_div_fmas_f32 v24, v27, v43, v51
	s_mov_b32 vcc_lo, s4
	v_fma_f32 v30, -v36, v54, v37
	v_div_fixup_f32 v16, v25, v5, v16
	v_div_fmas_f32 v25, v28, v44, v52
	s_mov_b32 vcc_lo, s5
	v_div_fixup_f32 v21, v26, v5, v21
	v_div_fmas_f32 v26, v29, v45, v53
	s_mov_b32 vcc_lo, s6
	v_fma_f32 v31, -v38, v55, v39
	v_div_fixup_f32 v17, v24, v5, v17
	v_div_fmas_f32 v24, v30, v46, v54
	s_mov_b32 vcc_lo, s7
	v_maxmin_f32 v16, v16, v13, v14
	v_div_fixup_f32 v22, v25, v5, v22
	v_maxmin_f32 v21, v21, v13, v14
	v_div_fmas_f32 v25, v31, v47, v55
	v_div_fixup_f32 v18, v26, v5, v18
	v_div_fixup_f32 v23, v24, v5, v23
	v_maxmin_f32 v17, v17, v13, v14
	v_cvt_i32_f32_e32 v16, v16
	v_cvt_i32_f32_e32 v21, v21
	v_div_fixup_f32 v19, v25, v5, v19
	v_maxmin_f32 v18, v18, v13, v14
	v_maxmin_f32 v23, v23, v13, v14
	v_cvt_i32_f32_e32 v17, v17
	v_and_b32_e32 v16, 0xff, v16
	v_maxmin_f32 v19, v19, v13, v14
	v_and_b32_e32 v21, 0xff, v21
	v_cvt_i32_f32_e32 v18, v18
	v_cvt_i32_f32_e32 v23, v23
	v_maxmin_f32 v20, v20, v13, v14
	v_maxmin_f32 v22, v22, v13, v14
	v_lshlrev_b32_e32 v17, 24, v17
	v_lshlrev_b32_e32 v16, 8, v16
	v_cvt_i32_f32_e32 v19, v19
	v_lshlrev_b32_e32 v21, 16, v21
	v_and_b32_e32 v18, 0xff, v18
	v_and_b32_e32 v23, 0xff, v23
	v_cvt_i32_f32_e32 v20, v20
	v_cvt_i32_f32_e32 v22, v22
	v_lshlrev_b32_e32 v19, 24, v19
	v_or3_b32 v16, v17, v21, v16
	v_lshlrev_b32_e32 v17, 8, v18
	v_lshlrev_b32_e32 v18, 16, v23
	v_and_b32_e32 v20, 0xff, v20
	v_and_b32_e32 v22, 0xff, v22
	s_or_b32 s15, s0, s15
	s_delay_alu instid0(VALU_DEP_3) | instskip(NEXT) | instid1(VALU_DEP_3)
	v_or_b32_e32 v18, v19, v18
	v_or_b32_e32 v16, v16, v20
	s_delay_alu instid0(VALU_DEP_2)
	v_or3_b32 v17, v18, v17, v22
	global_store_b64 v[0:1], v[16:17], off
	v_add_co_u32 v0, vcc_lo, 0x80, v0
	v_add_co_ci_u32_e32 v1, vcc_lo, 0, v1, vcc_lo
	s_and_not1_b32 exec_lo, exec_lo, s15
	s_cbranch_execnz .LBB24_29
.LBB24_30:
	s_or_b32 exec_lo, exec_lo, s13
	v_lshlrev_b32_e32 v2, 3, v11
	s_mov_b32 s2, exec_lo
	s_delay_alu instid0(VALU_DEP_1) | instskip(NEXT) | instid1(VALU_DEP_1)
	v_add_nc_u32_e32 v0, v2, v9
	v_cmpx_lt_i32_e64 v0, v3
	s_cbranch_execz .LBB24_40
; %bb.31:
	v_add_nc_u32_e32 v1, 16, v0
	v_add_co_u32 v7, vcc_lo, v7, v6
	v_add_co_ci_u32_e32 v8, vcc_lo, v8, v12, vcc_lo
	s_delay_alu instid0(VALU_DEP_3) | instskip(SKIP_2) | instid1(VALU_DEP_1)
	v_max_i32_e32 v13, v1, v3
	s_mov_b32 s0, 0
                                        ; implicit-def: $vgpr12
	s_mov_b32 s1, exec_lo
	v_xad_u32 v13, v9, -1, v13
	s_delay_alu instid0(VALU_DEP_1) | instskip(NEXT) | instid1(VALU_DEP_1)
	v_sub_nc_u32_e32 v2, v13, v2
	v_cmpx_lt_u32_e32 15, v2
	s_xor_b32 s3, exec_lo, s1
	s_cbranch_execnz .LBB24_34
; %bb.32:
	s_and_not1_saveexec_b32 s1, s3
	s_cbranch_execnz .LBB24_37
.LBB24_33:
	s_or_b32 exec_lo, exec_lo, s1
	s_delay_alu instid0(SALU_CYCLE_1)
	s_and_b32 exec_lo, exec_lo, s0
	s_cbranch_execnz .LBB24_38
	s_branch .LBB24_40
.LBB24_34:
	v_lshrrev_b32_e32 v2, 4, v2
	v_lshlrev_b32_e32 v4, 1, v6
	v_lshlrev_b32_e32 v11, 4, v11
	s_mov_b32 s0, s10
	s_mov_b32 s1, s10
	v_add_nc_u32_e32 v6, 1, v2
	v_lshlrev_b32_e32 v2, 1, v9
	s_mov_b32 s4, s11
	s_mov_b32 s5, s11
	v_max_f32_e64 v13, s1, s1
	v_and_b32_e32 v9, 0x1ffffffe, v6
	v_lshlrev_b32_e32 v12, 1, v10
	v_mov_b32_e32 v10, v5
	v_max_f32_e64 v14, s0, s0
	v_max_f32_e64 v15, s4, s4
	v_mov_b32_e32 v17, v9
	v_add3_u32 v11, v12, v11, v4
	v_max_f32_e64 v16, s5, s5
	s_mov_b32 s4, 0
	s_delay_alu instid0(VALU_DEP_2)
	v_add3_u32 v11, v11, v2, 0
	v_mov_b32_e32 v2, v1
	v_mov_b32_e32 v1, v0
.LBB24_35:                              ; =>This Inner Loop Header: Depth=1
	ds_load_u16 v19, v11 offset:32
	ds_load_u16 v20, v11
	v_ashrrev_i32_e32 v21, 31, v2
	v_mov_b32_e32 v22, v2
	v_ashrrev_i32_e32 v23, 31, v1
	v_add_co_u32 v18, s0, v7, v1
	v_add_nc_u32_e32 v1, 32, v1
	v_add_nc_u32_e32 v11, 64, v11
	s_waitcnt lgkmcnt(1)
	v_lshlrev_b32_e32 v24, 16, v19
	s_waitcnt lgkmcnt(0)
	v_lshlrev_b32_e32 v20, 16, v20
	s_delay_alu instid0(VALU_DEP_2) | instskip(NEXT) | instid1(VALU_DEP_2)
	v_div_scale_f32 v19, null, v10, v10, v24
	v_div_scale_f32 v25, null, v5, v5, v20
	v_div_scale_f32 v29, s1, v20, v5, v20
	s_delay_alu instid0(VALU_DEP_3) | instskip(NEXT) | instid1(VALU_DEP_2)
	v_rcp_f32_e32 v26, v19
	v_rcp_f32_e32 v27, v25
	v_div_scale_f32 v28, vcc_lo, v24, v10, v24
	s_waitcnt_depctr 0xfff
	v_fma_f32 v30, -v19, v26, 1.0
	v_fma_f32 v31, -v25, v27, 1.0
	v_add_nc_u32_e32 v2, 32, v2
	s_delay_alu instid0(VALU_DEP_3) | instskip(NEXT) | instid1(VALU_DEP_3)
	v_dual_fmac_f32 v26, v30, v26 :: v_dual_add_nc_u32 v17, -2, v17
	v_fmac_f32_e32 v27, v31, v27
	s_delay_alu instid0(VALU_DEP_1) | instskip(NEXT) | instid1(VALU_DEP_1)
	v_mul_f32_e32 v31, v29, v27
	v_fma_f32 v33, -v25, v31, v29
	s_delay_alu instid0(VALU_DEP_1) | instskip(NEXT) | instid1(VALU_DEP_1)
	v_dual_mul_f32 v30, v28, v26 :: v_dual_fmac_f32 v31, v33, v27
	v_fma_f32 v32, -v19, v30, v28
	s_delay_alu instid0(VALU_DEP_2) | instskip(NEXT) | instid1(VALU_DEP_2)
	v_fma_f32 v25, -v25, v31, v29
	v_fmac_f32_e32 v30, v32, v26
	s_delay_alu instid0(VALU_DEP_1) | instskip(NEXT) | instid1(VALU_DEP_1)
	v_fma_f32 v19, -v19, v30, v28
	v_div_fmas_f32 v26, v19, v26, v30
	s_mov_b32 vcc_lo, s1
	v_div_fmas_f32 v25, v25, v27, v31
	v_add_co_ci_u32_e64 v19, vcc_lo, v8, v23, s0
	s_delay_alu instid0(VALU_DEP_3) | instskip(NEXT) | instid1(VALU_DEP_3)
	v_div_fixup_f32 v23, v26, v10, v24
	v_div_fixup_f32 v24, v25, v5, v20
	v_add_co_u32 v20, vcc_lo, v7, v22
	s_delay_alu instid0(VALU_DEP_3) | instskip(SKIP_1) | instid1(VALU_DEP_4)
	v_maxmin_f32 v22, v23, v13, v16
	v_add_co_ci_u32_e32 v21, vcc_lo, v8, v21, vcc_lo
	v_maxmin_f32 v23, v24, v14, v15
	v_cmp_eq_u32_e32 vcc_lo, 0, v17
	s_delay_alu instid0(VALU_DEP_4) | instskip(NEXT) | instid1(VALU_DEP_3)
	v_cvt_i32_f32_e32 v22, v22
	v_cvt_i32_f32_e32 v23, v23
	s_or_b32 s4, vcc_lo, s4
	s_clause 0x1
	global_store_b8 v[18:19], v23, off
	global_store_b8 v[20:21], v22, off
	s_and_not1_b32 exec_lo, exec_lo, s4
	s_cbranch_execnz .LBB24_35
; %bb.36:
	s_or_b32 exec_lo, exec_lo, s4
	v_cmp_ne_u32_e32 vcc_lo, v6, v9
	v_lshl_add_u32 v0, v9, 4, v0
                                        ; implicit-def: $vgpr10
	s_and_b32 s0, vcc_lo, exec_lo
	s_and_not1_saveexec_b32 s1, s3
	s_cbranch_execz .LBB24_33
.LBB24_37:
	v_lshlrev_b32_e32 v12, 1, v10
	s_or_b32 s0, s0, exec_lo
	s_or_b32 exec_lo, exec_lo, s1
	s_delay_alu instid0(SALU_CYCLE_1)
	s_and_b32 exec_lo, exec_lo, s0
	s_cbranch_execz .LBB24_40
.LBB24_38:
	v_lshl_add_u32 v6, v0, 1, v12
	v_ashrrev_i32_e32 v1, 31, v0
	v_max_f32_e64 v2, s10, s10
	s_mov_b32 s1, 0
	s_delay_alu instid0(VALU_DEP_3)
	v_add3_u32 v4, v6, v4, 0
	v_max_f32_e64 v6, s11, s11
	s_set_inst_prefetch_distance 0x1
	.p2align	6
.LBB24_39:                              ; =>This Inner Loop Header: Depth=1
	ds_load_u16 v9, v4
	v_add_nc_u32_e32 v4, 32, v4
	s_waitcnt lgkmcnt(0)
	v_lshlrev_b32_e32 v10, 16, v9
	s_delay_alu instid0(VALU_DEP_1) | instskip(NEXT) | instid1(VALU_DEP_1)
	v_div_scale_f32 v9, null, v5, v5, v10
	v_rcp_f32_e32 v11, v9
	s_waitcnt_depctr 0xfff
	v_fma_f32 v12, -v9, v11, 1.0
	s_delay_alu instid0(VALU_DEP_1) | instskip(SKIP_1) | instid1(VALU_DEP_1)
	v_fmac_f32_e32 v11, v12, v11
	v_div_scale_f32 v13, vcc_lo, v10, v5, v10
	v_mul_f32_e32 v12, v13, v11
	s_delay_alu instid0(VALU_DEP_1) | instskip(NEXT) | instid1(VALU_DEP_1)
	v_fma_f32 v14, -v9, v12, v13
	v_fmac_f32_e32 v12, v14, v11
	s_delay_alu instid0(VALU_DEP_1) | instskip(NEXT) | instid1(VALU_DEP_1)
	v_fma_f32 v9, -v9, v12, v13
	v_div_fmas_f32 v11, v9, v11, v12
	v_add_co_u32 v9, vcc_lo, v7, v0
	v_add_co_u32 v0, s0, v0, 16
	s_delay_alu instid0(VALU_DEP_3) | instskip(SKIP_2) | instid1(VALU_DEP_3)
	v_div_fixup_f32 v11, v11, v5, v10
	v_add_co_ci_u32_e32 v10, vcc_lo, v8, v1, vcc_lo
	v_add_co_ci_u32_e64 v1, vcc_lo, 0, v1, s0
	v_maxmin_f32 v11, v11, v2, v6
	v_cmp_ge_i32_e32 vcc_lo, v0, v3
	s_delay_alu instid0(VALU_DEP_2)
	v_cvt_i32_f32_e32 v11, v11
	s_or_b32 s1, vcc_lo, s1
	global_store_b8 v[9:10], v11, off
	s_and_not1_b32 exec_lo, exec_lo, s1
	s_cbranch_execnz .LBB24_39
.LBB24_40:
	s_set_inst_prefetch_distance 0x2
	s_or_b32 exec_lo, exec_lo, s2
                                        ; implicit-def: $vgpr9
                                        ; implicit-def: $vgpr5
                                        ; implicit-def: $vgpr10
                                        ; implicit-def: $vgpr1_vgpr2
.LBB24_41:
	s_and_not1_saveexec_b32 s0, s12
	s_cbranch_execz .LBB24_45
; %bb.42:
	s_ashr_i32 s12, s14, 3
	s_mov_b32 s0, exec_lo
	v_cmpx_gt_i32_e64 s12, v9
	s_cbranch_execz .LBB24_45
; %bb.43:
	v_lshlrev_b32_e32 v0, 3, v9
	v_lshlrev_b32_e32 v3, 1, v10
	;; [unrolled: 1-line block ×3, first 2 shown]
	s_delay_alu instid0(VALU_DEP_3) | instskip(SKIP_1) | instid1(VALU_DEP_3)
	v_add_co_u32 v0, vcc_lo, v1, v0
	v_add_co_ci_u32_e32 v1, vcc_lo, 0, v2, vcc_lo
	v_add3_u32 v2, v3, v4, 0
	s_delay_alu instid0(VALU_DEP_3) | instskip(NEXT) | instid1(VALU_DEP_3)
	v_add_co_u32 v0, vcc_lo, s8, v0
	v_add_co_ci_u32_e32 v1, vcc_lo, s9, v1, vcc_lo
	v_max_f32_e64 v3, s10, s10
	v_max_f32_e64 v4, s11, s11
	s_mov_b32 s8, 0
.LBB24_44:                              ; =>This Inner Loop Header: Depth=1
	ds_load_b128 v[10:13], v2
	s_waitcnt lgkmcnt(0)
	v_lshlrev_b32_e32 v14, 16, v13
	v_and_b32_e32 v7, 0xffff0000, v10
	v_and_b32_e32 v13, 0xffff0000, v13
	s_delay_alu instid0(VALU_DEP_3) | instskip(NEXT) | instid1(VALU_DEP_2)
	v_div_scale_f32 v27, null, v5, v5, v14
	v_div_scale_f32 v29, null, v5, v5, v13
	s_delay_alu instid0(VALU_DEP_2) | instskip(NEXT) | instid1(VALU_DEP_1)
	v_rcp_f32_e32 v37, v27
	v_rcp_f32_e32 v38, v29
	s_waitcnt_depctr 0xfff
	v_fma_f32 v45, -v27, v37, 1.0
	v_lshlrev_b32_e32 v8, 16, v11
	v_fma_f32 v46, -v29, v38, 1.0
	s_delay_alu instid0(VALU_DEP_3) | instskip(NEXT) | instid1(VALU_DEP_3)
	v_fmac_f32_e32 v37, v45, v37
	v_div_scale_f32 v19, null, v5, v5, v8
	v_div_scale_f32 v20, s2, v8, v5, v8
	s_delay_alu instid0(VALU_DEP_4) | instskip(NEXT) | instid1(VALU_DEP_3)
	v_fmac_f32_e32 v38, v46, v38
	v_rcp_f32_e32 v33, v19
	v_div_scale_f32 v30, s7, v13, v5, v13
	s_waitcnt_depctr 0xfff
	v_fma_f32 v41, -v19, v33, 1.0
	s_delay_alu instid0(VALU_DEP_1) | instskip(SKIP_1) | instid1(VALU_DEP_2)
	v_dual_fmac_f32 v33, v41, v33 :: v_dual_lshlrev_b32 v6, 16, v10
	v_and_b32_e32 v10, 0xffff0000, v11
	v_div_scale_f32 v15, null, v5, v5, v6
	v_div_scale_f32 v16, vcc_lo, v6, v5, v6
	s_delay_alu instid0(VALU_DEP_4) | instskip(NEXT) | instid1(VALU_DEP_4)
	v_mul_f32_e32 v41, v20, v33
	v_div_scale_f32 v21, null, v5, v5, v10
	s_delay_alu instid0(VALU_DEP_4) | instskip(SKIP_1) | instid1(VALU_DEP_2)
	v_rcp_f32_e32 v31, v15
	v_div_scale_f32 v22, s3, v10, v5, v10
	v_rcp_f32_e32 v34, v21
	v_fma_f32 v49, -v19, v41, v20
	s_delay_alu instid0(VALU_DEP_1)
	v_dual_mul_f32 v46, v30, v38 :: v_dual_fmac_f32 v41, v49, v33
	s_waitcnt_depctr 0xfff
	v_fma_f32 v39, -v15, v31, 1.0
	v_add_nc_u32_e32 v2, 0x100, v2
	v_fma_f32 v54, -v29, v46, v30
	v_fma_f32 v42, -v21, v34, 1.0
	v_lshlrev_b32_e32 v11, 16, v12
	s_delay_alu instid0(VALU_DEP_2) | instskip(NEXT) | instid1(VALU_DEP_2)
	v_dual_fmac_f32 v31, v39, v31 :: v_dual_fmac_f32 v34, v42, v34
	v_div_scale_f32 v23, null, v5, v5, v11
	s_delay_alu instid0(VALU_DEP_2) | instskip(SKIP_1) | instid1(VALU_DEP_3)
	v_mul_f32_e32 v39, v16, v31
	v_div_scale_f32 v24, s4, v11, v5, v11
	v_rcp_f32_e32 v35, v23
	v_div_scale_f32 v28, s6, v14, v5, v14
	s_delay_alu instid0(VALU_DEP_3) | instskip(NEXT) | instid1(VALU_DEP_2)
	v_fma_f32 v47, -v15, v39, v16
	v_dual_mul_f32 v42, v22, v34 :: v_dual_mul_f32 v45, v28, v37
	s_delay_alu instid0(VALU_DEP_2) | instskip(NEXT) | instid1(VALU_DEP_2)
	v_fmac_f32_e32 v39, v47, v31
	v_fma_f32 v50, -v21, v42, v22
	s_waitcnt_depctr 0xfff
	v_fma_f32 v43, -v23, v35, 1.0
	v_and_b32_e32 v12, 0xffff0000, v12
	v_fma_f32 v53, -v27, v45, v28
	v_fma_f32 v15, -v15, v39, v16
	s_delay_alu instid0(VALU_DEP_4) | instskip(NEXT) | instid1(VALU_DEP_4)
	v_dual_fmac_f32 v42, v50, v34 :: v_dual_fmac_f32 v35, v43, v35
	v_div_scale_f32 v25, null, v5, v5, v12
	s_delay_alu instid0(VALU_DEP_4) | instskip(SKIP_1) | instid1(VALU_DEP_3)
	v_fmac_f32_e32 v45, v53, v37
	v_div_scale_f32 v26, s5, v12, v5, v12
	v_rcp_f32_e32 v36, v25
	v_div_fmas_f32 v15, v15, v31, v39
	v_mul_f32_e32 v43, v24, v35
	s_delay_alu instid0(VALU_DEP_2) | instskip(NEXT) | instid1(VALU_DEP_2)
	v_div_fixup_f32 v6, v15, v5, v6
	v_fma_f32 v51, -v23, v43, v24
	s_waitcnt_depctr 0xfff
	v_fma_f32 v44, -v25, v36, 1.0
	v_maxmin_f32 v6, v6, v3, v4
	s_delay_alu instid0(VALU_DEP_2) | instskip(SKIP_2) | instid1(VALU_DEP_3)
	v_dual_fmac_f32 v43, v51, v35 :: v_dual_fmac_f32 v36, v44, v36
	v_div_scale_f32 v17, null, v5, v5, v7
	v_div_scale_f32 v18, s1, v7, v5, v7
	v_mul_f32_e32 v44, v26, v36
	s_delay_alu instid0(VALU_DEP_3) | instskip(SKIP_2) | instid1(VALU_DEP_2)
	v_rcp_f32_e32 v32, v17
	s_mov_b32 vcc_lo, s1
	v_cvt_i32_f32_e32 v6, v6
	v_fma_f32 v52, -v25, v44, v26
	s_delay_alu instid0(VALU_DEP_2) | instskip(SKIP_2) | instid1(VALU_DEP_1)
	v_and_b32_e32 v6, 0xff, v6
	s_waitcnt_depctr 0xfff
	v_fma_f32 v40, -v17, v32, 1.0
	v_dual_fmac_f32 v32, v40, v32 :: v_dual_add_nc_u32 v9, 16, v9
	s_delay_alu instid0(VALU_DEP_1) | instskip(NEXT) | instid1(VALU_DEP_2)
	v_cmp_le_i32_e64 s0, s12, v9
	v_mul_f32_e32 v40, v18, v32
	s_delay_alu instid0(VALU_DEP_2) | instskip(NEXT) | instid1(VALU_DEP_1)
	s_or_b32 s8, s0, s8
	v_fma_f32 v48, -v17, v40, v18
	s_delay_alu instid0(VALU_DEP_1) | instskip(NEXT) | instid1(VALU_DEP_1)
	v_fmac_f32_e32 v40, v48, v32
	v_fma_f32 v16, -v17, v40, v18
	v_fma_f32 v17, -v19, v41, v20
	v_fma_f32 v18, -v21, v42, v22
	v_fma_f32 v19, -v23, v43, v24
	v_fma_f32 v21, -v27, v45, v28
	v_div_fmas_f32 v16, v16, v32, v40
	s_mov_b32 vcc_lo, s2
	v_div_fmas_f32 v17, v17, v33, v41
	s_mov_b32 vcc_lo, s3
	s_delay_alu instid0(VALU_DEP_2)
	v_div_fixup_f32 v7, v16, v5, v7
	v_div_fmas_f32 v15, v18, v34, v42
	s_mov_b32 vcc_lo, s4
	v_div_fixup_f32 v8, v17, v5, v8
	v_div_fmas_f32 v16, v19, v35, v43
	v_maxmin_f32 v7, v7, v3, v4
	s_mov_b32 vcc_lo, s5
	v_div_fixup_f32 v10, v15, v5, v10
	v_maxmin_f32 v8, v8, v3, v4
	v_div_fixup_f32 v11, v16, v5, v11
	v_cvt_i32_f32_e32 v7, v7
	v_fmac_f32_e32 v44, v52, v36
	v_maxmin_f32 v10, v10, v3, v4
	v_cvt_i32_f32_e32 v8, v8
	v_maxmin_f32 v11, v11, v3, v4
	v_and_b32_e32 v7, 0xff, v7
	v_fma_f32 v20, -v25, v44, v26
	v_fmac_f32_e32 v46, v54, v38
	v_cvt_i32_f32_e32 v10, v10
	v_and_b32_e32 v8, 0xff, v8
	v_lshlrev_b32_e32 v7, 8, v7
	v_div_fmas_f32 v17, v20, v36, v44
	s_mov_b32 vcc_lo, s6
	v_fma_f32 v22, -v29, v46, v30
	v_div_fmas_f32 v15, v21, v37, v45
	s_mov_b32 vcc_lo, s7
	v_div_fixup_f32 v12, v17, v5, v12
	v_lshlrev_b32_e32 v10, 24, v10
	v_div_fmas_f32 v16, v22, v38, v46
	v_div_fixup_f32 v14, v15, v5, v14
	v_lshlrev_b32_e32 v8, 16, v8
	v_maxmin_f32 v12, v12, v3, v4
	v_cvt_i32_f32_e32 v11, v11
	v_div_fixup_f32 v13, v16, v5, v13
	v_maxmin_f32 v14, v14, v3, v4
	v_or3_b32 v7, v10, v8, v7
	v_cvt_i32_f32_e32 v12, v12
	v_and_b32_e32 v11, 0xff, v11
	v_maxmin_f32 v13, v13, v3, v4
	v_cvt_i32_f32_e32 v14, v14
	v_or_b32_e32 v6, v7, v6
	v_and_b32_e32 v12, 0xff, v12
	s_delay_alu instid0(VALU_DEP_4) | instskip(NEXT) | instid1(VALU_DEP_4)
	v_cvt_i32_f32_e32 v13, v13
	v_and_b32_e32 v14, 0xff, v14
	s_delay_alu instid0(VALU_DEP_3) | instskip(NEXT) | instid1(VALU_DEP_3)
	v_lshlrev_b32_e32 v8, 8, v12
	v_lshlrev_b32_e32 v13, 24, v13
	s_delay_alu instid0(VALU_DEP_3) | instskip(NEXT) | instid1(VALU_DEP_1)
	v_lshlrev_b32_e32 v10, 16, v14
	v_or_b32_e32 v7, v13, v10
	s_delay_alu instid0(VALU_DEP_1)
	v_or3_b32 v7, v7, v8, v11
	global_store_b64 v[0:1], v[6:7], off
	v_add_co_u32 v0, vcc_lo, 0x80, v0
	v_add_co_ci_u32_e32 v1, vcc_lo, 0, v1, vcc_lo
	s_and_not1_b32 exec_lo, exec_lo, s8
	s_cbranch_execnz .LBB24_44
.LBB24_45:
	s_nop 0
	s_sendmsg sendmsg(MSG_DEALLOC_VGPRS)
	s_endpgm
	.section	.rodata,"a",@progbits
	.p2align	6, 0x0
	.amdhsa_kernel _Z33per_token_group_quant_8bit_kernelIN3c108BFloat16EaLb1ELb1EfEvPKT_PvPT3_iiifffii
		.amdhsa_group_segment_fixed_size 0
		.amdhsa_private_segment_fixed_size 0
		.amdhsa_kernarg_size 56
		.amdhsa_user_sgpr_count 15
		.amdhsa_user_sgpr_dispatch_ptr 0
		.amdhsa_user_sgpr_queue_ptr 0
		.amdhsa_user_sgpr_kernarg_segment_ptr 1
		.amdhsa_user_sgpr_dispatch_id 0
		.amdhsa_user_sgpr_private_segment_size 0
		.amdhsa_wavefront_size32 1
		.amdhsa_uses_dynamic_stack 0
		.amdhsa_enable_private_segment 0
		.amdhsa_system_sgpr_workgroup_id_x 1
		.amdhsa_system_sgpr_workgroup_id_y 0
		.amdhsa_system_sgpr_workgroup_id_z 0
		.amdhsa_system_sgpr_workgroup_info 0
		.amdhsa_system_vgpr_workitem_id 0
		.amdhsa_next_free_vgpr 64
		.amdhsa_next_free_sgpr 17
		.amdhsa_reserve_vcc 1
		.amdhsa_float_round_mode_32 0
		.amdhsa_float_round_mode_16_64 0
		.amdhsa_float_denorm_mode_32 3
		.amdhsa_float_denorm_mode_16_64 3
		.amdhsa_dx10_clamp 1
		.amdhsa_ieee_mode 1
		.amdhsa_fp16_overflow 0
		.amdhsa_workgroup_processor_mode 1
		.amdhsa_memory_ordered 1
		.amdhsa_forward_progress 0
		.amdhsa_shared_vgpr_count 0
		.amdhsa_exception_fp_ieee_invalid_op 0
		.amdhsa_exception_fp_denorm_src 0
		.amdhsa_exception_fp_ieee_div_zero 0
		.amdhsa_exception_fp_ieee_overflow 0
		.amdhsa_exception_fp_ieee_underflow 0
		.amdhsa_exception_fp_ieee_inexact 0
		.amdhsa_exception_int_div_zero 0
	.end_amdhsa_kernel
	.section	.text._Z33per_token_group_quant_8bit_kernelIN3c108BFloat16EaLb1ELb1EfEvPKT_PvPT3_iiifffii,"axG",@progbits,_Z33per_token_group_quant_8bit_kernelIN3c108BFloat16EaLb1ELb1EfEvPKT_PvPT3_iiifffii,comdat
.Lfunc_end24:
	.size	_Z33per_token_group_quant_8bit_kernelIN3c108BFloat16EaLb1ELb1EfEvPKT_PvPT3_iiifffii, .Lfunc_end24-_Z33per_token_group_quant_8bit_kernelIN3c108BFloat16EaLb1ELb1EfEvPKT_PvPT3_iiifffii
                                        ; -- End function
	.section	.AMDGPU.csdata,"",@progbits
; Kernel info:
; codeLenInByte = 6084
; NumSgprs: 19
; NumVgprs: 64
; ScratchSize: 0
; MemoryBound: 0
; FloatMode: 240
; IeeeMode: 1
; LDSByteSize: 0 bytes/workgroup (compile time only)
; SGPRBlocks: 2
; VGPRBlocks: 7
; NumSGPRsForWavesPerEU: 19
; NumVGPRsForWavesPerEU: 64
; Occupancy: 16
; WaveLimiterHint : 0
; COMPUTE_PGM_RSRC2:SCRATCH_EN: 0
; COMPUTE_PGM_RSRC2:USER_SGPR: 15
; COMPUTE_PGM_RSRC2:TRAP_HANDLER: 0
; COMPUTE_PGM_RSRC2:TGID_X_EN: 1
; COMPUTE_PGM_RSRC2:TGID_Y_EN: 0
; COMPUTE_PGM_RSRC2:TGID_Z_EN: 0
; COMPUTE_PGM_RSRC2:TIDIG_COMP_CNT: 0
	.section	.text._Z33per_token_group_quant_8bit_kernelIN3c108BFloat16EaLb1ELb0EfEvPKT_PvPT3_iiifffii,"axG",@progbits,_Z33per_token_group_quant_8bit_kernelIN3c108BFloat16EaLb1ELb0EfEvPKT_PvPT3_iiifffii,comdat
	.protected	_Z33per_token_group_quant_8bit_kernelIN3c108BFloat16EaLb1ELb0EfEvPKT_PvPT3_iiifffii ; -- Begin function _Z33per_token_group_quant_8bit_kernelIN3c108BFloat16EaLb1ELb0EfEvPKT_PvPT3_iiifffii
	.globl	_Z33per_token_group_quant_8bit_kernelIN3c108BFloat16EaLb1ELb0EfEvPKT_PvPT3_iiifffii
	.p2align	8
	.type	_Z33per_token_group_quant_8bit_kernelIN3c108BFloat16EaLb1ELb0EfEvPKT_PvPT3_iiifffii,@function
_Z33per_token_group_quant_8bit_kernelIN3c108BFloat16EaLb1ELb0EfEvPKT_PvPT3_iiifffii: ; @_Z33per_token_group_quant_8bit_kernelIN3c108BFloat16EaLb1ELb0EfEvPKT_PvPT3_iiifffii
; %bb.0:
	s_clause 0x1
	s_load_b128 s[8:11], s[0:1], 0x20
	s_load_b32 s14, s[0:1], 0x18
	v_lshrrev_b32_e32 v7, 4, v0
	s_load_b64 s[2:3], s[0:1], 0x30
	v_and_b32_e32 v9, 15, v0
                                        ; implicit-def: $vgpr13
	s_waitcnt lgkmcnt(0)
	s_mul_i32 s15, s15, s8
	s_ashr_i32 s6, s14, 31
	v_add_co_u32 v11, s4, s15, v7
	s_delay_alu instid0(VALU_DEP_1) | instskip(SKIP_1) | instid1(VALU_DEP_2)
	v_add_co_ci_u32_e64 v12, null, 0, 0, s4
	s_load_b64 s[4:5], s[0:1], 0x0
	v_mul_lo_u32 v4, v11, s6
	v_mad_u64_u32 v[1:2], null, v11, s14, 0
	s_delay_alu instid0(VALU_DEP_3) | instskip(SKIP_2) | instid1(SALU_CYCLE_1)
	v_mul_lo_u32 v3, v12, s14
	v_mul_lo_u32 v10, v7, s14
	s_and_b32 s6, s14, 7
	s_cmp_eq_u32 s6, 0
	s_cselect_b32 s15, -1, 0
	s_cmp_lg_u32 s6, 0
	s_delay_alu instid0(VALU_DEP_2) | instskip(NEXT) | instid1(VALU_DEP_2)
	v_add3_u32 v2, v2, v4, v3
	v_lshl_add_u32 v0, v10, 1, 0
	s_cselect_b32 s6, -1, 0
	s_delay_alu instid0(VALU_DEP_2) | instskip(SKIP_1) | instid1(VALU_DEP_1)
	v_lshlrev_b64 v[3:4], 1, v[1:2]
	s_waitcnt lgkmcnt(0)
	v_add_co_u32 v5, vcc_lo, s4, v3
	v_mov_b32_e32 v8, 0
	s_delay_alu instid0(VALU_DEP_3) | instskip(NEXT) | instid1(VALU_DEP_3)
	v_add_co_ci_u32_e32 v6, vcc_lo, s5, v4, vcc_lo
	v_and_b32_e32 v7, 15, v5
	s_delay_alu instid0(VALU_DEP_1) | instskip(SKIP_1) | instid1(SALU_CYCLE_1)
	v_cmp_ne_u64_e32 vcc_lo, 0, v[7:8]
	s_or_b32 s6, s6, vcc_lo
	s_and_saveexec_b32 s7, s6
	s_delay_alu instid0(SALU_CYCLE_1)
	s_xor_b32 s6, exec_lo, s7
	s_cbranch_execz .LBB25_12
; %bb.1:
	v_sub_nc_u32_e32 v7, 0, v5
	v_mov_b32_e32 v13, s9
	s_mov_b32 s7, exec_lo
	s_delay_alu instid0(VALU_DEP_2) | instskip(NEXT) | instid1(VALU_DEP_1)
	v_bfe_u32 v7, v7, 1, 3
	v_min_i32_e32 v7, s14, v7
	s_delay_alu instid0(VALU_DEP_1)
	v_cmpx_gt_i32_e64 v7, v9
	s_cbranch_execz .LBB25_3
; %bb.2:
	v_max_f32_e64 v13, s9, s9
	v_lshlrev_b32_e32 v8, 1, v9
	s_delay_alu instid0(VALU_DEP_1) | instskip(SKIP_4) | instid1(VALU_DEP_1)
	v_add_co_u32 v5, vcc_lo, v5, v8
	v_add_co_ci_u32_e32 v6, vcc_lo, 0, v6, vcc_lo
	global_load_u16 v5, v[5:6], off
	s_waitcnt vmcnt(0)
	v_lshlrev_b32_e32 v6, 16, v5
	v_max_f32_e64 v6, |v6|, |v6|
	s_delay_alu instid0(VALU_DEP_1)
	v_dual_max_f32 v13, v13, v6 :: v_dual_add_nc_u32 v8, v0, v8
	ds_store_b16 v8, v5
.LBB25_3:
	s_or_b32 exec_lo, exec_lo, s7
	v_sub_nc_u32_e32 v14, s14, v7
	v_ashrrev_i32_e32 v8, 31, v7
	v_lshlrev_b32_e32 v15, 1, v7
	s_mov_b32 s7, exec_lo
	s_delay_alu instid0(VALU_DEP_3) | instskip(NEXT) | instid1(VALU_DEP_1)
	v_ashrrev_i32_e32 v5, 31, v14
	v_lshrrev_b32_e32 v5, 29, v5
	s_delay_alu instid0(VALU_DEP_1) | instskip(NEXT) | instid1(VALU_DEP_1)
	v_add_nc_u32_e32 v5, v14, v5
	v_ashrrev_i32_e32 v16, 3, v5
	v_lshlrev_b64 v[5:6], 1, v[7:8]
	s_delay_alu instid0(VALU_DEP_2)
	v_cmpx_gt_i32_e64 v16, v9
	s_cbranch_execz .LBB25_7
; %bb.4:
	v_lshlrev_b32_e32 v7, 4, v9
	s_mov_b32 s8, 0
	s_delay_alu instid0(VALU_DEP_1) | instskip(SKIP_2) | instid1(VALU_DEP_3)
	v_add_co_u32 v8, vcc_lo, v3, v7
	v_add_co_ci_u32_e32 v17, vcc_lo, 0, v4, vcc_lo
	v_lshl_add_u32 v7, v10, 1, v7
	v_add_co_u32 v8, vcc_lo, v8, v5
	s_delay_alu instid0(VALU_DEP_3) | instskip(NEXT) | instid1(VALU_DEP_2)
	v_add_co_ci_u32_e32 v17, vcc_lo, v17, v6, vcc_lo
	v_add_co_u32 v8, vcc_lo, v8, s4
	s_delay_alu instid0(VALU_DEP_2) | instskip(SKIP_1) | instid1(VALU_DEP_3)
	v_add_co_ci_u32_e32 v18, vcc_lo, s5, v17, vcc_lo
	v_add3_u32 v17, v7, v15, 0
	v_add_co_u32 v7, vcc_lo, v8, 8
	s_delay_alu instid0(VALU_DEP_3)
	v_add_co_ci_u32_e32 v8, vcc_lo, 0, v18, vcc_lo
	v_mov_b32_e32 v18, v9
	s_set_inst_prefetch_distance 0x1
	.p2align	6
.LBB25_5:                               ; =>This Inner Loop Header: Depth=1
	global_load_b128 v[19:22], v[7:8], off offset:-8
	v_add_nc_u32_e32 v18, 16, v18
	v_add_co_u32 v7, vcc_lo, 0x100, v7
	v_add_co_ci_u32_e32 v8, vcc_lo, 0, v8, vcc_lo
	s_delay_alu instid0(VALU_DEP_3)
	v_cmp_ge_i32_e32 vcc_lo, v18, v16
	s_or_b32 s8, vcc_lo, s8
	s_waitcnt vmcnt(0)
	v_lshlrev_b32_e32 v23, 16, v19
	v_and_b32_e32 v24, 0xffff0000, v19
	v_lshlrev_b32_e32 v25, 16, v20
	v_and_b32_e32 v26, 0xffff0000, v20
	ds_store_b128 v17, v[19:22]
	v_add_nc_u32_e32 v17, 0x100, v17
	v_max3_f32 v13, v13, |v23|, |v24|
	v_lshlrev_b32_e32 v23, 16, v21
	v_and_b32_e32 v24, 0xffff0000, v21
	s_delay_alu instid0(VALU_DEP_3) | instskip(SKIP_2) | instid1(VALU_DEP_3)
	v_max3_f32 v13, v13, |v25|, |v26|
	v_lshlrev_b32_e32 v25, 16, v22
	v_and_b32_e32 v26, 0xffff0000, v22
	v_max3_f32 v13, v13, |v23|, |v24|
	s_delay_alu instid0(VALU_DEP_1)
	v_max3_f32 v13, v13, |v25|, |v26|
	s_and_not1_b32 exec_lo, exec_lo, s8
	s_cbranch_execnz .LBB25_5
; %bb.6:
	s_set_inst_prefetch_distance 0x2
	s_or_b32 exec_lo, exec_lo, s8
.LBB25_7:
	s_delay_alu instid0(SALU_CYCLE_1) | instskip(SKIP_2) | instid1(VALU_DEP_1)
	s_or_b32 exec_lo, exec_lo, s7
	v_lshl_add_u32 v7, v16, 3, v9
	s_mov_b32 s7, exec_lo
	v_cmpx_lt_i32_e64 v7, v14
	s_cbranch_execz .LBB25_11
; %bb.8:
	v_ashrrev_i32_e32 v8, 31, v7
	v_lshlrev_b32_e32 v19, 4, v16
	v_add_co_u32 v3, vcc_lo, v3, v5
	v_lshlrev_b32_e32 v18, 1, v10
	s_delay_alu instid0(VALU_DEP_4) | instskip(SKIP_2) | instid1(VALU_DEP_4)
	v_lshlrev_b64 v[16:17], 1, v[7:8]
	v_add_co_ci_u32_e32 v4, vcc_lo, v4, v6, vcc_lo
	v_lshlrev_b32_e32 v20, 1, v9
	v_add3_u32 v5, v18, v19, v15
	s_mov_b32 s8, 0
	s_delay_alu instid0(VALU_DEP_4) | instskip(SKIP_1) | instid1(VALU_DEP_3)
	v_add_co_u32 v3, vcc_lo, v3, v16
	v_add_co_ci_u32_e32 v4, vcc_lo, v4, v17, vcc_lo
	v_add3_u32 v5, v5, v20, 0
	s_delay_alu instid0(VALU_DEP_3) | instskip(NEXT) | instid1(VALU_DEP_3)
	v_add_co_u32 v3, vcc_lo, s4, v3
	v_add_co_ci_u32_e32 v4, vcc_lo, s5, v4, vcc_lo
	.p2align	6
.LBB25_9:                               ; =>This Inner Loop Header: Depth=1
	global_load_u16 v6, v[3:4], off
	v_dual_max_f32 v8, v13, v13 :: v_dual_add_nc_u32 v7, 16, v7
	v_add_co_u32 v3, vcc_lo, v3, 32
	v_add_co_ci_u32_e32 v4, vcc_lo, 0, v4, vcc_lo
	s_delay_alu instid0(VALU_DEP_3)
	v_cmp_ge_i32_e32 vcc_lo, v7, v14
	s_or_b32 s8, vcc_lo, s8
	s_waitcnt vmcnt(0)
	v_lshlrev_b32_e32 v13, 16, v6
	ds_store_b16 v5, v6
	v_add_nc_u32_e32 v5, 32, v5
	v_max_f32_e64 v13, |v13|, |v13|
	s_delay_alu instid0(VALU_DEP_1)
	v_max_f32_e32 v13, v8, v13
	s_and_not1_b32 exec_lo, exec_lo, s8
	s_cbranch_execnz .LBB25_9
; %bb.10:
	s_or_b32 exec_lo, exec_lo, s8
.LBB25_11:
	s_delay_alu instid0(SALU_CYCLE_1)
	s_or_b32 exec_lo, exec_lo, s7
                                        ; implicit-def: $vgpr3_vgpr4
.LBB25_12:
	s_and_not1_saveexec_b32 s6, s6
	s_cbranch_execz .LBB25_18
; %bb.13:
	v_mov_b32_e32 v13, s9
	s_ashr_i32 s8, s14, 3
	s_mov_b32 s7, exec_lo
	v_cmpx_gt_i32_e64 s8, v9
	s_cbranch_execz .LBB25_17
; %bb.14:
	v_lshlrev_b32_e32 v5, 4, v9
	v_dual_mov_b32 v13, s9 :: v_dual_lshlrev_b32 v6, 1, v10
	s_delay_alu instid0(VALU_DEP_2) | instskip(SKIP_1) | instid1(VALU_DEP_3)
	v_add_co_u32 v3, vcc_lo, v3, v5
	v_add_co_ci_u32_e32 v4, vcc_lo, 0, v4, vcc_lo
	v_add3_u32 v5, v6, v5, 0
	s_delay_alu instid0(VALU_DEP_3) | instskip(NEXT) | instid1(VALU_DEP_3)
	v_add_co_u32 v3, vcc_lo, v3, s4
	v_add_co_ci_u32_e32 v4, vcc_lo, s5, v4, vcc_lo
	v_mov_b32_e32 v6, v9
	s_delay_alu instid0(VALU_DEP_3) | instskip(NEXT) | instid1(VALU_DEP_3)
	v_add_co_u32 v3, vcc_lo, v3, 8
	v_add_co_ci_u32_e32 v4, vcc_lo, 0, v4, vcc_lo
	s_mov_b32 s4, 0
	s_set_inst_prefetch_distance 0x1
	.p2align	6
.LBB25_15:                              ; =>This Inner Loop Header: Depth=1
	global_load_b128 v[14:17], v[3:4], off offset:-8
	v_add_nc_u32_e32 v6, 16, v6
	v_add_co_u32 v3, vcc_lo, 0x100, v3
	v_add_co_ci_u32_e32 v4, vcc_lo, 0, v4, vcc_lo
	s_delay_alu instid0(VALU_DEP_3)
	v_cmp_le_i32_e32 vcc_lo, s8, v6
	s_or_b32 s4, vcc_lo, s4
	s_waitcnt vmcnt(0)
	v_lshlrev_b32_e32 v7, 16, v14
	v_and_b32_e32 v8, 0xffff0000, v14
	v_lshlrev_b32_e32 v18, 16, v15
	v_and_b32_e32 v19, 0xffff0000, v15
	ds_store_b128 v5, v[14:17]
	v_add_nc_u32_e32 v5, 0x100, v5
	v_max3_f32 v7, v13, |v7|, |v8|
	v_lshlrev_b32_e32 v8, 16, v16
	v_and_b32_e32 v13, 0xffff0000, v16
	s_delay_alu instid0(VALU_DEP_3) | instskip(SKIP_2) | instid1(VALU_DEP_3)
	v_max3_f32 v7, v7, |v18|, |v19|
	v_lshlrev_b32_e32 v18, 16, v17
	v_and_b32_e32 v19, 0xffff0000, v17
	v_max3_f32 v7, v7, |v8|, |v13|
	s_delay_alu instid0(VALU_DEP_1)
	v_max3_f32 v13, v7, |v18|, |v19|
	s_and_not1_b32 exec_lo, exec_lo, s4
	s_cbranch_execnz .LBB25_15
; %bb.16:
	s_set_inst_prefetch_distance 0x2
	s_or_b32 exec_lo, exec_lo, s4
.LBB25_17:
	s_delay_alu instid0(SALU_CYCLE_1)
	s_or_b32 exec_lo, exec_lo, s7
.LBB25_18:
	s_delay_alu instid0(SALU_CYCLE_1) | instskip(SKIP_4) | instid1(VALU_DEP_2)
	s_or_b32 exec_lo, exec_lo, s6
	v_mbcnt_lo_u32_b32 v3, -1, 0
	s_load_b64 s[8:9], s[0:1], 0x8
	s_mov_b32 s16, exec_lo
	v_max_f32_e32 v7, v13, v13
	v_xor_b32_e32 v5, 8, v3
	v_and_b32_e32 v4, 16, v3
	v_xor_b32_e32 v6, 4, v3
	s_delay_alu instid0(VALU_DEP_2) | instskip(NEXT) | instid1(VALU_DEP_1)
	v_add_nc_u32_e32 v4, 16, v4
	v_cmp_lt_i32_e32 vcc_lo, v5, v4
	v_cndmask_b32_e32 v5, v3, v5, vcc_lo
	s_delay_alu instid0(VALU_DEP_4) | instskip(NEXT) | instid1(VALU_DEP_2)
	v_cmp_lt_i32_e32 vcc_lo, v6, v4
	v_dual_cndmask_b32 v6, v3, v6 :: v_dual_lshlrev_b32 v5, 2, v5
	ds_bpermute_b32 v5, v5, v13
	s_waitcnt lgkmcnt(0)
	v_dual_max_f32 v5, v5, v5 :: v_dual_lshlrev_b32 v6, 2, v6
	s_delay_alu instid0(VALU_DEP_1)
	v_max_f32_e32 v5, v7, v5
	v_xor_b32_e32 v7, 2, v3
	ds_bpermute_b32 v6, v6, v5
	v_cmp_lt_i32_e32 vcc_lo, v7, v4
	s_waitcnt lgkmcnt(0)
	v_dual_cndmask_b32 v7, v3, v7 :: v_dual_max_f32 v6, v6, v6
	s_delay_alu instid0(VALU_DEP_1) | instskip(NEXT) | instid1(VALU_DEP_2)
	v_max_f32_e32 v5, v5, v6
	v_lshlrev_b32_e32 v7, 2, v7
	ds_bpermute_b32 v6, v7, v5
	v_xor_b32_e32 v7, 1, v3
	s_delay_alu instid0(VALU_DEP_1) | instskip(SKIP_2) | instid1(VALU_DEP_1)
	v_cmp_lt_i32_e32 vcc_lo, v7, v4
	v_cndmask_b32_e32 v3, v3, v7, vcc_lo
	s_waitcnt lgkmcnt(0)
	v_dual_max_f32 v4, v6, v6 :: v_dual_lshlrev_b32 v3, 2, v3
	s_delay_alu instid0(VALU_DEP_1) | instskip(SKIP_3) | instid1(VALU_DEP_1)
	v_max_f32_e32 v4, v5, v4
	ds_bpermute_b32 v3, v3, v4
	s_waitcnt lgkmcnt(0)
	v_max_f32_e32 v3, v3, v3
	v_max_f32_e32 v3, v4, v3
	s_delay_alu instid0(VALU_DEP_1) | instskip(SKIP_1) | instid1(VALU_DEP_2)
	v_div_scale_f32 v4, null, s11, s11, v3
	v_div_scale_f32 v7, vcc_lo, v3, s11, v3
	v_rcp_f32_e32 v5, v4
	s_waitcnt_depctr 0xfff
	v_fma_f32 v6, -v4, v5, 1.0
	s_delay_alu instid0(VALU_DEP_1) | instskip(NEXT) | instid1(VALU_DEP_1)
	v_fmac_f32_e32 v5, v6, v5
	v_mul_f32_e32 v6, v7, v5
	s_delay_alu instid0(VALU_DEP_1) | instskip(NEXT) | instid1(VALU_DEP_1)
	v_fma_f32 v8, -v4, v6, v7
	v_fmac_f32_e32 v6, v8, v5
	s_delay_alu instid0(VALU_DEP_1) | instskip(NEXT) | instid1(VALU_DEP_1)
	v_fma_f32 v4, -v4, v6, v7
	v_div_fmas_f32 v4, v4, v5, v6
	s_delay_alu instid0(VALU_DEP_1)
	v_div_fixup_f32 v5, v4, s11, v3
	v_cmpx_eq_u32_e32 0, v9
	s_cbranch_execz .LBB25_24
; %bb.19:
	s_load_b64 s[4:5], s[0:1], 0x10
	s_ashr_i32 s0, s2, 31
	v_mov_b32_e32 v3, 0
	v_or_b32_e32 v4, s0, v12
	s_mov_b32 s1, s2
	s_delay_alu instid0(VALU_DEP_1) | instskip(SKIP_1) | instid1(SALU_CYCLE_1)
	v_cmp_ne_u64_e32 vcc_lo, 0, v[3:4]
                                        ; implicit-def: $vgpr3_vgpr4
	s_and_saveexec_b32 s2, vcc_lo
	s_xor_b32 s2, exec_lo, s2
	s_cbranch_execz .LBB25_21
; %bb.20:
	s_add_u32 s12, s1, s0
	s_mov_b32 s6, s0
	s_mov_b32 s7, s0
	s_addc_u32 s13, s0, s0
	s_delay_alu instid0(SALU_CYCLE_1) | instskip(NEXT) | instid1(SALU_CYCLE_1)
	s_xor_b64 s[12:13], s[12:13], s[6:7]
	v_cvt_f32_u32_e32 v3, s12
	v_cvt_f32_u32_e32 v4, s13
	s_sub_u32 s0, 0, s12
	s_subb_u32 s7, 0, s13
	s_delay_alu instid0(VALU_DEP_1) | instskip(NEXT) | instid1(VALU_DEP_1)
	v_fmamk_f32 v3, v4, 0x4f800000, v3
	v_rcp_f32_e32 v3, v3
	s_waitcnt_depctr 0xfff
	v_mul_f32_e32 v3, 0x5f7ffffc, v3
	s_delay_alu instid0(VALU_DEP_1) | instskip(NEXT) | instid1(VALU_DEP_1)
	v_mul_f32_e32 v4, 0x2f800000, v3
	v_trunc_f32_e32 v4, v4
	s_delay_alu instid0(VALU_DEP_1) | instskip(SKIP_1) | instid1(VALU_DEP_2)
	v_fmamk_f32 v3, v4, 0xcf800000, v3
	v_cvt_u32_f32_e32 v4, v4
	v_cvt_u32_f32_e32 v3, v3
	s_delay_alu instid0(VALU_DEP_2) | instskip(NEXT) | instid1(VALU_DEP_2)
	v_mul_lo_u32 v6, s0, v4
	v_mul_hi_u32 v7, s0, v3
	v_mul_lo_u32 v8, s7, v3
	s_delay_alu instid0(VALU_DEP_2) | instskip(SKIP_1) | instid1(VALU_DEP_2)
	v_add_nc_u32_e32 v6, v7, v6
	v_mul_lo_u32 v7, s0, v3
	v_add_nc_u32_e32 v6, v6, v8
	s_delay_alu instid0(VALU_DEP_2) | instskip(NEXT) | instid1(VALU_DEP_2)
	v_mul_hi_u32 v8, v3, v7
	v_mul_lo_u32 v13, v3, v6
	v_mul_hi_u32 v14, v3, v6
	v_mul_hi_u32 v15, v4, v7
	v_mul_lo_u32 v7, v4, v7
	v_mul_hi_u32 v16, v4, v6
	v_mul_lo_u32 v6, v4, v6
	v_add_co_u32 v8, vcc_lo, v8, v13
	v_add_co_ci_u32_e32 v13, vcc_lo, 0, v14, vcc_lo
	s_delay_alu instid0(VALU_DEP_2) | instskip(NEXT) | instid1(VALU_DEP_2)
	v_add_co_u32 v7, vcc_lo, v8, v7
	v_add_co_ci_u32_e32 v7, vcc_lo, v13, v15, vcc_lo
	v_add_co_ci_u32_e32 v8, vcc_lo, 0, v16, vcc_lo
	s_delay_alu instid0(VALU_DEP_2) | instskip(NEXT) | instid1(VALU_DEP_2)
	v_add_co_u32 v6, vcc_lo, v7, v6
	v_add_co_ci_u32_e32 v7, vcc_lo, 0, v8, vcc_lo
	s_delay_alu instid0(VALU_DEP_2) | instskip(NEXT) | instid1(VALU_DEP_2)
	v_add_co_u32 v3, vcc_lo, v3, v6
	v_add_co_ci_u32_e32 v4, vcc_lo, v4, v7, vcc_lo
	s_delay_alu instid0(VALU_DEP_2) | instskip(SKIP_1) | instid1(VALU_DEP_3)
	v_mul_hi_u32 v6, s0, v3
	v_mul_lo_u32 v8, s7, v3
	v_mul_lo_u32 v7, s0, v4
	s_delay_alu instid0(VALU_DEP_1) | instskip(SKIP_1) | instid1(VALU_DEP_2)
	v_add_nc_u32_e32 v6, v6, v7
	v_mul_lo_u32 v7, s0, v3
	v_add_nc_u32_e32 v6, v6, v8
	s_delay_alu instid0(VALU_DEP_2) | instskip(NEXT) | instid1(VALU_DEP_2)
	v_mul_hi_u32 v8, v3, v7
	v_mul_lo_u32 v13, v3, v6
	v_mul_hi_u32 v14, v3, v6
	v_mul_hi_u32 v15, v4, v7
	v_mul_lo_u32 v7, v4, v7
	v_mul_hi_u32 v16, v4, v6
	v_mul_lo_u32 v6, v4, v6
	v_add_co_u32 v8, vcc_lo, v8, v13
	v_add_co_ci_u32_e32 v13, vcc_lo, 0, v14, vcc_lo
	s_delay_alu instid0(VALU_DEP_2) | instskip(NEXT) | instid1(VALU_DEP_2)
	v_add_co_u32 v7, vcc_lo, v8, v7
	v_add_co_ci_u32_e32 v7, vcc_lo, v13, v15, vcc_lo
	v_add_co_ci_u32_e32 v8, vcc_lo, 0, v16, vcc_lo
	s_delay_alu instid0(VALU_DEP_2) | instskip(NEXT) | instid1(VALU_DEP_2)
	v_add_co_u32 v6, vcc_lo, v7, v6
	v_add_co_ci_u32_e32 v7, vcc_lo, 0, v8, vcc_lo
	s_delay_alu instid0(VALU_DEP_2) | instskip(NEXT) | instid1(VALU_DEP_2)
	v_add_co_u32 v8, vcc_lo, v3, v6
	v_add_co_ci_u32_e32 v15, vcc_lo, v4, v7, vcc_lo
	s_delay_alu instid0(VALU_DEP_2) | instskip(SKIP_1) | instid1(VALU_DEP_3)
	v_mul_hi_u32 v16, v11, v8
	v_mad_u64_u32 v[6:7], null, v12, v8, 0
	v_mad_u64_u32 v[3:4], null, v11, v15, 0
	;; [unrolled: 1-line block ×3, first 2 shown]
	s_delay_alu instid0(VALU_DEP_2) | instskip(NEXT) | instid1(VALU_DEP_3)
	v_add_co_u32 v3, vcc_lo, v16, v3
	v_add_co_ci_u32_e32 v4, vcc_lo, 0, v4, vcc_lo
	s_delay_alu instid0(VALU_DEP_2) | instskip(NEXT) | instid1(VALU_DEP_2)
	v_add_co_u32 v3, vcc_lo, v3, v6
	v_add_co_ci_u32_e32 v3, vcc_lo, v4, v7, vcc_lo
	v_add_co_ci_u32_e32 v4, vcc_lo, 0, v14, vcc_lo
	s_delay_alu instid0(VALU_DEP_2) | instskip(NEXT) | instid1(VALU_DEP_2)
	v_add_co_u32 v6, vcc_lo, v3, v13
	v_add_co_ci_u32_e32 v7, vcc_lo, 0, v4, vcc_lo
	s_delay_alu instid0(VALU_DEP_2) | instskip(SKIP_1) | instid1(VALU_DEP_3)
	v_mul_lo_u32 v8, s13, v6
	v_mad_u64_u32 v[3:4], null, s12, v6, 0
	v_mul_lo_u32 v7, s12, v7
	s_delay_alu instid0(VALU_DEP_2) | instskip(NEXT) | instid1(VALU_DEP_2)
	v_sub_co_u32 v3, vcc_lo, v11, v3
	v_add3_u32 v4, v4, v7, v8
	v_add_co_u32 v8, s0, v6, 2
	s_delay_alu instid0(VALU_DEP_2) | instskip(NEXT) | instid1(VALU_DEP_1)
	v_sub_nc_u32_e32 v7, v12, v4
	v_subrev_co_ci_u32_e64 v7, s0, s13, v7, vcc_lo
	v_sub_co_u32 v13, s0, v3, s12
	v_sub_co_ci_u32_e32 v4, vcc_lo, v12, v4, vcc_lo
	s_delay_alu instid0(VALU_DEP_3) | instskip(NEXT) | instid1(VALU_DEP_3)
	v_subrev_co_ci_u32_e64 v7, s0, 0, v7, s0
	v_cmp_le_u32_e32 vcc_lo, s12, v13
	v_cndmask_b32_e64 v12, 0, -1, vcc_lo
	s_delay_alu instid0(VALU_DEP_3)
	v_cmp_le_u32_e32 vcc_lo, s13, v7
	v_cndmask_b32_e64 v13, 0, -1, vcc_lo
	v_cmp_le_u32_e32 vcc_lo, s12, v3
	v_cndmask_b32_e64 v3, 0, -1, vcc_lo
	;; [unrolled: 2-line block ×3, first 2 shown]
	v_cmp_eq_u32_e32 vcc_lo, s13, v7
	v_cndmask_b32_e32 v7, v13, v12, vcc_lo
	v_add_co_u32 v12, vcc_lo, v6, 1
	v_cmp_eq_u32_e32 vcc_lo, s13, v4
	v_cndmask_b32_e32 v3, v14, v3, vcc_lo
	s_delay_alu instid0(VALU_DEP_4) | instskip(NEXT) | instid1(VALU_DEP_4)
	v_cmp_ne_u32_e32 vcc_lo, 0, v7
	v_cndmask_b32_e32 v4, v12, v8, vcc_lo
	s_delay_alu instid0(VALU_DEP_3) | instskip(NEXT) | instid1(VALU_DEP_2)
	v_cmp_ne_u32_e32 vcc_lo, 0, v3
	v_cndmask_b32_e32 v3, v6, v4, vcc_lo
	s_delay_alu instid0(VALU_DEP_1) | instskip(NEXT) | instid1(VALU_DEP_1)
	v_xor_b32_e32 v3, s6, v3
	v_sub_co_u32 v3, vcc_lo, v3, s6
.LBB25_21:
	s_and_not1_saveexec_b32 s0, s2
	s_cbranch_execz .LBB25_23
; %bb.22:
	v_cvt_f32_u32_e32 v3, s1
	s_sub_i32 s2, 0, s1
	s_delay_alu instid0(VALU_DEP_1) | instskip(SKIP_2) | instid1(VALU_DEP_1)
	v_rcp_iflag_f32_e32 v3, v3
	s_waitcnt_depctr 0xfff
	v_mul_f32_e32 v3, 0x4f7ffffe, v3
	v_cvt_u32_f32_e32 v3, v3
	s_delay_alu instid0(VALU_DEP_1) | instskip(NEXT) | instid1(VALU_DEP_1)
	v_mul_lo_u32 v4, s2, v3
	v_mul_hi_u32 v4, v3, v4
	s_delay_alu instid0(VALU_DEP_1) | instskip(NEXT) | instid1(VALU_DEP_1)
	v_add_nc_u32_e32 v3, v3, v4
	v_mul_hi_u32 v3, v11, v3
	s_delay_alu instid0(VALU_DEP_1) | instskip(SKIP_1) | instid1(VALU_DEP_2)
	v_mul_lo_u32 v4, v3, s1
	v_add_nc_u32_e32 v6, 1, v3
	v_sub_nc_u32_e32 v4, v11, v4
	s_delay_alu instid0(VALU_DEP_1) | instskip(SKIP_1) | instid1(VALU_DEP_2)
	v_subrev_nc_u32_e32 v7, s1, v4
	v_cmp_le_u32_e32 vcc_lo, s1, v4
	v_dual_cndmask_b32 v4, v4, v7 :: v_dual_cndmask_b32 v3, v3, v6
	s_delay_alu instid0(VALU_DEP_1) | instskip(NEXT) | instid1(VALU_DEP_2)
	v_cmp_le_u32_e32 vcc_lo, s1, v4
	v_add_nc_u32_e32 v6, 1, v3
	s_delay_alu instid0(VALU_DEP_1)
	v_cndmask_b32_e32 v3, v3, v6, vcc_lo
.LBB25_23:
	s_or_b32 exec_lo, exec_lo, s0
	s_delay_alu instid0(VALU_DEP_1) | instskip(NEXT) | instid1(VALU_DEP_1)
	v_mul_lo_u32 v4, v3, s1
	v_sub_nc_u32_e32 v4, v11, v4
	s_delay_alu instid0(VALU_DEP_1) | instskip(NEXT) | instid1(VALU_DEP_1)
	v_mad_u64_u32 v[6:7], null, v4, s3, v[3:4]
	v_ashrrev_i32_e32 v7, 31, v6
	s_delay_alu instid0(VALU_DEP_1) | instskip(SKIP_1) | instid1(VALU_DEP_1)
	v_lshlrev_b64 v[3:4], 2, v[6:7]
	s_waitcnt lgkmcnt(0)
	v_add_co_u32 v3, vcc_lo, s4, v3
	s_delay_alu instid0(VALU_DEP_2)
	v_add_co_ci_u32_e32 v4, vcc_lo, s5, v4, vcc_lo
	global_store_b32 v[3:4], v5, off
.LBB25_24:
	s_or_b32 exec_lo, exec_lo, s16
	v_dual_mov_b32 v4, 0 :: v_dual_and_b32 v3, 15, v0
	s_xor_b32 s0, s15, -1
	s_waitcnt_vscnt null, 0x0
	s_barrier
	buffer_gl0_inv
	v_cmp_ne_u64_e32 vcc_lo, 0, v[3:4]
	s_or_b32 s0, s0, vcc_lo
	s_delay_alu instid0(SALU_CYCLE_1) | instskip(NEXT) | instid1(SALU_CYCLE_1)
	s_and_saveexec_b32 s1, s0
	s_xor_b32 s12, exec_lo, s1
	s_cbranch_execz .LBB25_41
; %bb.25:
	v_sub_nc_u32_e32 v3, 0, v0
	v_add_co_u32 v7, vcc_lo, s8, v1
	v_add_co_ci_u32_e32 v8, vcc_lo, s9, v2, vcc_lo
	s_delay_alu instid0(VALU_DEP_3) | instskip(SKIP_1) | instid1(VALU_DEP_1)
	v_bfe_u32 v3, v3, 1, 3
	s_mov_b32 s0, exec_lo
	v_min_i32_e32 v6, s14, v3
	s_delay_alu instid0(VALU_DEP_1)
	v_cmpx_gt_i32_e64 v6, v9
	s_cbranch_execz .LBB25_27
; %bb.26:
	v_lshl_add_u32 v0, v9, 1, v0
	ds_load_u16 v0, v0
	s_waitcnt lgkmcnt(0)
	v_lshlrev_b32_e32 v0, 16, v0
	s_delay_alu instid0(VALU_DEP_1) | instskip(SKIP_1) | instid1(VALU_DEP_2)
	v_div_scale_f32 v3, null, v5, v5, v0
	v_div_scale_f32 v12, vcc_lo, v0, v5, v0
	v_rcp_f32_e32 v4, v3
	s_waitcnt_depctr 0xfff
	v_fma_f32 v11, -v3, v4, 1.0
	s_delay_alu instid0(VALU_DEP_1) | instskip(NEXT) | instid1(VALU_DEP_1)
	v_fmac_f32_e32 v4, v11, v4
	v_mul_f32_e32 v11, v12, v4
	s_delay_alu instid0(VALU_DEP_1) | instskip(NEXT) | instid1(VALU_DEP_1)
	v_fma_f32 v13, -v3, v11, v12
	v_fmac_f32_e32 v11, v13, v4
	s_delay_alu instid0(VALU_DEP_1) | instskip(NEXT) | instid1(VALU_DEP_1)
	v_fma_f32 v3, -v3, v11, v12
	v_div_fmas_f32 v3, v3, v4, v11
	v_max_f32_e64 v4, s10, s10
	s_delay_alu instid0(VALU_DEP_2) | instskip(SKIP_1) | instid1(VALU_DEP_1)
	v_div_fixup_f32 v0, v3, v5, v0
	v_max_f32_e64 v3, s11, s11
	v_maxmin_f32 v0, v0, v4, v3
	v_add_co_u32 v3, vcc_lo, v7, v9
	v_add_co_ci_u32_e32 v4, vcc_lo, 0, v8, vcc_lo
	s_delay_alu instid0(VALU_DEP_3)
	v_cvt_i32_f32_e32 v0, v0
	global_store_b8 v[3:4], v0, off
.LBB25_27:
	s_or_b32 exec_lo, exec_lo, s0
	v_sub_nc_u32_e32 v3, s14, v6
	v_ashrrev_i32_e32 v12, 31, v6
	v_lshlrev_b32_e32 v4, 1, v6
	s_mov_b32 s13, exec_lo
	s_delay_alu instid0(VALU_DEP_3) | instskip(NEXT) | instid1(VALU_DEP_1)
	v_ashrrev_i32_e32 v0, 31, v3
	v_lshrrev_b32_e32 v0, 29, v0
	s_delay_alu instid0(VALU_DEP_1) | instskip(NEXT) | instid1(VALU_DEP_1)
	v_add_nc_u32_e32 v0, v3, v0
	v_ashrrev_i32_e32 v11, 3, v0
	s_delay_alu instid0(VALU_DEP_1)
	v_cmpx_gt_i32_e64 v11, v9
	s_cbranch_execz .LBB25_30
; %bb.28:
	v_dual_mov_b32 v15, v9 :: v_dual_lshlrev_b32 v0, 4, v9
	v_lshlrev_b32_e32 v13, 3, v9
	v_add_co_u32 v1, vcc_lo, v6, v1
	v_add_co_ci_u32_e32 v2, vcc_lo, v12, v2, vcc_lo
	s_delay_alu instid0(VALU_DEP_4) | instskip(SKIP_1) | instid1(VALU_DEP_4)
	v_lshl_add_u32 v0, v10, 1, v0
	v_lshlrev_b32_e32 v14, 1, v6
	v_add_co_u32 v1, vcc_lo, v1, v13
	s_delay_alu instid0(VALU_DEP_4) | instskip(NEXT) | instid1(VALU_DEP_3)
	v_add_co_ci_u32_e32 v13, vcc_lo, 0, v2, vcc_lo
	v_add3_u32 v2, v0, v14, 0
	s_delay_alu instid0(VALU_DEP_3) | instskip(NEXT) | instid1(VALU_DEP_3)
	v_add_co_u32 v0, vcc_lo, s8, v1
	v_add_co_ci_u32_e32 v1, vcc_lo, s9, v13, vcc_lo
	v_max_f32_e64 v13, s10, s10
	v_max_f32_e64 v14, s11, s11
	s_mov_b32 s15, 0
.LBB25_29:                              ; =>This Inner Loop Header: Depth=1
	ds_load_b128 v[16:19], v2
	s_waitcnt lgkmcnt(0)
	v_lshlrev_b32_e32 v23, 16, v19
	v_and_b32_e32 v19, 0xffff0000, v19
	v_lshlrev_b32_e32 v21, 16, v17
	s_delay_alu instid0(VALU_DEP_3) | instskip(NEXT) | instid1(VALU_DEP_3)
	v_div_scale_f32 v36, null, v5, v5, v23
	v_div_scale_f32 v38, null, v5, v5, v19
	s_delay_alu instid0(VALU_DEP_3) | instskip(NEXT) | instid1(VALU_DEP_3)
	v_div_scale_f32 v28, null, v5, v5, v21
	v_rcp_f32_e32 v46, v36
	s_delay_alu instid0(VALU_DEP_2) | instskip(NEXT) | instid1(VALU_DEP_1)
	v_rcp_f32_e32 v47, v38
	v_rcp_f32_e32 v42, v28
	s_delay_alu instid0(TRANS32_DEP_3)
	v_fma_f32 v54, -v36, v46, 1.0
	s_waitcnt_depctr 0xfff
	v_fma_f32 v55, -v38, v47, 1.0
	v_lshlrev_b32_e32 v22, 16, v18
	v_and_b32_e32 v18, 0xffff0000, v18
	v_fma_f32 v50, -v28, v42, 1.0
	s_delay_alu instid0(VALU_DEP_4) | instskip(NEXT) | instid1(VALU_DEP_4)
	v_dual_fmac_f32 v46, v54, v46 :: v_dual_fmac_f32 v47, v55, v47
	v_div_scale_f32 v32, null, v5, v5, v22
	s_delay_alu instid0(VALU_DEP_4) | instskip(NEXT) | instid1(VALU_DEP_4)
	v_div_scale_f32 v34, null, v5, v5, v18
	v_fmac_f32_e32 v42, v50, v42
	s_delay_alu instid0(VALU_DEP_3) | instskip(SKIP_1) | instid1(VALU_DEP_3)
	v_rcp_f32_e32 v44, v32
	v_div_scale_f32 v29, s2, v21, v5, v21
	v_rcp_f32_e32 v45, v34
	v_div_scale_f32 v33, s4, v22, v5, v22
	v_div_scale_f32 v37, s6, v23, v5, v23
	s_waitcnt_depctr 0xfff
	v_fma_f32 v52, -v32, v44, 1.0
	v_and_b32_e32 v17, 0xffff0000, v17
	v_fma_f32 v53, -v34, v45, 1.0
	s_delay_alu instid0(VALU_DEP_3) | instskip(NEXT) | instid1(VALU_DEP_3)
	v_fmac_f32_e32 v44, v52, v44
	v_div_scale_f32 v30, null, v5, v5, v17
	v_div_scale_f32 v31, s3, v17, v5, v17
	s_delay_alu instid0(VALU_DEP_4) | instskip(NEXT) | instid1(VALU_DEP_3)
	v_fmac_f32_e32 v45, v53, v45
	v_rcp_f32_e32 v43, v30
	s_waitcnt_depctr 0xfff
	v_fma_f32 v51, -v30, v43, 1.0
	v_lshlrev_b32_e32 v20, 16, v16
	s_delay_alu instid0(VALU_DEP_2) | instskip(NEXT) | instid1(VALU_DEP_2)
	v_dual_fmac_f32 v43, v51, v43 :: v_dual_and_b32 v16, 0xffff0000, v16
	v_div_scale_f32 v24, null, v5, v5, v20
	s_delay_alu instid0(VALU_DEP_2) | instskip(SKIP_1) | instid1(VALU_DEP_3)
	v_div_scale_f32 v26, null, v5, v5, v16
	v_div_scale_f32 v25, vcc_lo, v20, v5, v20
	v_rcp_f32_e32 v40, v24
	s_delay_alu instid0(VALU_DEP_2) | instskip(SKIP_2) | instid1(VALU_DEP_1)
	v_rcp_f32_e32 v41, v26
	v_div_scale_f32 v27, s1, v16, v5, v16
	v_dual_mul_f32 v50, v29, v42 :: v_dual_mul_f32 v51, v31, v43
	v_fma_f32 v58, -v28, v50, v29
	s_waitcnt_depctr 0xfff
	v_fma_f32 v48, -v24, v40, 1.0
	v_fma_f32 v49, -v26, v41, 1.0
	v_add_nc_u32_e32 v15, 16, v15
	v_add_nc_u32_e32 v2, 0x100, v2
	v_fma_f32 v59, -v30, v51, v31
	s_delay_alu instid0(VALU_DEP_4) | instskip(SKIP_2) | instid1(VALU_DEP_3)
	v_dual_fmac_f32 v40, v48, v40 :: v_dual_fmac_f32 v41, v49, v41
	v_fmac_f32_e32 v50, v58, v42
	v_cmp_ge_i32_e64 s0, v15, v11
	v_dual_fmac_f32 v51, v59, v43 :: v_dual_mul_f32 v48, v25, v40
	s_delay_alu instid0(VALU_DEP_4) | instskip(SKIP_2) | instid1(VALU_DEP_4)
	v_mul_f32_e32 v49, v27, v41
	v_div_scale_f32 v35, s5, v18, v5, v18
	v_mul_f32_e32 v52, v33, v44
	v_fma_f32 v56, -v24, v48, v25
	s_delay_alu instid0(VALU_DEP_4) | instskip(NEXT) | instid1(VALU_DEP_4)
	v_fma_f32 v57, -v26, v49, v27
	v_mul_f32_e32 v53, v35, v45
	v_div_scale_f32 v39, s7, v19, v5, v19
	s_delay_alu instid0(VALU_DEP_3) | instskip(NEXT) | instid1(VALU_DEP_2)
	v_dual_fmac_f32 v48, v56, v40 :: v_dual_fmac_f32 v49, v57, v41
	v_dual_mul_f32 v54, v37, v46 :: v_dual_mul_f32 v55, v39, v47
	v_fma_f32 v60, -v32, v52, v33
	v_fma_f32 v61, -v34, v53, v35
	s_delay_alu instid0(VALU_DEP_4) | instskip(NEXT) | instid1(VALU_DEP_4)
	v_fma_f32 v24, -v24, v48, v25
	v_fma_f32 v62, -v36, v54, v37
	;; [unrolled: 1-line block ×3, first 2 shown]
	s_delay_alu instid0(VALU_DEP_4)
	v_dual_fmac_f32 v52, v60, v44 :: v_dual_fmac_f32 v53, v61, v45
	v_fma_f32 v26, -v28, v50, v29
	v_div_fmas_f32 v24, v24, v40, v48
	s_mov_b32 vcc_lo, s1
	v_fma_f32 v27, -v30, v51, v31
	v_fma_f32 v63, -v38, v55, v39
	v_fmac_f32_e32 v54, v62, v46
	v_div_fmas_f32 v25, v25, v41, v49
	s_mov_b32 vcc_lo, s2
	v_fma_f32 v28, -v32, v52, v33
	v_fmac_f32_e32 v55, v63, v47
	v_div_fmas_f32 v26, v26, v42, v50
	s_mov_b32 vcc_lo, s3
	v_fma_f32 v29, -v34, v53, v35
	v_div_fixup_f32 v20, v24, v5, v20
	v_div_fmas_f32 v24, v27, v43, v51
	s_mov_b32 vcc_lo, s4
	v_fma_f32 v30, -v36, v54, v37
	v_div_fixup_f32 v16, v25, v5, v16
	v_div_fmas_f32 v25, v28, v44, v52
	s_mov_b32 vcc_lo, s5
	v_div_fixup_f32 v21, v26, v5, v21
	v_div_fmas_f32 v26, v29, v45, v53
	s_mov_b32 vcc_lo, s6
	v_fma_f32 v31, -v38, v55, v39
	v_div_fixup_f32 v17, v24, v5, v17
	v_div_fmas_f32 v24, v30, v46, v54
	s_mov_b32 vcc_lo, s7
	v_maxmin_f32 v16, v16, v13, v14
	v_div_fixup_f32 v22, v25, v5, v22
	v_maxmin_f32 v21, v21, v13, v14
	v_div_fmas_f32 v25, v31, v47, v55
	v_div_fixup_f32 v18, v26, v5, v18
	v_div_fixup_f32 v23, v24, v5, v23
	v_maxmin_f32 v17, v17, v13, v14
	v_cvt_i32_f32_e32 v16, v16
	v_cvt_i32_f32_e32 v21, v21
	v_div_fixup_f32 v19, v25, v5, v19
	v_maxmin_f32 v18, v18, v13, v14
	v_maxmin_f32 v23, v23, v13, v14
	v_cvt_i32_f32_e32 v17, v17
	v_and_b32_e32 v16, 0xff, v16
	v_maxmin_f32 v19, v19, v13, v14
	v_and_b32_e32 v21, 0xff, v21
	v_cvt_i32_f32_e32 v18, v18
	v_cvt_i32_f32_e32 v23, v23
	v_maxmin_f32 v20, v20, v13, v14
	v_maxmin_f32 v22, v22, v13, v14
	v_lshlrev_b32_e32 v17, 24, v17
	v_lshlrev_b32_e32 v16, 8, v16
	v_cvt_i32_f32_e32 v19, v19
	v_lshlrev_b32_e32 v21, 16, v21
	v_and_b32_e32 v18, 0xff, v18
	v_and_b32_e32 v23, 0xff, v23
	v_cvt_i32_f32_e32 v20, v20
	v_cvt_i32_f32_e32 v22, v22
	v_lshlrev_b32_e32 v19, 24, v19
	v_or3_b32 v16, v17, v21, v16
	v_lshlrev_b32_e32 v17, 8, v18
	v_lshlrev_b32_e32 v18, 16, v23
	v_and_b32_e32 v20, 0xff, v20
	v_and_b32_e32 v22, 0xff, v22
	s_or_b32 s15, s0, s15
	s_delay_alu instid0(VALU_DEP_3) | instskip(NEXT) | instid1(VALU_DEP_3)
	v_or_b32_e32 v18, v19, v18
	v_or_b32_e32 v16, v16, v20
	s_delay_alu instid0(VALU_DEP_2)
	v_or3_b32 v17, v18, v17, v22
	global_store_b64 v[0:1], v[16:17], off
	v_add_co_u32 v0, vcc_lo, 0x80, v0
	v_add_co_ci_u32_e32 v1, vcc_lo, 0, v1, vcc_lo
	s_and_not1_b32 exec_lo, exec_lo, s15
	s_cbranch_execnz .LBB25_29
.LBB25_30:
	s_or_b32 exec_lo, exec_lo, s13
	v_lshlrev_b32_e32 v2, 3, v11
	s_mov_b32 s2, exec_lo
	s_delay_alu instid0(VALU_DEP_1) | instskip(NEXT) | instid1(VALU_DEP_1)
	v_add_nc_u32_e32 v0, v2, v9
	v_cmpx_lt_i32_e64 v0, v3
	s_cbranch_execz .LBB25_40
; %bb.31:
	v_add_nc_u32_e32 v1, 16, v0
	v_add_co_u32 v7, vcc_lo, v7, v6
	v_add_co_ci_u32_e32 v8, vcc_lo, v8, v12, vcc_lo
	s_delay_alu instid0(VALU_DEP_3) | instskip(SKIP_2) | instid1(VALU_DEP_1)
	v_max_i32_e32 v13, v1, v3
	s_mov_b32 s0, 0
                                        ; implicit-def: $vgpr12
	s_mov_b32 s1, exec_lo
	v_xad_u32 v13, v9, -1, v13
	s_delay_alu instid0(VALU_DEP_1) | instskip(NEXT) | instid1(VALU_DEP_1)
	v_sub_nc_u32_e32 v2, v13, v2
	v_cmpx_lt_u32_e32 15, v2
	s_xor_b32 s3, exec_lo, s1
	s_cbranch_execnz .LBB25_34
; %bb.32:
	s_and_not1_saveexec_b32 s1, s3
	s_cbranch_execnz .LBB25_37
.LBB25_33:
	s_or_b32 exec_lo, exec_lo, s1
	s_delay_alu instid0(SALU_CYCLE_1)
	s_and_b32 exec_lo, exec_lo, s0
	s_cbranch_execnz .LBB25_38
	s_branch .LBB25_40
.LBB25_34:
	v_lshrrev_b32_e32 v2, 4, v2
	v_lshlrev_b32_e32 v4, 1, v6
	v_lshlrev_b32_e32 v11, 4, v11
	s_mov_b32 s0, s10
	s_mov_b32 s1, s10
	v_add_nc_u32_e32 v6, 1, v2
	v_lshlrev_b32_e32 v2, 1, v9
	s_mov_b32 s4, s11
	s_mov_b32 s5, s11
	v_max_f32_e64 v13, s1, s1
	v_and_b32_e32 v9, 0x1ffffffe, v6
	v_lshlrev_b32_e32 v12, 1, v10
	v_mov_b32_e32 v10, v5
	v_max_f32_e64 v14, s0, s0
	v_max_f32_e64 v15, s4, s4
	v_mov_b32_e32 v17, v9
	v_add3_u32 v11, v12, v11, v4
	v_max_f32_e64 v16, s5, s5
	s_mov_b32 s4, 0
	s_delay_alu instid0(VALU_DEP_2)
	v_add3_u32 v11, v11, v2, 0
	v_mov_b32_e32 v2, v1
	v_mov_b32_e32 v1, v0
.LBB25_35:                              ; =>This Inner Loop Header: Depth=1
	ds_load_u16 v19, v11 offset:32
	ds_load_u16 v20, v11
	v_ashrrev_i32_e32 v21, 31, v2
	v_mov_b32_e32 v22, v2
	v_ashrrev_i32_e32 v23, 31, v1
	v_add_co_u32 v18, s0, v7, v1
	v_add_nc_u32_e32 v1, 32, v1
	v_add_nc_u32_e32 v11, 64, v11
	s_waitcnt lgkmcnt(1)
	v_lshlrev_b32_e32 v24, 16, v19
	s_waitcnt lgkmcnt(0)
	v_lshlrev_b32_e32 v20, 16, v20
	s_delay_alu instid0(VALU_DEP_2) | instskip(NEXT) | instid1(VALU_DEP_2)
	v_div_scale_f32 v19, null, v10, v10, v24
	v_div_scale_f32 v25, null, v5, v5, v20
	v_div_scale_f32 v29, s1, v20, v5, v20
	s_delay_alu instid0(VALU_DEP_3) | instskip(NEXT) | instid1(VALU_DEP_2)
	v_rcp_f32_e32 v26, v19
	v_rcp_f32_e32 v27, v25
	v_div_scale_f32 v28, vcc_lo, v24, v10, v24
	s_waitcnt_depctr 0xfff
	v_fma_f32 v30, -v19, v26, 1.0
	v_fma_f32 v31, -v25, v27, 1.0
	v_add_nc_u32_e32 v2, 32, v2
	s_delay_alu instid0(VALU_DEP_3) | instskip(NEXT) | instid1(VALU_DEP_3)
	v_dual_fmac_f32 v26, v30, v26 :: v_dual_add_nc_u32 v17, -2, v17
	v_fmac_f32_e32 v27, v31, v27
	s_delay_alu instid0(VALU_DEP_1) | instskip(NEXT) | instid1(VALU_DEP_1)
	v_mul_f32_e32 v31, v29, v27
	v_fma_f32 v33, -v25, v31, v29
	s_delay_alu instid0(VALU_DEP_1) | instskip(NEXT) | instid1(VALU_DEP_1)
	v_dual_mul_f32 v30, v28, v26 :: v_dual_fmac_f32 v31, v33, v27
	v_fma_f32 v32, -v19, v30, v28
	s_delay_alu instid0(VALU_DEP_2) | instskip(NEXT) | instid1(VALU_DEP_2)
	v_fma_f32 v25, -v25, v31, v29
	v_fmac_f32_e32 v30, v32, v26
	s_delay_alu instid0(VALU_DEP_1) | instskip(NEXT) | instid1(VALU_DEP_1)
	v_fma_f32 v19, -v19, v30, v28
	v_div_fmas_f32 v26, v19, v26, v30
	s_mov_b32 vcc_lo, s1
	v_div_fmas_f32 v25, v25, v27, v31
	v_add_co_ci_u32_e64 v19, vcc_lo, v8, v23, s0
	s_delay_alu instid0(VALU_DEP_3) | instskip(NEXT) | instid1(VALU_DEP_3)
	v_div_fixup_f32 v23, v26, v10, v24
	v_div_fixup_f32 v24, v25, v5, v20
	v_add_co_u32 v20, vcc_lo, v7, v22
	s_delay_alu instid0(VALU_DEP_3) | instskip(SKIP_1) | instid1(VALU_DEP_4)
	v_maxmin_f32 v22, v23, v13, v16
	v_add_co_ci_u32_e32 v21, vcc_lo, v8, v21, vcc_lo
	v_maxmin_f32 v23, v24, v14, v15
	v_cmp_eq_u32_e32 vcc_lo, 0, v17
	s_delay_alu instid0(VALU_DEP_4) | instskip(NEXT) | instid1(VALU_DEP_3)
	v_cvt_i32_f32_e32 v22, v22
	v_cvt_i32_f32_e32 v23, v23
	s_or_b32 s4, vcc_lo, s4
	s_clause 0x1
	global_store_b8 v[18:19], v23, off
	global_store_b8 v[20:21], v22, off
	s_and_not1_b32 exec_lo, exec_lo, s4
	s_cbranch_execnz .LBB25_35
; %bb.36:
	s_or_b32 exec_lo, exec_lo, s4
	v_cmp_ne_u32_e32 vcc_lo, v6, v9
	v_lshl_add_u32 v0, v9, 4, v0
                                        ; implicit-def: $vgpr10
	s_and_b32 s0, vcc_lo, exec_lo
	s_and_not1_saveexec_b32 s1, s3
	s_cbranch_execz .LBB25_33
.LBB25_37:
	v_lshlrev_b32_e32 v12, 1, v10
	s_or_b32 s0, s0, exec_lo
	s_or_b32 exec_lo, exec_lo, s1
	s_delay_alu instid0(SALU_CYCLE_1)
	s_and_b32 exec_lo, exec_lo, s0
	s_cbranch_execz .LBB25_40
.LBB25_38:
	v_lshl_add_u32 v6, v0, 1, v12
	v_ashrrev_i32_e32 v1, 31, v0
	v_max_f32_e64 v2, s10, s10
	s_mov_b32 s1, 0
	s_delay_alu instid0(VALU_DEP_3)
	v_add3_u32 v4, v6, v4, 0
	v_max_f32_e64 v6, s11, s11
	s_set_inst_prefetch_distance 0x1
	.p2align	6
.LBB25_39:                              ; =>This Inner Loop Header: Depth=1
	ds_load_u16 v9, v4
	v_add_nc_u32_e32 v4, 32, v4
	s_waitcnt lgkmcnt(0)
	v_lshlrev_b32_e32 v10, 16, v9
	s_delay_alu instid0(VALU_DEP_1) | instskip(NEXT) | instid1(VALU_DEP_1)
	v_div_scale_f32 v9, null, v5, v5, v10
	v_rcp_f32_e32 v11, v9
	s_waitcnt_depctr 0xfff
	v_fma_f32 v12, -v9, v11, 1.0
	s_delay_alu instid0(VALU_DEP_1) | instskip(SKIP_1) | instid1(VALU_DEP_1)
	v_fmac_f32_e32 v11, v12, v11
	v_div_scale_f32 v13, vcc_lo, v10, v5, v10
	v_mul_f32_e32 v12, v13, v11
	s_delay_alu instid0(VALU_DEP_1) | instskip(NEXT) | instid1(VALU_DEP_1)
	v_fma_f32 v14, -v9, v12, v13
	v_fmac_f32_e32 v12, v14, v11
	s_delay_alu instid0(VALU_DEP_1) | instskip(NEXT) | instid1(VALU_DEP_1)
	v_fma_f32 v9, -v9, v12, v13
	v_div_fmas_f32 v11, v9, v11, v12
	v_add_co_u32 v9, vcc_lo, v7, v0
	v_add_co_u32 v0, s0, v0, 16
	s_delay_alu instid0(VALU_DEP_3) | instskip(SKIP_2) | instid1(VALU_DEP_3)
	v_div_fixup_f32 v11, v11, v5, v10
	v_add_co_ci_u32_e32 v10, vcc_lo, v8, v1, vcc_lo
	v_add_co_ci_u32_e64 v1, vcc_lo, 0, v1, s0
	v_maxmin_f32 v11, v11, v2, v6
	v_cmp_ge_i32_e32 vcc_lo, v0, v3
	s_delay_alu instid0(VALU_DEP_2)
	v_cvt_i32_f32_e32 v11, v11
	s_or_b32 s1, vcc_lo, s1
	global_store_b8 v[9:10], v11, off
	s_and_not1_b32 exec_lo, exec_lo, s1
	s_cbranch_execnz .LBB25_39
.LBB25_40:
	s_set_inst_prefetch_distance 0x2
	s_or_b32 exec_lo, exec_lo, s2
                                        ; implicit-def: $vgpr9
                                        ; implicit-def: $vgpr5
                                        ; implicit-def: $vgpr10
                                        ; implicit-def: $vgpr1_vgpr2
.LBB25_41:
	s_and_not1_saveexec_b32 s0, s12
	s_cbranch_execz .LBB25_45
; %bb.42:
	s_ashr_i32 s12, s14, 3
	s_mov_b32 s0, exec_lo
	v_cmpx_gt_i32_e64 s12, v9
	s_cbranch_execz .LBB25_45
; %bb.43:
	v_lshlrev_b32_e32 v0, 3, v9
	v_lshlrev_b32_e32 v3, 1, v10
	;; [unrolled: 1-line block ×3, first 2 shown]
	s_delay_alu instid0(VALU_DEP_3) | instskip(SKIP_1) | instid1(VALU_DEP_3)
	v_add_co_u32 v0, vcc_lo, v1, v0
	v_add_co_ci_u32_e32 v1, vcc_lo, 0, v2, vcc_lo
	v_add3_u32 v2, v3, v4, 0
	s_delay_alu instid0(VALU_DEP_3) | instskip(NEXT) | instid1(VALU_DEP_3)
	v_add_co_u32 v0, vcc_lo, s8, v0
	v_add_co_ci_u32_e32 v1, vcc_lo, s9, v1, vcc_lo
	v_max_f32_e64 v3, s10, s10
	v_max_f32_e64 v4, s11, s11
	s_mov_b32 s8, 0
.LBB25_44:                              ; =>This Inner Loop Header: Depth=1
	ds_load_b128 v[10:13], v2
	s_waitcnt lgkmcnt(0)
	v_lshlrev_b32_e32 v14, 16, v13
	v_and_b32_e32 v7, 0xffff0000, v10
	v_and_b32_e32 v13, 0xffff0000, v13
	s_delay_alu instid0(VALU_DEP_3) | instskip(NEXT) | instid1(VALU_DEP_2)
	v_div_scale_f32 v27, null, v5, v5, v14
	v_div_scale_f32 v29, null, v5, v5, v13
	s_delay_alu instid0(VALU_DEP_2) | instskip(NEXT) | instid1(VALU_DEP_1)
	v_rcp_f32_e32 v37, v27
	v_rcp_f32_e32 v38, v29
	s_waitcnt_depctr 0xfff
	v_fma_f32 v45, -v27, v37, 1.0
	v_lshlrev_b32_e32 v8, 16, v11
	v_fma_f32 v46, -v29, v38, 1.0
	s_delay_alu instid0(VALU_DEP_3) | instskip(NEXT) | instid1(VALU_DEP_3)
	v_fmac_f32_e32 v37, v45, v37
	v_div_scale_f32 v19, null, v5, v5, v8
	v_div_scale_f32 v20, s2, v8, v5, v8
	s_delay_alu instid0(VALU_DEP_4) | instskip(NEXT) | instid1(VALU_DEP_3)
	v_fmac_f32_e32 v38, v46, v38
	v_rcp_f32_e32 v33, v19
	v_div_scale_f32 v30, s7, v13, v5, v13
	s_waitcnt_depctr 0xfff
	v_fma_f32 v41, -v19, v33, 1.0
	s_delay_alu instid0(VALU_DEP_1) | instskip(SKIP_1) | instid1(VALU_DEP_2)
	v_dual_fmac_f32 v33, v41, v33 :: v_dual_lshlrev_b32 v6, 16, v10
	v_and_b32_e32 v10, 0xffff0000, v11
	v_div_scale_f32 v15, null, v5, v5, v6
	v_div_scale_f32 v16, vcc_lo, v6, v5, v6
	s_delay_alu instid0(VALU_DEP_4) | instskip(NEXT) | instid1(VALU_DEP_4)
	v_mul_f32_e32 v41, v20, v33
	v_div_scale_f32 v21, null, v5, v5, v10
	s_delay_alu instid0(VALU_DEP_4) | instskip(SKIP_1) | instid1(VALU_DEP_2)
	v_rcp_f32_e32 v31, v15
	v_div_scale_f32 v22, s3, v10, v5, v10
	v_rcp_f32_e32 v34, v21
	v_fma_f32 v49, -v19, v41, v20
	s_delay_alu instid0(VALU_DEP_1)
	v_dual_mul_f32 v46, v30, v38 :: v_dual_fmac_f32 v41, v49, v33
	s_waitcnt_depctr 0xfff
	v_fma_f32 v39, -v15, v31, 1.0
	v_add_nc_u32_e32 v2, 0x100, v2
	v_fma_f32 v54, -v29, v46, v30
	v_fma_f32 v42, -v21, v34, 1.0
	v_lshlrev_b32_e32 v11, 16, v12
	s_delay_alu instid0(VALU_DEP_2) | instskip(NEXT) | instid1(VALU_DEP_2)
	v_dual_fmac_f32 v31, v39, v31 :: v_dual_fmac_f32 v34, v42, v34
	v_div_scale_f32 v23, null, v5, v5, v11
	s_delay_alu instid0(VALU_DEP_2) | instskip(SKIP_1) | instid1(VALU_DEP_3)
	v_mul_f32_e32 v39, v16, v31
	v_div_scale_f32 v24, s4, v11, v5, v11
	v_rcp_f32_e32 v35, v23
	v_div_scale_f32 v28, s6, v14, v5, v14
	s_delay_alu instid0(VALU_DEP_3) | instskip(NEXT) | instid1(VALU_DEP_2)
	v_fma_f32 v47, -v15, v39, v16
	v_dual_mul_f32 v42, v22, v34 :: v_dual_mul_f32 v45, v28, v37
	s_delay_alu instid0(VALU_DEP_2) | instskip(NEXT) | instid1(VALU_DEP_2)
	v_fmac_f32_e32 v39, v47, v31
	v_fma_f32 v50, -v21, v42, v22
	s_waitcnt_depctr 0xfff
	v_fma_f32 v43, -v23, v35, 1.0
	v_and_b32_e32 v12, 0xffff0000, v12
	v_fma_f32 v53, -v27, v45, v28
	v_fma_f32 v15, -v15, v39, v16
	s_delay_alu instid0(VALU_DEP_4) | instskip(NEXT) | instid1(VALU_DEP_4)
	v_dual_fmac_f32 v42, v50, v34 :: v_dual_fmac_f32 v35, v43, v35
	v_div_scale_f32 v25, null, v5, v5, v12
	s_delay_alu instid0(VALU_DEP_4) | instskip(SKIP_1) | instid1(VALU_DEP_3)
	v_fmac_f32_e32 v45, v53, v37
	v_div_scale_f32 v26, s5, v12, v5, v12
	v_rcp_f32_e32 v36, v25
	v_div_fmas_f32 v15, v15, v31, v39
	v_mul_f32_e32 v43, v24, v35
	s_delay_alu instid0(VALU_DEP_2) | instskip(NEXT) | instid1(VALU_DEP_2)
	v_div_fixup_f32 v6, v15, v5, v6
	v_fma_f32 v51, -v23, v43, v24
	s_waitcnt_depctr 0xfff
	v_fma_f32 v44, -v25, v36, 1.0
	v_maxmin_f32 v6, v6, v3, v4
	s_delay_alu instid0(VALU_DEP_2) | instskip(SKIP_2) | instid1(VALU_DEP_3)
	v_dual_fmac_f32 v43, v51, v35 :: v_dual_fmac_f32 v36, v44, v36
	v_div_scale_f32 v17, null, v5, v5, v7
	v_div_scale_f32 v18, s1, v7, v5, v7
	v_mul_f32_e32 v44, v26, v36
	s_delay_alu instid0(VALU_DEP_3) | instskip(SKIP_2) | instid1(VALU_DEP_2)
	v_rcp_f32_e32 v32, v17
	s_mov_b32 vcc_lo, s1
	v_cvt_i32_f32_e32 v6, v6
	v_fma_f32 v52, -v25, v44, v26
	s_delay_alu instid0(VALU_DEP_2) | instskip(SKIP_2) | instid1(VALU_DEP_1)
	v_and_b32_e32 v6, 0xff, v6
	s_waitcnt_depctr 0xfff
	v_fma_f32 v40, -v17, v32, 1.0
	v_dual_fmac_f32 v32, v40, v32 :: v_dual_add_nc_u32 v9, 16, v9
	s_delay_alu instid0(VALU_DEP_1) | instskip(NEXT) | instid1(VALU_DEP_2)
	v_cmp_le_i32_e64 s0, s12, v9
	v_mul_f32_e32 v40, v18, v32
	s_delay_alu instid0(VALU_DEP_2) | instskip(NEXT) | instid1(VALU_DEP_1)
	s_or_b32 s8, s0, s8
	v_fma_f32 v48, -v17, v40, v18
	s_delay_alu instid0(VALU_DEP_1) | instskip(NEXT) | instid1(VALU_DEP_1)
	v_fmac_f32_e32 v40, v48, v32
	v_fma_f32 v16, -v17, v40, v18
	v_fma_f32 v17, -v19, v41, v20
	;; [unrolled: 1-line block ×5, first 2 shown]
	v_div_fmas_f32 v16, v16, v32, v40
	s_mov_b32 vcc_lo, s2
	v_div_fmas_f32 v17, v17, v33, v41
	s_mov_b32 vcc_lo, s3
	s_delay_alu instid0(VALU_DEP_2)
	v_div_fixup_f32 v7, v16, v5, v7
	v_div_fmas_f32 v15, v18, v34, v42
	s_mov_b32 vcc_lo, s4
	v_div_fixup_f32 v8, v17, v5, v8
	v_div_fmas_f32 v16, v19, v35, v43
	v_maxmin_f32 v7, v7, v3, v4
	s_mov_b32 vcc_lo, s5
	v_div_fixup_f32 v10, v15, v5, v10
	v_maxmin_f32 v8, v8, v3, v4
	v_div_fixup_f32 v11, v16, v5, v11
	v_cvt_i32_f32_e32 v7, v7
	v_fmac_f32_e32 v44, v52, v36
	v_maxmin_f32 v10, v10, v3, v4
	v_cvt_i32_f32_e32 v8, v8
	v_maxmin_f32 v11, v11, v3, v4
	v_and_b32_e32 v7, 0xff, v7
	v_fma_f32 v20, -v25, v44, v26
	v_fmac_f32_e32 v46, v54, v38
	v_cvt_i32_f32_e32 v10, v10
	v_and_b32_e32 v8, 0xff, v8
	v_lshlrev_b32_e32 v7, 8, v7
	v_div_fmas_f32 v17, v20, v36, v44
	s_mov_b32 vcc_lo, s6
	v_fma_f32 v22, -v29, v46, v30
	v_div_fmas_f32 v15, v21, v37, v45
	s_mov_b32 vcc_lo, s7
	v_div_fixup_f32 v12, v17, v5, v12
	v_lshlrev_b32_e32 v10, 24, v10
	v_div_fmas_f32 v16, v22, v38, v46
	v_div_fixup_f32 v14, v15, v5, v14
	v_lshlrev_b32_e32 v8, 16, v8
	v_maxmin_f32 v12, v12, v3, v4
	v_cvt_i32_f32_e32 v11, v11
	v_div_fixup_f32 v13, v16, v5, v13
	v_maxmin_f32 v14, v14, v3, v4
	v_or3_b32 v7, v10, v8, v7
	v_cvt_i32_f32_e32 v12, v12
	v_and_b32_e32 v11, 0xff, v11
	v_maxmin_f32 v13, v13, v3, v4
	v_cvt_i32_f32_e32 v14, v14
	v_or_b32_e32 v6, v7, v6
	v_and_b32_e32 v12, 0xff, v12
	s_delay_alu instid0(VALU_DEP_4) | instskip(NEXT) | instid1(VALU_DEP_4)
	v_cvt_i32_f32_e32 v13, v13
	v_and_b32_e32 v14, 0xff, v14
	s_delay_alu instid0(VALU_DEP_3) | instskip(NEXT) | instid1(VALU_DEP_3)
	v_lshlrev_b32_e32 v8, 8, v12
	v_lshlrev_b32_e32 v13, 24, v13
	s_delay_alu instid0(VALU_DEP_3) | instskip(NEXT) | instid1(VALU_DEP_1)
	v_lshlrev_b32_e32 v10, 16, v14
	v_or_b32_e32 v7, v13, v10
	s_delay_alu instid0(VALU_DEP_1)
	v_or3_b32 v7, v7, v8, v11
	global_store_b64 v[0:1], v[6:7], off
	v_add_co_u32 v0, vcc_lo, 0x80, v0
	v_add_co_ci_u32_e32 v1, vcc_lo, 0, v1, vcc_lo
	s_and_not1_b32 exec_lo, exec_lo, s8
	s_cbranch_execnz .LBB25_44
.LBB25_45:
	s_nop 0
	s_sendmsg sendmsg(MSG_DEALLOC_VGPRS)
	s_endpgm
	.section	.rodata,"a",@progbits
	.p2align	6, 0x0
	.amdhsa_kernel _Z33per_token_group_quant_8bit_kernelIN3c108BFloat16EaLb1ELb0EfEvPKT_PvPT3_iiifffii
		.amdhsa_group_segment_fixed_size 0
		.amdhsa_private_segment_fixed_size 0
		.amdhsa_kernarg_size 56
		.amdhsa_user_sgpr_count 15
		.amdhsa_user_sgpr_dispatch_ptr 0
		.amdhsa_user_sgpr_queue_ptr 0
		.amdhsa_user_sgpr_kernarg_segment_ptr 1
		.amdhsa_user_sgpr_dispatch_id 0
		.amdhsa_user_sgpr_private_segment_size 0
		.amdhsa_wavefront_size32 1
		.amdhsa_uses_dynamic_stack 0
		.amdhsa_enable_private_segment 0
		.amdhsa_system_sgpr_workgroup_id_x 1
		.amdhsa_system_sgpr_workgroup_id_y 0
		.amdhsa_system_sgpr_workgroup_id_z 0
		.amdhsa_system_sgpr_workgroup_info 0
		.amdhsa_system_vgpr_workitem_id 0
		.amdhsa_next_free_vgpr 64
		.amdhsa_next_free_sgpr 17
		.amdhsa_reserve_vcc 1
		.amdhsa_float_round_mode_32 0
		.amdhsa_float_round_mode_16_64 0
		.amdhsa_float_denorm_mode_32 3
		.amdhsa_float_denorm_mode_16_64 3
		.amdhsa_dx10_clamp 1
		.amdhsa_ieee_mode 1
		.amdhsa_fp16_overflow 0
		.amdhsa_workgroup_processor_mode 1
		.amdhsa_memory_ordered 1
		.amdhsa_forward_progress 0
		.amdhsa_shared_vgpr_count 0
		.amdhsa_exception_fp_ieee_invalid_op 0
		.amdhsa_exception_fp_denorm_src 0
		.amdhsa_exception_fp_ieee_div_zero 0
		.amdhsa_exception_fp_ieee_overflow 0
		.amdhsa_exception_fp_ieee_underflow 0
		.amdhsa_exception_fp_ieee_inexact 0
		.amdhsa_exception_int_div_zero 0
	.end_amdhsa_kernel
	.section	.text._Z33per_token_group_quant_8bit_kernelIN3c108BFloat16EaLb1ELb0EfEvPKT_PvPT3_iiifffii,"axG",@progbits,_Z33per_token_group_quant_8bit_kernelIN3c108BFloat16EaLb1ELb0EfEvPKT_PvPT3_iiifffii,comdat
.Lfunc_end25:
	.size	_Z33per_token_group_quant_8bit_kernelIN3c108BFloat16EaLb1ELb0EfEvPKT_PvPT3_iiifffii, .Lfunc_end25-_Z33per_token_group_quant_8bit_kernelIN3c108BFloat16EaLb1ELb0EfEvPKT_PvPT3_iiifffii
                                        ; -- End function
	.section	.AMDGPU.csdata,"",@progbits
; Kernel info:
; codeLenInByte = 5956
; NumSgprs: 19
; NumVgprs: 64
; ScratchSize: 0
; MemoryBound: 0
; FloatMode: 240
; IeeeMode: 1
; LDSByteSize: 0 bytes/workgroup (compile time only)
; SGPRBlocks: 2
; VGPRBlocks: 7
; NumSGPRsForWavesPerEU: 19
; NumVGPRsForWavesPerEU: 64
; Occupancy: 16
; WaveLimiterHint : 0
; COMPUTE_PGM_RSRC2:SCRATCH_EN: 0
; COMPUTE_PGM_RSRC2:USER_SGPR: 15
; COMPUTE_PGM_RSRC2:TRAP_HANDLER: 0
; COMPUTE_PGM_RSRC2:TGID_X_EN: 1
; COMPUTE_PGM_RSRC2:TGID_Y_EN: 0
; COMPUTE_PGM_RSRC2:TGID_Z_EN: 0
; COMPUTE_PGM_RSRC2:TIDIG_COMP_CNT: 0
	.section	.text._Z33per_token_group_quant_8bit_kernelIN3c108BFloat16EaLb0ELb1EfEvPKT_PvPT3_iiifffii,"axG",@progbits,_Z33per_token_group_quant_8bit_kernelIN3c108BFloat16EaLb0ELb1EfEvPKT_PvPT3_iiifffii,comdat
	.protected	_Z33per_token_group_quant_8bit_kernelIN3c108BFloat16EaLb0ELb1EfEvPKT_PvPT3_iiifffii ; -- Begin function _Z33per_token_group_quant_8bit_kernelIN3c108BFloat16EaLb0ELb1EfEvPKT_PvPT3_iiifffii
	.globl	_Z33per_token_group_quant_8bit_kernelIN3c108BFloat16EaLb0ELb1EfEvPKT_PvPT3_iiifffii
	.p2align	8
	.type	_Z33per_token_group_quant_8bit_kernelIN3c108BFloat16EaLb0ELb1EfEvPKT_PvPT3_iiifffii,@function
_Z33per_token_group_quant_8bit_kernelIN3c108BFloat16EaLb0ELb1EfEvPKT_PvPT3_iiifffii: ; @_Z33per_token_group_quant_8bit_kernelIN3c108BFloat16EaLb0ELb1EfEvPKT_PvPT3_iiifffii
; %bb.0:
	s_clause 0x1
	s_load_b128 s[8:11], s[0:1], 0x20
	s_load_b32 s12, s[0:1], 0x18
	v_lshrrev_b32_e32 v9, 4, v0
	v_and_b32_e32 v11, 15, v0
                                        ; implicit-def: $vgpr13
	s_waitcnt lgkmcnt(0)
	s_mul_i32 s15, s15, s8
	s_ashr_i32 s4, s12, 31
	v_add_co_u32 v3, s2, s15, v9
	s_delay_alu instid0(VALU_DEP_1) | instskip(SKIP_1) | instid1(VALU_DEP_2)
	v_add_co_ci_u32_e64 v4, null, 0, 0, s2
	s_load_b64 s[2:3], s[0:1], 0x0
	v_mul_lo_u32 v6, v3, s4
	v_mad_u64_u32 v[1:2], null, v3, s12, 0
	s_delay_alu instid0(VALU_DEP_3) | instskip(SKIP_2) | instid1(SALU_CYCLE_1)
	v_mul_lo_u32 v5, v4, s12
	v_mul_lo_u32 v12, v9, s12
	s_and_b32 s5, s12, 7
	s_cmp_eq_u32 s5, 0
	s_cselect_b32 s4, -1, 0
	s_cmp_lg_u32 s5, 0
	s_delay_alu instid0(VALU_DEP_2) | instskip(NEXT) | instid1(VALU_DEP_2)
	v_add3_u32 v2, v2, v6, v5
	v_lshl_add_u32 v0, v12, 1, 0
	s_cselect_b32 s5, -1, 0
	s_delay_alu instid0(VALU_DEP_2) | instskip(SKIP_1) | instid1(VALU_DEP_1)
	v_lshlrev_b64 v[5:6], 1, v[1:2]
	s_waitcnt lgkmcnt(0)
	v_add_co_u32 v7, vcc_lo, s2, v5
	v_mov_b32_e32 v10, 0
	s_delay_alu instid0(VALU_DEP_3) | instskip(NEXT) | instid1(VALU_DEP_3)
	v_add_co_ci_u32_e32 v8, vcc_lo, s3, v6, vcc_lo
	v_and_b32_e32 v9, 15, v7
	s_delay_alu instid0(VALU_DEP_1) | instskip(SKIP_1) | instid1(SALU_CYCLE_1)
	v_cmp_ne_u64_e32 vcc_lo, 0, v[9:10]
	s_or_b32 s5, s5, vcc_lo
	s_and_saveexec_b32 s6, s5
	s_delay_alu instid0(SALU_CYCLE_1)
	s_xor_b32 s5, exec_lo, s6
	s_cbranch_execz .LBB26_12
; %bb.1:
	v_sub_nc_u32_e32 v9, 0, v7
	v_mov_b32_e32 v13, s9
	s_mov_b32 s6, exec_lo
	s_delay_alu instid0(VALU_DEP_2) | instskip(NEXT) | instid1(VALU_DEP_1)
	v_bfe_u32 v9, v9, 1, 3
	v_min_i32_e32 v9, s12, v9
	s_delay_alu instid0(VALU_DEP_1)
	v_cmpx_gt_i32_e64 v9, v11
	s_cbranch_execz .LBB26_3
; %bb.2:
	v_max_f32_e64 v13, s9, s9
	v_lshlrev_b32_e32 v10, 1, v11
	s_delay_alu instid0(VALU_DEP_1) | instskip(SKIP_4) | instid1(VALU_DEP_1)
	v_add_co_u32 v7, vcc_lo, v7, v10
	v_add_co_ci_u32_e32 v8, vcc_lo, 0, v8, vcc_lo
	global_load_u16 v7, v[7:8], off
	s_waitcnt vmcnt(0)
	v_lshlrev_b32_e32 v8, 16, v7
	v_max_f32_e64 v8, |v8|, |v8|
	s_delay_alu instid0(VALU_DEP_1)
	v_dual_max_f32 v13, v13, v8 :: v_dual_add_nc_u32 v10, v0, v10
	ds_store_b16 v10, v7
.LBB26_3:
	s_or_b32 exec_lo, exec_lo, s6
	v_sub_nc_u32_e32 v14, s12, v9
	v_ashrrev_i32_e32 v10, 31, v9
	v_lshlrev_b32_e32 v15, 1, v9
	s_mov_b32 s6, exec_lo
	s_delay_alu instid0(VALU_DEP_3) | instskip(NEXT) | instid1(VALU_DEP_1)
	v_ashrrev_i32_e32 v7, 31, v14
	v_lshrrev_b32_e32 v7, 29, v7
	s_delay_alu instid0(VALU_DEP_1) | instskip(NEXT) | instid1(VALU_DEP_1)
	v_add_nc_u32_e32 v7, v14, v7
	v_ashrrev_i32_e32 v16, 3, v7
	v_lshlrev_b64 v[7:8], 1, v[9:10]
	s_delay_alu instid0(VALU_DEP_2)
	v_cmpx_gt_i32_e64 v16, v11
	s_cbranch_execz .LBB26_7
; %bb.4:
	v_lshlrev_b32_e32 v9, 4, v11
	s_mov_b32 s7, 0
	s_delay_alu instid0(VALU_DEP_1) | instskip(SKIP_2) | instid1(VALU_DEP_3)
	v_add_co_u32 v10, vcc_lo, v5, v9
	v_add_co_ci_u32_e32 v17, vcc_lo, 0, v6, vcc_lo
	v_lshl_add_u32 v9, v12, 1, v9
	v_add_co_u32 v10, vcc_lo, v10, v7
	s_delay_alu instid0(VALU_DEP_3) | instskip(NEXT) | instid1(VALU_DEP_2)
	v_add_co_ci_u32_e32 v17, vcc_lo, v17, v8, vcc_lo
	v_add_co_u32 v10, vcc_lo, v10, s2
	s_delay_alu instid0(VALU_DEP_2) | instskip(SKIP_1) | instid1(VALU_DEP_3)
	v_add_co_ci_u32_e32 v18, vcc_lo, s3, v17, vcc_lo
	v_add3_u32 v17, v9, v15, 0
	v_add_co_u32 v9, vcc_lo, v10, 8
	s_delay_alu instid0(VALU_DEP_3)
	v_add_co_ci_u32_e32 v10, vcc_lo, 0, v18, vcc_lo
	v_mov_b32_e32 v18, v11
	s_set_inst_prefetch_distance 0x1
	.p2align	6
.LBB26_5:                               ; =>This Inner Loop Header: Depth=1
	global_load_b128 v[19:22], v[9:10], off offset:-8
	v_add_nc_u32_e32 v18, 16, v18
	v_add_co_u32 v9, vcc_lo, 0x100, v9
	v_add_co_ci_u32_e32 v10, vcc_lo, 0, v10, vcc_lo
	s_delay_alu instid0(VALU_DEP_3)
	v_cmp_ge_i32_e32 vcc_lo, v18, v16
	s_or_b32 s7, vcc_lo, s7
	s_waitcnt vmcnt(0)
	v_lshlrev_b32_e32 v23, 16, v19
	v_and_b32_e32 v24, 0xffff0000, v19
	v_lshlrev_b32_e32 v25, 16, v20
	v_and_b32_e32 v26, 0xffff0000, v20
	ds_store_b128 v17, v[19:22]
	v_add_nc_u32_e32 v17, 0x100, v17
	v_max3_f32 v13, v13, |v23|, |v24|
	v_lshlrev_b32_e32 v23, 16, v21
	v_and_b32_e32 v24, 0xffff0000, v21
	s_delay_alu instid0(VALU_DEP_3) | instskip(SKIP_2) | instid1(VALU_DEP_3)
	v_max3_f32 v13, v13, |v25|, |v26|
	v_lshlrev_b32_e32 v25, 16, v22
	v_and_b32_e32 v26, 0xffff0000, v22
	v_max3_f32 v13, v13, |v23|, |v24|
	s_delay_alu instid0(VALU_DEP_1)
	v_max3_f32 v13, v13, |v25|, |v26|
	s_and_not1_b32 exec_lo, exec_lo, s7
	s_cbranch_execnz .LBB26_5
; %bb.6:
	s_set_inst_prefetch_distance 0x2
	s_or_b32 exec_lo, exec_lo, s7
.LBB26_7:
	s_delay_alu instid0(SALU_CYCLE_1) | instskip(SKIP_2) | instid1(VALU_DEP_1)
	s_or_b32 exec_lo, exec_lo, s6
	v_lshl_add_u32 v9, v16, 3, v11
	s_mov_b32 s6, exec_lo
	v_cmpx_lt_i32_e64 v9, v14
	s_cbranch_execz .LBB26_11
; %bb.8:
	v_ashrrev_i32_e32 v10, 31, v9
	v_lshlrev_b32_e32 v19, 4, v16
	v_add_co_u32 v5, vcc_lo, v5, v7
	v_lshlrev_b32_e32 v18, 1, v12
	s_delay_alu instid0(VALU_DEP_4) | instskip(SKIP_2) | instid1(VALU_DEP_4)
	v_lshlrev_b64 v[16:17], 1, v[9:10]
	v_add_co_ci_u32_e32 v6, vcc_lo, v6, v8, vcc_lo
	v_lshlrev_b32_e32 v20, 1, v11
	v_add3_u32 v7, v18, v19, v15
	s_mov_b32 s7, 0
	s_delay_alu instid0(VALU_DEP_4) | instskip(SKIP_1) | instid1(VALU_DEP_3)
	v_add_co_u32 v5, vcc_lo, v5, v16
	v_add_co_ci_u32_e32 v6, vcc_lo, v6, v17, vcc_lo
	v_add3_u32 v7, v7, v20, 0
	s_delay_alu instid0(VALU_DEP_3) | instskip(NEXT) | instid1(VALU_DEP_3)
	v_add_co_u32 v5, vcc_lo, s2, v5
	v_add_co_ci_u32_e32 v6, vcc_lo, s3, v6, vcc_lo
	.p2align	6
.LBB26_9:                               ; =>This Inner Loop Header: Depth=1
	global_load_u16 v8, v[5:6], off
	v_max_f32_e32 v10, v13, v13
	v_add_nc_u32_e32 v9, 16, v9
	v_add_co_u32 v5, vcc_lo, v5, 32
	v_add_co_ci_u32_e32 v6, vcc_lo, 0, v6, vcc_lo
	s_delay_alu instid0(VALU_DEP_3)
	v_cmp_ge_i32_e32 vcc_lo, v9, v14
	s_or_b32 s7, vcc_lo, s7
	s_waitcnt vmcnt(0)
	v_lshlrev_b32_e32 v13, 16, v8
	ds_store_b16 v7, v8
	v_add_nc_u32_e32 v7, 32, v7
	v_max_f32_e64 v13, |v13|, |v13|
	s_delay_alu instid0(VALU_DEP_1)
	v_max_f32_e32 v13, v10, v13
	s_and_not1_b32 exec_lo, exec_lo, s7
	s_cbranch_execnz .LBB26_9
; %bb.10:
	s_or_b32 exec_lo, exec_lo, s7
.LBB26_11:
	s_delay_alu instid0(SALU_CYCLE_1)
	s_or_b32 exec_lo, exec_lo, s6
                                        ; implicit-def: $vgpr5_vgpr6
.LBB26_12:
	s_and_not1_saveexec_b32 s5, s5
	s_cbranch_execz .LBB26_18
; %bb.13:
	v_mov_b32_e32 v13, s9
	s_ashr_i32 s7, s12, 3
	s_mov_b32 s6, exec_lo
	v_cmpx_gt_i32_e64 s7, v11
	s_cbranch_execz .LBB26_17
; %bb.14:
	v_lshlrev_b32_e32 v7, 4, v11
	v_dual_mov_b32 v13, s9 :: v_dual_lshlrev_b32 v8, 1, v12
	s_delay_alu instid0(VALU_DEP_2) | instskip(SKIP_1) | instid1(VALU_DEP_3)
	v_add_co_u32 v5, vcc_lo, v5, v7
	v_add_co_ci_u32_e32 v6, vcc_lo, 0, v6, vcc_lo
	v_add3_u32 v7, v8, v7, 0
	s_delay_alu instid0(VALU_DEP_3) | instskip(NEXT) | instid1(VALU_DEP_3)
	v_add_co_u32 v5, vcc_lo, v5, s2
	v_add_co_ci_u32_e32 v6, vcc_lo, s3, v6, vcc_lo
	v_mov_b32_e32 v8, v11
	s_delay_alu instid0(VALU_DEP_3) | instskip(NEXT) | instid1(VALU_DEP_3)
	v_add_co_u32 v5, vcc_lo, v5, 8
	v_add_co_ci_u32_e32 v6, vcc_lo, 0, v6, vcc_lo
	s_mov_b32 s2, 0
	s_set_inst_prefetch_distance 0x1
	.p2align	6
.LBB26_15:                              ; =>This Inner Loop Header: Depth=1
	global_load_b128 v[14:17], v[5:6], off offset:-8
	v_add_nc_u32_e32 v8, 16, v8
	v_add_co_u32 v5, vcc_lo, 0x100, v5
	v_add_co_ci_u32_e32 v6, vcc_lo, 0, v6, vcc_lo
	s_delay_alu instid0(VALU_DEP_3)
	v_cmp_le_i32_e32 vcc_lo, s7, v8
	s_or_b32 s2, vcc_lo, s2
	s_waitcnt vmcnt(0)
	v_lshlrev_b32_e32 v9, 16, v14
	v_and_b32_e32 v10, 0xffff0000, v14
	v_lshlrev_b32_e32 v18, 16, v15
	v_and_b32_e32 v19, 0xffff0000, v15
	ds_store_b128 v7, v[14:17]
	v_add_nc_u32_e32 v7, 0x100, v7
	v_max3_f32 v9, v13, |v9|, |v10|
	v_lshlrev_b32_e32 v10, 16, v16
	v_and_b32_e32 v13, 0xffff0000, v16
	s_delay_alu instid0(VALU_DEP_3) | instskip(SKIP_2) | instid1(VALU_DEP_3)
	v_max3_f32 v9, v9, |v18|, |v19|
	v_lshlrev_b32_e32 v18, 16, v17
	v_and_b32_e32 v19, 0xffff0000, v17
	v_max3_f32 v9, v9, |v10|, |v13|
	s_delay_alu instid0(VALU_DEP_1)
	v_max3_f32 v13, v9, |v18|, |v19|
	s_and_not1_b32 exec_lo, exec_lo, s2
	s_cbranch_execnz .LBB26_15
; %bb.16:
	s_set_inst_prefetch_distance 0x2
	s_or_b32 exec_lo, exec_lo, s2
.LBB26_17:
	s_delay_alu instid0(SALU_CYCLE_1)
	s_or_b32 exec_lo, exec_lo, s6
.LBB26_18:
	s_delay_alu instid0(SALU_CYCLE_1) | instskip(SKIP_4) | instid1(VALU_DEP_2)
	s_or_b32 exec_lo, exec_lo, s5
	v_mbcnt_lo_u32_b32 v5, -1, 0
	s_load_b64 s[8:9], s[0:1], 0x8
	s_mov_b32 s2, exec_lo
	v_max_f32_e32 v9, v13, v13
	v_xor_b32_e32 v7, 8, v5
	v_and_b32_e32 v6, 16, v5
	v_xor_b32_e32 v8, 4, v5
	s_delay_alu instid0(VALU_DEP_2) | instskip(NEXT) | instid1(VALU_DEP_1)
	v_add_nc_u32_e32 v6, 16, v6
	v_cmp_lt_i32_e32 vcc_lo, v7, v6
	v_cndmask_b32_e32 v7, v5, v7, vcc_lo
	s_delay_alu instid0(VALU_DEP_4) | instskip(NEXT) | instid1(VALU_DEP_2)
	v_cmp_lt_i32_e32 vcc_lo, v8, v6
	v_dual_cndmask_b32 v8, v5, v8 :: v_dual_lshlrev_b32 v7, 2, v7
	ds_bpermute_b32 v7, v7, v13
	s_waitcnt lgkmcnt(0)
	v_dual_max_f32 v7, v7, v7 :: v_dual_lshlrev_b32 v8, 2, v8
	s_delay_alu instid0(VALU_DEP_1)
	v_max_f32_e32 v7, v9, v7
	v_xor_b32_e32 v9, 2, v5
	ds_bpermute_b32 v8, v8, v7
	v_cmp_lt_i32_e32 vcc_lo, v9, v6
	s_waitcnt lgkmcnt(0)
	v_dual_cndmask_b32 v9, v5, v9 :: v_dual_max_f32 v8, v8, v8
	s_delay_alu instid0(VALU_DEP_1) | instskip(NEXT) | instid1(VALU_DEP_2)
	v_max_f32_e32 v7, v7, v8
	v_lshlrev_b32_e32 v9, 2, v9
	ds_bpermute_b32 v8, v9, v7
	v_xor_b32_e32 v9, 1, v5
	s_delay_alu instid0(VALU_DEP_1) | instskip(SKIP_2) | instid1(VALU_DEP_1)
	v_cmp_lt_i32_e32 vcc_lo, v9, v6
	v_cndmask_b32_e32 v5, v5, v9, vcc_lo
	s_waitcnt lgkmcnt(0)
	v_dual_max_f32 v6, v8, v8 :: v_dual_lshlrev_b32 v5, 2, v5
	s_delay_alu instid0(VALU_DEP_1) | instskip(SKIP_3) | instid1(VALU_DEP_1)
	v_max_f32_e32 v6, v7, v6
	ds_bpermute_b32 v5, v5, v6
	s_waitcnt lgkmcnt(0)
	v_max_f32_e32 v5, v5, v5
	v_max_f32_e32 v5, v6, v5
	s_delay_alu instid0(VALU_DEP_1) | instskip(SKIP_1) | instid1(VALU_DEP_2)
	v_div_scale_f32 v6, null, s11, s11, v5
	v_div_scale_f32 v9, vcc_lo, v5, s11, v5
	v_rcp_f32_e32 v7, v6
	s_waitcnt_depctr 0xfff
	v_fma_f32 v8, -v6, v7, 1.0
	s_delay_alu instid0(VALU_DEP_1) | instskip(NEXT) | instid1(VALU_DEP_1)
	v_fmac_f32_e32 v7, v8, v7
	v_mul_f32_e32 v8, v9, v7
	s_delay_alu instid0(VALU_DEP_1) | instskip(NEXT) | instid1(VALU_DEP_1)
	v_fma_f32 v10, -v6, v8, v9
	v_fmac_f32_e32 v8, v10, v7
	s_delay_alu instid0(VALU_DEP_1) | instskip(NEXT) | instid1(VALU_DEP_1)
	v_fma_f32 v6, -v6, v8, v9
	v_div_fmas_f32 v6, v6, v7, v8
	s_delay_alu instid0(VALU_DEP_1) | instskip(NEXT) | instid1(VALU_DEP_1)
	v_div_fixup_f32 v5, v6, s11, v5
	v_max_f32_e64 v5, 0x2edbe6ff, |v5|
	s_delay_alu instid0(VALU_DEP_1) | instskip(SKIP_1) | instid1(VALU_DEP_1)
	v_cmp_gt_f32_e32 vcc_lo, 0x800000, v5
	v_cndmask_b32_e64 v6, 1.0, 0x4f800000, vcc_lo
	v_mul_f32_e32 v5, v5, v6
	v_cndmask_b32_e64 v6, 0, 0x42000000, vcc_lo
	s_delay_alu instid0(VALU_DEP_2) | instskip(SKIP_2) | instid1(VALU_DEP_1)
	v_log_f32_e32 v5, v5
	s_waitcnt_depctr 0xfff
	v_sub_f32_e32 v5, v5, v6
	v_ceil_f32_e32 v5, v5
	s_delay_alu instid0(VALU_DEP_1) | instskip(SKIP_1) | instid1(VALU_DEP_1)
	v_cmp_gt_f32_e32 vcc_lo, 0xc2fc0000, v5
	v_cndmask_b32_e64 v6, 0, 0x42800000, vcc_lo
	v_add_f32_e32 v5, v5, v6
	v_cndmask_b32_e64 v6, 1.0, 0x1f800000, vcc_lo
	s_delay_alu instid0(VALU_DEP_2)
	v_exp_f32_e32 v5, v5
	s_waitcnt_depctr 0xfff
	v_mul_f32_e32 v5, v5, v6
	v_cmpx_eq_u32_e32 0, v11
	s_cbranch_execz .LBB26_20
; %bb.19:
	s_load_b64 s[0:1], s[0:1], 0x10
	v_lshlrev_b64 v[3:4], 2, v[3:4]
	s_waitcnt lgkmcnt(0)
	s_delay_alu instid0(VALU_DEP_1) | instskip(NEXT) | instid1(VALU_DEP_2)
	v_add_co_u32 v3, vcc_lo, s0, v3
	v_add_co_ci_u32_e32 v4, vcc_lo, s1, v4, vcc_lo
	global_store_b32 v[3:4], v5, off
.LBB26_20:
	s_or_b32 exec_lo, exec_lo, s2
	v_dual_mov_b32 v4, 0 :: v_dual_and_b32 v3, 15, v0
	s_xor_b32 s0, s4, -1
	s_waitcnt_vscnt null, 0x0
	s_barrier
	buffer_gl0_inv
	v_cmp_ne_u64_e32 vcc_lo, 0, v[3:4]
	s_or_b32 s0, s0, vcc_lo
	s_delay_alu instid0(SALU_CYCLE_1) | instskip(NEXT) | instid1(SALU_CYCLE_1)
	s_and_saveexec_b32 s1, s0
	s_xor_b32 s13, exec_lo, s1
	s_cbranch_execz .LBB26_37
; %bb.21:
	v_sub_nc_u32_e32 v3, 0, v0
	v_add_co_u32 v7, vcc_lo, s8, v1
	v_add_co_ci_u32_e32 v8, vcc_lo, s9, v2, vcc_lo
	s_delay_alu instid0(VALU_DEP_3) | instskip(SKIP_1) | instid1(VALU_DEP_1)
	v_bfe_u32 v3, v3, 1, 3
	s_mov_b32 s0, exec_lo
	v_min_i32_e32 v6, s12, v3
	s_delay_alu instid0(VALU_DEP_1)
	v_cmpx_gt_i32_e64 v6, v11
	s_cbranch_execz .LBB26_23
; %bb.22:
	v_lshl_add_u32 v0, v11, 1, v0
	ds_load_u16 v0, v0
	s_waitcnt lgkmcnt(0)
	v_lshlrev_b32_e32 v0, 16, v0
	s_delay_alu instid0(VALU_DEP_1) | instskip(SKIP_1) | instid1(VALU_DEP_2)
	v_div_scale_f32 v3, null, v5, v5, v0
	v_div_scale_f32 v10, vcc_lo, v0, v5, v0
	v_rcp_f32_e32 v4, v3
	s_waitcnt_depctr 0xfff
	v_fma_f32 v9, -v3, v4, 1.0
	s_delay_alu instid0(VALU_DEP_1) | instskip(NEXT) | instid1(VALU_DEP_1)
	v_fmac_f32_e32 v4, v9, v4
	v_mul_f32_e32 v9, v10, v4
	s_delay_alu instid0(VALU_DEP_1) | instskip(NEXT) | instid1(VALU_DEP_1)
	v_fma_f32 v13, -v3, v9, v10
	v_fmac_f32_e32 v9, v13, v4
	s_delay_alu instid0(VALU_DEP_1) | instskip(NEXT) | instid1(VALU_DEP_1)
	v_fma_f32 v3, -v3, v9, v10
	v_div_fmas_f32 v3, v3, v4, v9
	v_max_f32_e64 v4, s10, s10
	s_delay_alu instid0(VALU_DEP_2) | instskip(SKIP_1) | instid1(VALU_DEP_1)
	v_div_fixup_f32 v0, v3, v5, v0
	v_max_f32_e64 v3, s11, s11
	v_maxmin_f32 v0, v0, v4, v3
	v_add_co_u32 v3, vcc_lo, v7, v11
	v_add_co_ci_u32_e32 v4, vcc_lo, 0, v8, vcc_lo
	s_delay_alu instid0(VALU_DEP_3)
	v_cvt_i32_f32_e32 v0, v0
	global_store_b8 v[3:4], v0, off
.LBB26_23:
	s_or_b32 exec_lo, exec_lo, s0
	v_sub_nc_u32_e32 v3, s12, v6
	v_ashrrev_i32_e32 v10, 31, v6
	v_lshlrev_b32_e32 v4, 1, v6
	s_mov_b32 s14, exec_lo
	s_delay_alu instid0(VALU_DEP_3) | instskip(NEXT) | instid1(VALU_DEP_1)
	v_ashrrev_i32_e32 v0, 31, v3
	v_lshrrev_b32_e32 v0, 29, v0
	s_delay_alu instid0(VALU_DEP_1) | instskip(NEXT) | instid1(VALU_DEP_1)
	v_add_nc_u32_e32 v0, v3, v0
	v_ashrrev_i32_e32 v9, 3, v0
	s_delay_alu instid0(VALU_DEP_1)
	v_cmpx_gt_i32_e64 v9, v11
	s_cbranch_execz .LBB26_26
; %bb.24:
	v_dual_mov_b32 v15, v11 :: v_dual_lshlrev_b32 v0, 4, v11
	v_lshlrev_b32_e32 v13, 3, v11
	v_add_co_u32 v1, vcc_lo, v6, v1
	v_add_co_ci_u32_e32 v2, vcc_lo, v10, v2, vcc_lo
	s_delay_alu instid0(VALU_DEP_4) | instskip(SKIP_1) | instid1(VALU_DEP_4)
	v_lshl_add_u32 v0, v12, 1, v0
	v_lshlrev_b32_e32 v14, 1, v6
	v_add_co_u32 v1, vcc_lo, v1, v13
	s_delay_alu instid0(VALU_DEP_4) | instskip(NEXT) | instid1(VALU_DEP_3)
	v_add_co_ci_u32_e32 v13, vcc_lo, 0, v2, vcc_lo
	v_add3_u32 v2, v0, v14, 0
	s_delay_alu instid0(VALU_DEP_3) | instskip(NEXT) | instid1(VALU_DEP_3)
	v_add_co_u32 v0, vcc_lo, s8, v1
	v_add_co_ci_u32_e32 v1, vcc_lo, s9, v13, vcc_lo
	v_max_f32_e64 v13, s10, s10
	v_max_f32_e64 v14, s11, s11
	s_mov_b32 s15, 0
.LBB26_25:                              ; =>This Inner Loop Header: Depth=1
	ds_load_b128 v[16:19], v2
	s_waitcnt lgkmcnt(0)
	v_lshlrev_b32_e32 v23, 16, v19
	v_and_b32_e32 v19, 0xffff0000, v19
	v_lshlrev_b32_e32 v21, 16, v17
	s_delay_alu instid0(VALU_DEP_3) | instskip(NEXT) | instid1(VALU_DEP_3)
	v_div_scale_f32 v36, null, v5, v5, v23
	v_div_scale_f32 v38, null, v5, v5, v19
	s_delay_alu instid0(VALU_DEP_3) | instskip(NEXT) | instid1(VALU_DEP_3)
	v_div_scale_f32 v28, null, v5, v5, v21
	v_rcp_f32_e32 v46, v36
	s_delay_alu instid0(VALU_DEP_2) | instskip(NEXT) | instid1(VALU_DEP_1)
	v_rcp_f32_e32 v47, v38
	v_rcp_f32_e32 v42, v28
	s_delay_alu instid0(TRANS32_DEP_3)
	v_fma_f32 v54, -v36, v46, 1.0
	s_waitcnt_depctr 0xfff
	v_fma_f32 v55, -v38, v47, 1.0
	v_lshlrev_b32_e32 v22, 16, v18
	v_and_b32_e32 v18, 0xffff0000, v18
	v_fma_f32 v50, -v28, v42, 1.0
	s_delay_alu instid0(VALU_DEP_4) | instskip(NEXT) | instid1(VALU_DEP_4)
	v_dual_fmac_f32 v46, v54, v46 :: v_dual_fmac_f32 v47, v55, v47
	v_div_scale_f32 v32, null, v5, v5, v22
	s_delay_alu instid0(VALU_DEP_4) | instskip(NEXT) | instid1(VALU_DEP_4)
	v_div_scale_f32 v34, null, v5, v5, v18
	v_fmac_f32_e32 v42, v50, v42
	s_delay_alu instid0(VALU_DEP_3) | instskip(SKIP_1) | instid1(VALU_DEP_3)
	v_rcp_f32_e32 v44, v32
	v_div_scale_f32 v29, s2, v21, v5, v21
	v_rcp_f32_e32 v45, v34
	v_div_scale_f32 v33, s4, v22, v5, v22
	v_div_scale_f32 v37, s6, v23, v5, v23
	s_waitcnt_depctr 0xfff
	v_fma_f32 v52, -v32, v44, 1.0
	v_and_b32_e32 v17, 0xffff0000, v17
	v_fma_f32 v53, -v34, v45, 1.0
	s_delay_alu instid0(VALU_DEP_3) | instskip(NEXT) | instid1(VALU_DEP_3)
	v_fmac_f32_e32 v44, v52, v44
	v_div_scale_f32 v30, null, v5, v5, v17
	v_div_scale_f32 v31, s3, v17, v5, v17
	s_delay_alu instid0(VALU_DEP_4) | instskip(NEXT) | instid1(VALU_DEP_3)
	v_fmac_f32_e32 v45, v53, v45
	v_rcp_f32_e32 v43, v30
	s_waitcnt_depctr 0xfff
	v_fma_f32 v51, -v30, v43, 1.0
	v_lshlrev_b32_e32 v20, 16, v16
	s_delay_alu instid0(VALU_DEP_2) | instskip(NEXT) | instid1(VALU_DEP_2)
	v_dual_fmac_f32 v43, v51, v43 :: v_dual_and_b32 v16, 0xffff0000, v16
	v_div_scale_f32 v24, null, v5, v5, v20
	s_delay_alu instid0(VALU_DEP_2) | instskip(SKIP_1) | instid1(VALU_DEP_3)
	v_div_scale_f32 v26, null, v5, v5, v16
	v_div_scale_f32 v25, vcc_lo, v20, v5, v20
	v_rcp_f32_e32 v40, v24
	s_delay_alu instid0(VALU_DEP_2) | instskip(SKIP_2) | instid1(VALU_DEP_1)
	v_rcp_f32_e32 v41, v26
	v_div_scale_f32 v27, s1, v16, v5, v16
	v_dual_mul_f32 v50, v29, v42 :: v_dual_mul_f32 v51, v31, v43
	v_fma_f32 v58, -v28, v50, v29
	s_waitcnt_depctr 0xfff
	v_fma_f32 v48, -v24, v40, 1.0
	v_fma_f32 v49, -v26, v41, 1.0
	v_add_nc_u32_e32 v15, 16, v15
	v_add_nc_u32_e32 v2, 0x100, v2
	v_fma_f32 v59, -v30, v51, v31
	s_delay_alu instid0(VALU_DEP_4) | instskip(SKIP_2) | instid1(VALU_DEP_3)
	v_dual_fmac_f32 v40, v48, v40 :: v_dual_fmac_f32 v41, v49, v41
	v_fmac_f32_e32 v50, v58, v42
	v_cmp_ge_i32_e64 s0, v15, v9
	v_dual_fmac_f32 v51, v59, v43 :: v_dual_mul_f32 v48, v25, v40
	s_delay_alu instid0(VALU_DEP_4) | instskip(SKIP_2) | instid1(VALU_DEP_4)
	v_mul_f32_e32 v49, v27, v41
	v_div_scale_f32 v35, s5, v18, v5, v18
	v_mul_f32_e32 v52, v33, v44
	v_fma_f32 v56, -v24, v48, v25
	s_delay_alu instid0(VALU_DEP_4) | instskip(NEXT) | instid1(VALU_DEP_4)
	v_fma_f32 v57, -v26, v49, v27
	v_mul_f32_e32 v53, v35, v45
	v_div_scale_f32 v39, s7, v19, v5, v19
	s_delay_alu instid0(VALU_DEP_3) | instskip(NEXT) | instid1(VALU_DEP_2)
	v_dual_fmac_f32 v48, v56, v40 :: v_dual_fmac_f32 v49, v57, v41
	v_dual_mul_f32 v54, v37, v46 :: v_dual_mul_f32 v55, v39, v47
	v_fma_f32 v60, -v32, v52, v33
	v_fma_f32 v61, -v34, v53, v35
	s_delay_alu instid0(VALU_DEP_4) | instskip(NEXT) | instid1(VALU_DEP_4)
	v_fma_f32 v24, -v24, v48, v25
	v_fma_f32 v62, -v36, v54, v37
	;; [unrolled: 1-line block ×3, first 2 shown]
	s_delay_alu instid0(VALU_DEP_4)
	v_dual_fmac_f32 v52, v60, v44 :: v_dual_fmac_f32 v53, v61, v45
	v_fma_f32 v26, -v28, v50, v29
	v_div_fmas_f32 v24, v24, v40, v48
	s_mov_b32 vcc_lo, s1
	v_fma_f32 v27, -v30, v51, v31
	v_fma_f32 v63, -v38, v55, v39
	v_fmac_f32_e32 v54, v62, v46
	v_div_fmas_f32 v25, v25, v41, v49
	s_mov_b32 vcc_lo, s2
	v_fma_f32 v28, -v32, v52, v33
	v_fmac_f32_e32 v55, v63, v47
	v_div_fmas_f32 v26, v26, v42, v50
	s_mov_b32 vcc_lo, s3
	v_fma_f32 v29, -v34, v53, v35
	v_div_fixup_f32 v20, v24, v5, v20
	v_div_fmas_f32 v24, v27, v43, v51
	s_mov_b32 vcc_lo, s4
	v_fma_f32 v30, -v36, v54, v37
	v_div_fixup_f32 v16, v25, v5, v16
	v_div_fmas_f32 v25, v28, v44, v52
	s_mov_b32 vcc_lo, s5
	v_div_fixup_f32 v21, v26, v5, v21
	v_div_fmas_f32 v26, v29, v45, v53
	s_mov_b32 vcc_lo, s6
	v_fma_f32 v31, -v38, v55, v39
	v_div_fixup_f32 v17, v24, v5, v17
	v_div_fmas_f32 v24, v30, v46, v54
	s_mov_b32 vcc_lo, s7
	v_maxmin_f32 v16, v16, v13, v14
	v_div_fixup_f32 v22, v25, v5, v22
	v_maxmin_f32 v21, v21, v13, v14
	v_div_fmas_f32 v25, v31, v47, v55
	v_div_fixup_f32 v18, v26, v5, v18
	v_div_fixup_f32 v23, v24, v5, v23
	v_maxmin_f32 v17, v17, v13, v14
	v_cvt_i32_f32_e32 v16, v16
	v_cvt_i32_f32_e32 v21, v21
	v_div_fixup_f32 v19, v25, v5, v19
	v_maxmin_f32 v18, v18, v13, v14
	v_maxmin_f32 v23, v23, v13, v14
	v_cvt_i32_f32_e32 v17, v17
	v_and_b32_e32 v16, 0xff, v16
	v_maxmin_f32 v19, v19, v13, v14
	v_and_b32_e32 v21, 0xff, v21
	v_cvt_i32_f32_e32 v18, v18
	v_cvt_i32_f32_e32 v23, v23
	v_maxmin_f32 v20, v20, v13, v14
	v_maxmin_f32 v22, v22, v13, v14
	v_lshlrev_b32_e32 v17, 24, v17
	v_lshlrev_b32_e32 v16, 8, v16
	v_cvt_i32_f32_e32 v19, v19
	v_lshlrev_b32_e32 v21, 16, v21
	v_and_b32_e32 v18, 0xff, v18
	v_and_b32_e32 v23, 0xff, v23
	v_cvt_i32_f32_e32 v20, v20
	v_cvt_i32_f32_e32 v22, v22
	v_lshlrev_b32_e32 v19, 24, v19
	v_or3_b32 v16, v17, v21, v16
	v_lshlrev_b32_e32 v17, 8, v18
	v_lshlrev_b32_e32 v18, 16, v23
	v_and_b32_e32 v20, 0xff, v20
	v_and_b32_e32 v22, 0xff, v22
	s_or_b32 s15, s0, s15
	s_delay_alu instid0(VALU_DEP_3) | instskip(NEXT) | instid1(VALU_DEP_3)
	v_or_b32_e32 v18, v19, v18
	v_or_b32_e32 v16, v16, v20
	s_delay_alu instid0(VALU_DEP_2)
	v_or3_b32 v17, v18, v17, v22
	global_store_b64 v[0:1], v[16:17], off
	v_add_co_u32 v0, vcc_lo, 0x80, v0
	v_add_co_ci_u32_e32 v1, vcc_lo, 0, v1, vcc_lo
	s_and_not1_b32 exec_lo, exec_lo, s15
	s_cbranch_execnz .LBB26_25
.LBB26_26:
	s_or_b32 exec_lo, exec_lo, s14
	v_lshlrev_b32_e32 v2, 3, v9
	s_mov_b32 s2, exec_lo
	s_delay_alu instid0(VALU_DEP_1) | instskip(NEXT) | instid1(VALU_DEP_1)
	v_add_nc_u32_e32 v0, v2, v11
	v_cmpx_lt_i32_e64 v0, v3
	s_cbranch_execz .LBB26_36
; %bb.27:
	v_add_nc_u32_e32 v1, 16, v0
	v_add_co_u32 v7, vcc_lo, v7, v6
	v_add_co_ci_u32_e32 v8, vcc_lo, v8, v10, vcc_lo
	s_delay_alu instid0(VALU_DEP_3) | instskip(SKIP_2) | instid1(VALU_DEP_1)
	v_max_i32_e32 v13, v1, v3
	s_mov_b32 s0, 0
                                        ; implicit-def: $vgpr10
	s_mov_b32 s1, exec_lo
	v_xad_u32 v13, v11, -1, v13
	s_delay_alu instid0(VALU_DEP_1) | instskip(NEXT) | instid1(VALU_DEP_1)
	v_sub_nc_u32_e32 v2, v13, v2
	v_cmpx_lt_u32_e32 15, v2
	s_xor_b32 s3, exec_lo, s1
	s_cbranch_execnz .LBB26_30
; %bb.28:
	s_and_not1_saveexec_b32 s1, s3
	s_cbranch_execnz .LBB26_33
.LBB26_29:
	s_or_b32 exec_lo, exec_lo, s1
	s_delay_alu instid0(SALU_CYCLE_1)
	s_and_b32 exec_lo, exec_lo, s0
	s_cbranch_execnz .LBB26_34
	s_branch .LBB26_36
.LBB26_30:
	v_lshrrev_b32_e32 v2, 4, v2
	v_lshlrev_b32_e32 v4, 1, v6
	v_lshlrev_b32_e32 v10, 1, v12
	s_mov_b32 s0, s10
	s_mov_b32 s1, s10
	v_add_nc_u32_e32 v6, 1, v2
	v_lshlrev_b32_e32 v2, 1, v11
	s_mov_b32 s4, s11
	s_mov_b32 s5, s11
	v_max_f32_e64 v13, s1, s1
	v_and_b32_e32 v11, 0x1ffffffe, v6
	v_dual_mov_b32 v9, v5 :: v_dual_lshlrev_b32 v12, 4, v9
	v_max_f32_e64 v14, s0, s0
	v_max_f32_e64 v15, s4, s4
	s_delay_alu instid0(VALU_DEP_4) | instskip(NEXT) | instid1(VALU_DEP_4)
	v_mov_b32_e32 v17, v11
	v_add3_u32 v12, v10, v12, v4
	v_max_f32_e64 v16, s5, s5
	s_mov_b32 s4, 0
	s_delay_alu instid0(VALU_DEP_2)
	v_add3_u32 v12, v12, v2, 0
	v_mov_b32_e32 v2, v1
	v_mov_b32_e32 v1, v0
.LBB26_31:                              ; =>This Inner Loop Header: Depth=1
	ds_load_u16 v19, v12 offset:32
	ds_load_u16 v20, v12
	v_ashrrev_i32_e32 v21, 31, v2
	v_mov_b32_e32 v22, v2
	v_ashrrev_i32_e32 v23, 31, v1
	v_add_co_u32 v18, s0, v7, v1
	v_add_nc_u32_e32 v1, 32, v1
	v_add_nc_u32_e32 v12, 64, v12
	s_waitcnt lgkmcnt(1)
	v_lshlrev_b32_e32 v24, 16, v19
	s_waitcnt lgkmcnt(0)
	v_lshlrev_b32_e32 v20, 16, v20
	s_delay_alu instid0(VALU_DEP_2) | instskip(NEXT) | instid1(VALU_DEP_2)
	v_div_scale_f32 v19, null, v9, v9, v24
	v_div_scale_f32 v25, null, v5, v5, v20
	v_div_scale_f32 v29, s1, v20, v5, v20
	s_delay_alu instid0(VALU_DEP_3) | instskip(NEXT) | instid1(VALU_DEP_2)
	v_rcp_f32_e32 v26, v19
	v_rcp_f32_e32 v27, v25
	v_div_scale_f32 v28, vcc_lo, v24, v9, v24
	s_waitcnt_depctr 0xfff
	v_fma_f32 v30, -v19, v26, 1.0
	v_fma_f32 v31, -v25, v27, 1.0
	v_add_nc_u32_e32 v2, 32, v2
	s_delay_alu instid0(VALU_DEP_3) | instskip(NEXT) | instid1(VALU_DEP_3)
	v_dual_fmac_f32 v26, v30, v26 :: v_dual_add_nc_u32 v17, -2, v17
	v_fmac_f32_e32 v27, v31, v27
	s_delay_alu instid0(VALU_DEP_1) | instskip(NEXT) | instid1(VALU_DEP_1)
	v_mul_f32_e32 v31, v29, v27
	v_fma_f32 v33, -v25, v31, v29
	s_delay_alu instid0(VALU_DEP_1) | instskip(NEXT) | instid1(VALU_DEP_1)
	v_dual_mul_f32 v30, v28, v26 :: v_dual_fmac_f32 v31, v33, v27
	v_fma_f32 v32, -v19, v30, v28
	s_delay_alu instid0(VALU_DEP_2) | instskip(NEXT) | instid1(VALU_DEP_2)
	v_fma_f32 v25, -v25, v31, v29
	v_fmac_f32_e32 v30, v32, v26
	s_delay_alu instid0(VALU_DEP_1) | instskip(NEXT) | instid1(VALU_DEP_1)
	v_fma_f32 v19, -v19, v30, v28
	v_div_fmas_f32 v26, v19, v26, v30
	s_mov_b32 vcc_lo, s1
	v_div_fmas_f32 v25, v25, v27, v31
	v_add_co_ci_u32_e64 v19, vcc_lo, v8, v23, s0
	s_delay_alu instid0(VALU_DEP_3) | instskip(NEXT) | instid1(VALU_DEP_3)
	v_div_fixup_f32 v23, v26, v9, v24
	v_div_fixup_f32 v24, v25, v5, v20
	v_add_co_u32 v20, vcc_lo, v7, v22
	s_delay_alu instid0(VALU_DEP_3) | instskip(SKIP_1) | instid1(VALU_DEP_4)
	v_maxmin_f32 v22, v23, v13, v16
	v_add_co_ci_u32_e32 v21, vcc_lo, v8, v21, vcc_lo
	v_maxmin_f32 v23, v24, v14, v15
	v_cmp_eq_u32_e32 vcc_lo, 0, v17
	s_delay_alu instid0(VALU_DEP_4) | instskip(NEXT) | instid1(VALU_DEP_3)
	v_cvt_i32_f32_e32 v22, v22
	v_cvt_i32_f32_e32 v23, v23
	s_or_b32 s4, vcc_lo, s4
	s_clause 0x1
	global_store_b8 v[18:19], v23, off
	global_store_b8 v[20:21], v22, off
	s_and_not1_b32 exec_lo, exec_lo, s4
	s_cbranch_execnz .LBB26_31
; %bb.32:
	s_or_b32 exec_lo, exec_lo, s4
	v_cmp_ne_u32_e32 vcc_lo, v6, v11
	v_lshl_add_u32 v0, v11, 4, v0
                                        ; implicit-def: $vgpr12
	s_and_b32 s0, vcc_lo, exec_lo
	s_and_not1_saveexec_b32 s1, s3
	s_cbranch_execz .LBB26_29
.LBB26_33:
	v_lshlrev_b32_e32 v10, 1, v12
	s_or_b32 s0, s0, exec_lo
	s_or_b32 exec_lo, exec_lo, s1
	s_delay_alu instid0(SALU_CYCLE_1)
	s_and_b32 exec_lo, exec_lo, s0
	s_cbranch_execz .LBB26_36
.LBB26_34:
	v_lshl_add_u32 v6, v0, 1, v10
	v_ashrrev_i32_e32 v1, 31, v0
	v_max_f32_e64 v2, s10, s10
	s_mov_b32 s1, 0
	s_delay_alu instid0(VALU_DEP_3)
	v_add3_u32 v4, v6, v4, 0
	v_max_f32_e64 v6, s11, s11
	s_set_inst_prefetch_distance 0x1
	.p2align	6
.LBB26_35:                              ; =>This Inner Loop Header: Depth=1
	ds_load_u16 v9, v4
	v_add_nc_u32_e32 v4, 32, v4
	s_waitcnt lgkmcnt(0)
	v_lshlrev_b32_e32 v10, 16, v9
	s_delay_alu instid0(VALU_DEP_1) | instskip(NEXT) | instid1(VALU_DEP_1)
	v_div_scale_f32 v9, null, v5, v5, v10
	v_rcp_f32_e32 v11, v9
	s_waitcnt_depctr 0xfff
	v_fma_f32 v12, -v9, v11, 1.0
	s_delay_alu instid0(VALU_DEP_1) | instskip(SKIP_1) | instid1(VALU_DEP_1)
	v_fmac_f32_e32 v11, v12, v11
	v_div_scale_f32 v13, vcc_lo, v10, v5, v10
	v_mul_f32_e32 v12, v13, v11
	s_delay_alu instid0(VALU_DEP_1) | instskip(NEXT) | instid1(VALU_DEP_1)
	v_fma_f32 v14, -v9, v12, v13
	v_fmac_f32_e32 v12, v14, v11
	s_delay_alu instid0(VALU_DEP_1) | instskip(NEXT) | instid1(VALU_DEP_1)
	v_fma_f32 v9, -v9, v12, v13
	v_div_fmas_f32 v11, v9, v11, v12
	v_add_co_u32 v9, vcc_lo, v7, v0
	v_add_co_u32 v0, s0, v0, 16
	s_delay_alu instid0(VALU_DEP_3) | instskip(SKIP_2) | instid1(VALU_DEP_3)
	v_div_fixup_f32 v11, v11, v5, v10
	v_add_co_ci_u32_e32 v10, vcc_lo, v8, v1, vcc_lo
	v_add_co_ci_u32_e64 v1, vcc_lo, 0, v1, s0
	v_maxmin_f32 v11, v11, v2, v6
	v_cmp_ge_i32_e32 vcc_lo, v0, v3
	s_delay_alu instid0(VALU_DEP_2)
	v_cvt_i32_f32_e32 v11, v11
	s_or_b32 s1, vcc_lo, s1
	global_store_b8 v[9:10], v11, off
	s_and_not1_b32 exec_lo, exec_lo, s1
	s_cbranch_execnz .LBB26_35
.LBB26_36:
	s_set_inst_prefetch_distance 0x2
	s_or_b32 exec_lo, exec_lo, s2
                                        ; implicit-def: $vgpr11
                                        ; implicit-def: $vgpr5
                                        ; implicit-def: $vgpr12
                                        ; implicit-def: $vgpr1_vgpr2
.LBB26_37:
	s_and_not1_saveexec_b32 s0, s13
	s_cbranch_execz .LBB26_41
; %bb.38:
	s_ashr_i32 s12, s12, 3
	s_mov_b32 s0, exec_lo
	v_cmpx_gt_i32_e64 s12, v11
	s_cbranch_execz .LBB26_41
; %bb.39:
	v_lshlrev_b32_e32 v0, 3, v11
	v_lshlrev_b32_e32 v3, 1, v12
	;; [unrolled: 1-line block ×3, first 2 shown]
	s_delay_alu instid0(VALU_DEP_3) | instskip(SKIP_1) | instid1(VALU_DEP_3)
	v_add_co_u32 v0, vcc_lo, v1, v0
	v_add_co_ci_u32_e32 v1, vcc_lo, 0, v2, vcc_lo
	v_add3_u32 v2, v3, v4, 0
	s_delay_alu instid0(VALU_DEP_3) | instskip(NEXT) | instid1(VALU_DEP_3)
	v_add_co_u32 v0, vcc_lo, s8, v0
	v_add_co_ci_u32_e32 v1, vcc_lo, s9, v1, vcc_lo
	v_max_f32_e64 v3, s10, s10
	v_max_f32_e64 v4, s11, s11
	s_mov_b32 s8, 0
.LBB26_40:                              ; =>This Inner Loop Header: Depth=1
	ds_load_b128 v[6:9], v2
	s_waitcnt lgkmcnt(0)
	v_lshlrev_b32_e32 v14, 16, v9
	v_and_b32_e32 v9, 0xffff0000, v9
	s_delay_alu instid0(VALU_DEP_2) | instskip(NEXT) | instid1(VALU_DEP_2)
	v_div_scale_f32 v27, null, v5, v5, v14
	v_div_scale_f32 v29, null, v5, v5, v9
	s_delay_alu instid0(VALU_DEP_2) | instskip(NEXT) | instid1(VALU_DEP_1)
	v_rcp_f32_e32 v37, v27
	v_rcp_f32_e32 v38, v29
	s_waitcnt_depctr 0xfff
	v_fma_f32 v45, -v27, v37, 1.0
	v_lshlrev_b32_e32 v12, 16, v7
	v_fma_f32 v46, -v29, v38, 1.0
	v_lshlrev_b32_e32 v13, 16, v8
	v_and_b32_e32 v7, 0xffff0000, v7
	v_fmac_f32_e32 v37, v45, v37
	v_div_scale_f32 v19, null, v5, v5, v12
	v_fmac_f32_e32 v38, v46, v38
	v_div_scale_f32 v23, null, v5, v5, v13
	s_delay_alu instid0(VALU_DEP_3) | instskip(SKIP_1) | instid1(VALU_DEP_2)
	v_rcp_f32_e32 v33, v19
	v_div_scale_f32 v21, null, v5, v5, v7
	v_rcp_f32_e32 v35, v23
	v_div_scale_f32 v20, s2, v12, v5, v12
	s_delay_alu instid0(VALU_DEP_2) | instskip(SKIP_1) | instid1(TRANS32_DEP_3)
	v_rcp_f32_e32 v34, v21
	v_div_scale_f32 v24, s4, v13, v5, v13
	v_fma_f32 v41, -v19, v33, 1.0
	v_lshlrev_b32_e32 v10, 16, v6
	s_waitcnt_depctr 0xfff
	v_fma_f32 v43, -v23, v35, 1.0
	v_dual_fmac_f32 v33, v41, v33 :: v_dual_and_b32 v6, 0xffff0000, v6
	v_div_scale_f32 v15, null, v5, v5, v10
	s_delay_alu instid0(VALU_DEP_3) | instskip(NEXT) | instid1(VALU_DEP_3)
	v_fmac_f32_e32 v35, v43, v35
	v_div_scale_f32 v17, null, v5, v5, v6
	s_delay_alu instid0(VALU_DEP_3) | instskip(SKIP_1) | instid1(VALU_DEP_2)
	v_rcp_f32_e32 v31, v15
	v_div_scale_f32 v16, vcc_lo, v10, v5, v10
	v_rcp_f32_e32 v32, v17
	v_fma_f32 v42, -v21, v34, 1.0
	v_div_scale_f32 v18, s1, v6, v5, v6
	v_mul_f32_e32 v43, v24, v35
	v_div_scale_f32 v28, s6, v14, v5, v14
	s_delay_alu instid0(TRANS32_DEP_2) | instskip(SKIP_2) | instid1(TRANS32_DEP_1)
	v_fma_f32 v39, -v15, v31, 1.0
	v_add_nc_u32_e32 v2, 0x100, v2
	v_fmac_f32_e32 v34, v42, v34
	v_fma_f32 v40, -v17, v32, 1.0
	v_add_nc_u32_e32 v11, 16, v11
	v_dual_fmac_f32 v31, v39, v31 :: v_dual_and_b32 v8, 0xffff0000, v8
	v_div_scale_f32 v22, s3, v7, v5, v7
	s_delay_alu instid0(VALU_DEP_4) | instskip(NEXT) | instid1(VALU_DEP_3)
	v_fmac_f32_e32 v32, v40, v32
	v_mul_f32_e32 v39, v16, v31
	s_delay_alu instid0(VALU_DEP_4) | instskip(NEXT) | instid1(VALU_DEP_3)
	v_div_scale_f32 v25, null, v5, v5, v8
	v_dual_mul_f32 v41, v20, v33 :: v_dual_mul_f32 v40, v18, v32
	v_div_scale_f32 v26, s5, v8, v5, v8
	s_delay_alu instid0(VALU_DEP_3)
	v_rcp_f32_e32 v36, v25
	v_fma_f32 v47, -v15, v39, v16
	v_dual_mul_f32 v42, v22, v34 :: v_dual_mul_f32 v45, v28, v37
	v_fma_f32 v48, -v17, v40, v18
	v_fma_f32 v49, -v19, v41, v20
	v_fma_f32 v51, -v23, v43, v24
	s_delay_alu instid0(VALU_DEP_4) | instskip(SKIP_2) | instid1(TRANS32_DEP_1)
	v_fma_f32 v50, -v21, v42, v22
	v_fma_f32 v53, -v27, v45, v28
	v_fmac_f32_e32 v40, v48, v32
	v_fma_f32 v44, -v25, v36, 1.0
	s_delay_alu instid0(VALU_DEP_4) | instskip(NEXT) | instid1(VALU_DEP_4)
	v_dual_fmac_f32 v43, v51, v35 :: v_dual_fmac_f32 v42, v50, v34
	v_fmac_f32_e32 v45, v53, v37
	v_cmp_le_i32_e64 s0, s12, v11
	s_delay_alu instid0(VALU_DEP_4) | instskip(SKIP_2) | instid1(VALU_DEP_3)
	v_fmac_f32_e32 v36, v44, v36
	v_div_scale_f32 v30, s7, v9, v5, v9
	v_fmac_f32_e32 v39, v47, v31
	v_dual_fmac_f32 v41, v49, v33 :: v_dual_mul_f32 v44, v26, v36
	s_delay_alu instid0(VALU_DEP_3) | instskip(SKIP_1) | instid1(VALU_DEP_3)
	v_mul_f32_e32 v46, v30, v38
	s_or_b32 s8, s0, s8
	v_fma_f32 v15, -v15, v39, v16
	v_fma_f32 v16, -v17, v40, v18
	;; [unrolled: 1-line block ×5, first 2 shown]
	v_div_fmas_f32 v15, v15, v31, v39
	s_mov_b32 vcc_lo, s1
	v_fma_f32 v52, -v25, v44, v26
	v_div_fmas_f32 v16, v16, v32, v40
	s_mov_b32 vcc_lo, s2
	v_div_fixup_f32 v10, v15, v5, v10
	v_div_fmas_f32 v17, v17, v33, v41
	s_mov_b32 vcc_lo, s3
	v_div_fixup_f32 v6, v16, v5, v6
	v_div_fmas_f32 v15, v18, v34, v42
	s_mov_b32 vcc_lo, s4
	v_fma_f32 v54, -v29, v46, v30
	v_div_fmas_f32 v16, v19, v35, v43
	v_fma_f32 v21, -v27, v45, v28
	v_div_fixup_f32 v7, v15, v5, v7
	s_mov_b32 vcc_lo, s5
	v_div_fixup_f32 v12, v17, v5, v12
	v_div_fixup_f32 v13, v16, v5, v13
	v_maxmin_f32 v6, v6, v3, v4
	v_maxmin_f32 v7, v7, v3, v4
	;; [unrolled: 1-line block ×5, first 2 shown]
	v_cvt_i32_f32_e32 v6, v6
	v_cvt_i32_f32_e32 v7, v7
	v_fmac_f32_e32 v44, v52, v36
	v_cvt_i32_f32_e32 v12, v12
	v_cvt_i32_f32_e32 v13, v13
	s_delay_alu instid0(VALU_DEP_4) | instskip(NEXT) | instid1(VALU_DEP_4)
	v_dual_fmac_f32 v46, v54, v38 :: v_dual_lshlrev_b32 v7, 24, v7
	v_fma_f32 v20, -v25, v44, v26
	v_and_b32_e32 v6, 0xff, v6
	s_delay_alu instid0(VALU_DEP_4) | instskip(NEXT) | instid1(VALU_DEP_4)
	v_and_b32_e32 v13, 0xff, v13
	v_fma_f32 v22, -v29, v46, v30
	v_and_b32_e32 v12, 0xff, v12
	v_div_fmas_f32 v17, v20, v36, v44
	s_mov_b32 vcc_lo, s6
	v_lshlrev_b32_e32 v6, 8, v6
	v_div_fmas_f32 v15, v21, v37, v45
	s_mov_b32 vcc_lo, s7
	v_div_fixup_f32 v8, v17, v5, v8
	v_div_fmas_f32 v16, v22, v38, v46
	v_lshlrev_b32_e32 v12, 16, v12
	v_div_fixup_f32 v14, v15, v5, v14
	v_cvt_i32_f32_e32 v10, v10
	v_maxmin_f32 v8, v8, v3, v4
	v_div_fixup_f32 v9, v16, v5, v9
	v_or3_b32 v6, v7, v12, v6
	v_maxmin_f32 v14, v14, v3, v4
	v_and_b32_e32 v10, 0xff, v10
	v_cvt_i32_f32_e32 v8, v8
	v_maxmin_f32 v9, v9, v3, v4
	s_delay_alu instid0(VALU_DEP_4) | instskip(NEXT) | instid1(VALU_DEP_4)
	v_cvt_i32_f32_e32 v14, v14
	v_or_b32_e32 v6, v6, v10
	s_delay_alu instid0(VALU_DEP_4) | instskip(NEXT) | instid1(VALU_DEP_4)
	v_and_b32_e32 v8, 0xff, v8
	v_cvt_i32_f32_e32 v9, v9
	s_delay_alu instid0(VALU_DEP_4) | instskip(NEXT) | instid1(VALU_DEP_3)
	v_and_b32_e32 v14, 0xff, v14
	v_lshlrev_b32_e32 v7, 8, v8
	s_delay_alu instid0(VALU_DEP_3) | instskip(NEXT) | instid1(VALU_DEP_3)
	v_lshlrev_b32_e32 v9, 24, v9
	v_lshlrev_b32_e32 v8, 16, v14
	s_delay_alu instid0(VALU_DEP_1) | instskip(NEXT) | instid1(VALU_DEP_1)
	v_or_b32_e32 v8, v9, v8
	v_or3_b32 v7, v8, v7, v13
	global_store_b64 v[0:1], v[6:7], off
	v_add_co_u32 v0, vcc_lo, 0x80, v0
	v_add_co_ci_u32_e32 v1, vcc_lo, 0, v1, vcc_lo
	s_and_not1_b32 exec_lo, exec_lo, s8
	s_cbranch_execnz .LBB26_40
.LBB26_41:
	s_nop 0
	s_sendmsg sendmsg(MSG_DEALLOC_VGPRS)
	s_endpgm
	.section	.rodata,"a",@progbits
	.p2align	6, 0x0
	.amdhsa_kernel _Z33per_token_group_quant_8bit_kernelIN3c108BFloat16EaLb0ELb1EfEvPKT_PvPT3_iiifffii
		.amdhsa_group_segment_fixed_size 0
		.amdhsa_private_segment_fixed_size 0
		.amdhsa_kernarg_size 56
		.amdhsa_user_sgpr_count 15
		.amdhsa_user_sgpr_dispatch_ptr 0
		.amdhsa_user_sgpr_queue_ptr 0
		.amdhsa_user_sgpr_kernarg_segment_ptr 1
		.amdhsa_user_sgpr_dispatch_id 0
		.amdhsa_user_sgpr_private_segment_size 0
		.amdhsa_wavefront_size32 1
		.amdhsa_uses_dynamic_stack 0
		.amdhsa_enable_private_segment 0
		.amdhsa_system_sgpr_workgroup_id_x 1
		.amdhsa_system_sgpr_workgroup_id_y 0
		.amdhsa_system_sgpr_workgroup_id_z 0
		.amdhsa_system_sgpr_workgroup_info 0
		.amdhsa_system_vgpr_workitem_id 0
		.amdhsa_next_free_vgpr 64
		.amdhsa_next_free_sgpr 16
		.amdhsa_reserve_vcc 1
		.amdhsa_float_round_mode_32 0
		.amdhsa_float_round_mode_16_64 0
		.amdhsa_float_denorm_mode_32 3
		.amdhsa_float_denorm_mode_16_64 3
		.amdhsa_dx10_clamp 1
		.amdhsa_ieee_mode 1
		.amdhsa_fp16_overflow 0
		.amdhsa_workgroup_processor_mode 1
		.amdhsa_memory_ordered 1
		.amdhsa_forward_progress 0
		.amdhsa_shared_vgpr_count 0
		.amdhsa_exception_fp_ieee_invalid_op 0
		.amdhsa_exception_fp_denorm_src 0
		.amdhsa_exception_fp_ieee_div_zero 0
		.amdhsa_exception_fp_ieee_overflow 0
		.amdhsa_exception_fp_ieee_underflow 0
		.amdhsa_exception_fp_ieee_inexact 0
		.amdhsa_exception_int_div_zero 0
	.end_amdhsa_kernel
	.section	.text._Z33per_token_group_quant_8bit_kernelIN3c108BFloat16EaLb0ELb1EfEvPKT_PvPT3_iiifffii,"axG",@progbits,_Z33per_token_group_quant_8bit_kernelIN3c108BFloat16EaLb0ELb1EfEvPKT_PvPT3_iiifffii,comdat
.Lfunc_end26:
	.size	_Z33per_token_group_quant_8bit_kernelIN3c108BFloat16EaLb0ELb1EfEvPKT_PvPT3_iiifffii, .Lfunc_end26-_Z33per_token_group_quant_8bit_kernelIN3c108BFloat16EaLb0ELb1EfEvPKT_PvPT3_iiifffii
                                        ; -- End function
	.section	.AMDGPU.csdata,"",@progbits
; Kernel info:
; codeLenInByte = 5084
; NumSgprs: 18
; NumVgprs: 64
; ScratchSize: 0
; MemoryBound: 0
; FloatMode: 240
; IeeeMode: 1
; LDSByteSize: 0 bytes/workgroup (compile time only)
; SGPRBlocks: 2
; VGPRBlocks: 7
; NumSGPRsForWavesPerEU: 18
; NumVGPRsForWavesPerEU: 64
; Occupancy: 16
; WaveLimiterHint : 0
; COMPUTE_PGM_RSRC2:SCRATCH_EN: 0
; COMPUTE_PGM_RSRC2:USER_SGPR: 15
; COMPUTE_PGM_RSRC2:TRAP_HANDLER: 0
; COMPUTE_PGM_RSRC2:TGID_X_EN: 1
; COMPUTE_PGM_RSRC2:TGID_Y_EN: 0
; COMPUTE_PGM_RSRC2:TGID_Z_EN: 0
; COMPUTE_PGM_RSRC2:TIDIG_COMP_CNT: 0
	.section	.text._Z33per_token_group_quant_8bit_kernelIN3c108BFloat16EaLb0ELb0EfEvPKT_PvPT3_iiifffii,"axG",@progbits,_Z33per_token_group_quant_8bit_kernelIN3c108BFloat16EaLb0ELb0EfEvPKT_PvPT3_iiifffii,comdat
	.protected	_Z33per_token_group_quant_8bit_kernelIN3c108BFloat16EaLb0ELb0EfEvPKT_PvPT3_iiifffii ; -- Begin function _Z33per_token_group_quant_8bit_kernelIN3c108BFloat16EaLb0ELb0EfEvPKT_PvPT3_iiifffii
	.globl	_Z33per_token_group_quant_8bit_kernelIN3c108BFloat16EaLb0ELb0EfEvPKT_PvPT3_iiifffii
	.p2align	8
	.type	_Z33per_token_group_quant_8bit_kernelIN3c108BFloat16EaLb0ELb0EfEvPKT_PvPT3_iiifffii,@function
_Z33per_token_group_quant_8bit_kernelIN3c108BFloat16EaLb0ELb0EfEvPKT_PvPT3_iiifffii: ; @_Z33per_token_group_quant_8bit_kernelIN3c108BFloat16EaLb0ELb0EfEvPKT_PvPT3_iiifffii
; %bb.0:
	s_clause 0x1
	s_load_b128 s[8:11], s[0:1], 0x20
	s_load_b32 s12, s[0:1], 0x18
	v_lshrrev_b32_e32 v9, 4, v0
	v_and_b32_e32 v11, 15, v0
                                        ; implicit-def: $vgpr13
	s_waitcnt lgkmcnt(0)
	s_mul_i32 s15, s15, s8
	s_ashr_i32 s4, s12, 31
	v_add_co_u32 v3, s2, s15, v9
	s_delay_alu instid0(VALU_DEP_1) | instskip(SKIP_1) | instid1(VALU_DEP_2)
	v_add_co_ci_u32_e64 v4, null, 0, 0, s2
	s_load_b64 s[2:3], s[0:1], 0x0
	v_mul_lo_u32 v6, v3, s4
	v_mad_u64_u32 v[1:2], null, v3, s12, 0
	s_delay_alu instid0(VALU_DEP_3) | instskip(SKIP_2) | instid1(SALU_CYCLE_1)
	v_mul_lo_u32 v5, v4, s12
	v_mul_lo_u32 v12, v9, s12
	s_and_b32 s5, s12, 7
	s_cmp_eq_u32 s5, 0
	s_cselect_b32 s4, -1, 0
	s_cmp_lg_u32 s5, 0
	s_delay_alu instid0(VALU_DEP_2) | instskip(NEXT) | instid1(VALU_DEP_2)
	v_add3_u32 v2, v2, v6, v5
	v_lshl_add_u32 v0, v12, 1, 0
	s_cselect_b32 s5, -1, 0
	s_delay_alu instid0(VALU_DEP_2) | instskip(SKIP_1) | instid1(VALU_DEP_1)
	v_lshlrev_b64 v[5:6], 1, v[1:2]
	s_waitcnt lgkmcnt(0)
	v_add_co_u32 v7, vcc_lo, s2, v5
	v_mov_b32_e32 v10, 0
	s_delay_alu instid0(VALU_DEP_3) | instskip(NEXT) | instid1(VALU_DEP_3)
	v_add_co_ci_u32_e32 v8, vcc_lo, s3, v6, vcc_lo
	v_and_b32_e32 v9, 15, v7
	s_delay_alu instid0(VALU_DEP_1) | instskip(SKIP_1) | instid1(SALU_CYCLE_1)
	v_cmp_ne_u64_e32 vcc_lo, 0, v[9:10]
	s_or_b32 s5, s5, vcc_lo
	s_and_saveexec_b32 s6, s5
	s_delay_alu instid0(SALU_CYCLE_1)
	s_xor_b32 s5, exec_lo, s6
	s_cbranch_execz .LBB27_12
; %bb.1:
	v_sub_nc_u32_e32 v9, 0, v7
	v_mov_b32_e32 v13, s9
	s_mov_b32 s6, exec_lo
	s_delay_alu instid0(VALU_DEP_2) | instskip(NEXT) | instid1(VALU_DEP_1)
	v_bfe_u32 v9, v9, 1, 3
	v_min_i32_e32 v9, s12, v9
	s_delay_alu instid0(VALU_DEP_1)
	v_cmpx_gt_i32_e64 v9, v11
	s_cbranch_execz .LBB27_3
; %bb.2:
	v_max_f32_e64 v13, s9, s9
	v_lshlrev_b32_e32 v10, 1, v11
	s_delay_alu instid0(VALU_DEP_1) | instskip(SKIP_4) | instid1(VALU_DEP_1)
	v_add_co_u32 v7, vcc_lo, v7, v10
	v_add_co_ci_u32_e32 v8, vcc_lo, 0, v8, vcc_lo
	global_load_u16 v7, v[7:8], off
	s_waitcnt vmcnt(0)
	v_lshlrev_b32_e32 v8, 16, v7
	v_max_f32_e64 v8, |v8|, |v8|
	s_delay_alu instid0(VALU_DEP_1)
	v_dual_max_f32 v13, v13, v8 :: v_dual_add_nc_u32 v10, v0, v10
	ds_store_b16 v10, v7
.LBB27_3:
	s_or_b32 exec_lo, exec_lo, s6
	v_sub_nc_u32_e32 v14, s12, v9
	v_ashrrev_i32_e32 v10, 31, v9
	v_lshlrev_b32_e32 v15, 1, v9
	s_mov_b32 s6, exec_lo
	s_delay_alu instid0(VALU_DEP_3) | instskip(NEXT) | instid1(VALU_DEP_1)
	v_ashrrev_i32_e32 v7, 31, v14
	v_lshrrev_b32_e32 v7, 29, v7
	s_delay_alu instid0(VALU_DEP_1) | instskip(NEXT) | instid1(VALU_DEP_1)
	v_add_nc_u32_e32 v7, v14, v7
	v_ashrrev_i32_e32 v16, 3, v7
	v_lshlrev_b64 v[7:8], 1, v[9:10]
	s_delay_alu instid0(VALU_DEP_2)
	v_cmpx_gt_i32_e64 v16, v11
	s_cbranch_execz .LBB27_7
; %bb.4:
	v_lshlrev_b32_e32 v9, 4, v11
	s_mov_b32 s7, 0
	s_delay_alu instid0(VALU_DEP_1) | instskip(SKIP_2) | instid1(VALU_DEP_3)
	v_add_co_u32 v10, vcc_lo, v5, v9
	v_add_co_ci_u32_e32 v17, vcc_lo, 0, v6, vcc_lo
	v_lshl_add_u32 v9, v12, 1, v9
	v_add_co_u32 v10, vcc_lo, v10, v7
	s_delay_alu instid0(VALU_DEP_3) | instskip(NEXT) | instid1(VALU_DEP_2)
	v_add_co_ci_u32_e32 v17, vcc_lo, v17, v8, vcc_lo
	v_add_co_u32 v10, vcc_lo, v10, s2
	s_delay_alu instid0(VALU_DEP_2) | instskip(SKIP_1) | instid1(VALU_DEP_3)
	v_add_co_ci_u32_e32 v18, vcc_lo, s3, v17, vcc_lo
	v_add3_u32 v17, v9, v15, 0
	v_add_co_u32 v9, vcc_lo, v10, 8
	s_delay_alu instid0(VALU_DEP_3)
	v_add_co_ci_u32_e32 v10, vcc_lo, 0, v18, vcc_lo
	v_mov_b32_e32 v18, v11
	s_set_inst_prefetch_distance 0x1
	.p2align	6
.LBB27_5:                               ; =>This Inner Loop Header: Depth=1
	global_load_b128 v[19:22], v[9:10], off offset:-8
	v_add_nc_u32_e32 v18, 16, v18
	v_add_co_u32 v9, vcc_lo, 0x100, v9
	v_add_co_ci_u32_e32 v10, vcc_lo, 0, v10, vcc_lo
	s_delay_alu instid0(VALU_DEP_3)
	v_cmp_ge_i32_e32 vcc_lo, v18, v16
	s_or_b32 s7, vcc_lo, s7
	s_waitcnt vmcnt(0)
	v_lshlrev_b32_e32 v23, 16, v19
	v_and_b32_e32 v24, 0xffff0000, v19
	v_lshlrev_b32_e32 v25, 16, v20
	v_and_b32_e32 v26, 0xffff0000, v20
	ds_store_b128 v17, v[19:22]
	v_add_nc_u32_e32 v17, 0x100, v17
	v_max3_f32 v13, v13, |v23|, |v24|
	v_lshlrev_b32_e32 v23, 16, v21
	v_and_b32_e32 v24, 0xffff0000, v21
	s_delay_alu instid0(VALU_DEP_3) | instskip(SKIP_2) | instid1(VALU_DEP_3)
	v_max3_f32 v13, v13, |v25|, |v26|
	v_lshlrev_b32_e32 v25, 16, v22
	v_and_b32_e32 v26, 0xffff0000, v22
	v_max3_f32 v13, v13, |v23|, |v24|
	s_delay_alu instid0(VALU_DEP_1)
	v_max3_f32 v13, v13, |v25|, |v26|
	s_and_not1_b32 exec_lo, exec_lo, s7
	s_cbranch_execnz .LBB27_5
; %bb.6:
	s_set_inst_prefetch_distance 0x2
	s_or_b32 exec_lo, exec_lo, s7
.LBB27_7:
	s_delay_alu instid0(SALU_CYCLE_1) | instskip(SKIP_2) | instid1(VALU_DEP_1)
	s_or_b32 exec_lo, exec_lo, s6
	v_lshl_add_u32 v9, v16, 3, v11
	s_mov_b32 s6, exec_lo
	v_cmpx_lt_i32_e64 v9, v14
	s_cbranch_execz .LBB27_11
; %bb.8:
	v_ashrrev_i32_e32 v10, 31, v9
	v_lshlrev_b32_e32 v19, 4, v16
	v_add_co_u32 v5, vcc_lo, v5, v7
	v_lshlrev_b32_e32 v18, 1, v12
	s_delay_alu instid0(VALU_DEP_4) | instskip(SKIP_2) | instid1(VALU_DEP_4)
	v_lshlrev_b64 v[16:17], 1, v[9:10]
	v_add_co_ci_u32_e32 v6, vcc_lo, v6, v8, vcc_lo
	v_lshlrev_b32_e32 v20, 1, v11
	v_add3_u32 v7, v18, v19, v15
	s_mov_b32 s7, 0
	s_delay_alu instid0(VALU_DEP_4) | instskip(SKIP_1) | instid1(VALU_DEP_3)
	v_add_co_u32 v5, vcc_lo, v5, v16
	v_add_co_ci_u32_e32 v6, vcc_lo, v6, v17, vcc_lo
	v_add3_u32 v7, v7, v20, 0
	s_delay_alu instid0(VALU_DEP_3) | instskip(NEXT) | instid1(VALU_DEP_3)
	v_add_co_u32 v5, vcc_lo, s2, v5
	v_add_co_ci_u32_e32 v6, vcc_lo, s3, v6, vcc_lo
	.p2align	6
.LBB27_9:                               ; =>This Inner Loop Header: Depth=1
	global_load_u16 v8, v[5:6], off
	v_max_f32_e32 v10, v13, v13
	v_add_nc_u32_e32 v9, 16, v9
	v_add_co_u32 v5, vcc_lo, v5, 32
	v_add_co_ci_u32_e32 v6, vcc_lo, 0, v6, vcc_lo
	s_delay_alu instid0(VALU_DEP_3)
	v_cmp_ge_i32_e32 vcc_lo, v9, v14
	s_or_b32 s7, vcc_lo, s7
	s_waitcnt vmcnt(0)
	v_lshlrev_b32_e32 v13, 16, v8
	ds_store_b16 v7, v8
	v_add_nc_u32_e32 v7, 32, v7
	v_max_f32_e64 v13, |v13|, |v13|
	s_delay_alu instid0(VALU_DEP_1)
	v_max_f32_e32 v13, v10, v13
	s_and_not1_b32 exec_lo, exec_lo, s7
	s_cbranch_execnz .LBB27_9
; %bb.10:
	s_or_b32 exec_lo, exec_lo, s7
.LBB27_11:
	s_delay_alu instid0(SALU_CYCLE_1)
	s_or_b32 exec_lo, exec_lo, s6
                                        ; implicit-def: $vgpr5_vgpr6
.LBB27_12:
	s_and_not1_saveexec_b32 s5, s5
	s_cbranch_execz .LBB27_18
; %bb.13:
	v_mov_b32_e32 v13, s9
	s_ashr_i32 s7, s12, 3
	s_mov_b32 s6, exec_lo
	v_cmpx_gt_i32_e64 s7, v11
	s_cbranch_execz .LBB27_17
; %bb.14:
	v_lshlrev_b32_e32 v7, 4, v11
	v_dual_mov_b32 v13, s9 :: v_dual_lshlrev_b32 v8, 1, v12
	s_delay_alu instid0(VALU_DEP_2) | instskip(SKIP_1) | instid1(VALU_DEP_3)
	v_add_co_u32 v5, vcc_lo, v5, v7
	v_add_co_ci_u32_e32 v6, vcc_lo, 0, v6, vcc_lo
	v_add3_u32 v7, v8, v7, 0
	s_delay_alu instid0(VALU_DEP_3) | instskip(NEXT) | instid1(VALU_DEP_3)
	v_add_co_u32 v5, vcc_lo, v5, s2
	v_add_co_ci_u32_e32 v6, vcc_lo, s3, v6, vcc_lo
	v_mov_b32_e32 v8, v11
	s_delay_alu instid0(VALU_DEP_3) | instskip(NEXT) | instid1(VALU_DEP_3)
	v_add_co_u32 v5, vcc_lo, v5, 8
	v_add_co_ci_u32_e32 v6, vcc_lo, 0, v6, vcc_lo
	s_mov_b32 s2, 0
	s_set_inst_prefetch_distance 0x1
	.p2align	6
.LBB27_15:                              ; =>This Inner Loop Header: Depth=1
	global_load_b128 v[14:17], v[5:6], off offset:-8
	v_add_nc_u32_e32 v8, 16, v8
	v_add_co_u32 v5, vcc_lo, 0x100, v5
	v_add_co_ci_u32_e32 v6, vcc_lo, 0, v6, vcc_lo
	s_delay_alu instid0(VALU_DEP_3)
	v_cmp_le_i32_e32 vcc_lo, s7, v8
	s_or_b32 s2, vcc_lo, s2
	s_waitcnt vmcnt(0)
	v_lshlrev_b32_e32 v9, 16, v14
	v_and_b32_e32 v10, 0xffff0000, v14
	v_lshlrev_b32_e32 v18, 16, v15
	v_and_b32_e32 v19, 0xffff0000, v15
	ds_store_b128 v7, v[14:17]
	v_add_nc_u32_e32 v7, 0x100, v7
	v_max3_f32 v9, v13, |v9|, |v10|
	v_lshlrev_b32_e32 v10, 16, v16
	v_and_b32_e32 v13, 0xffff0000, v16
	s_delay_alu instid0(VALU_DEP_3) | instskip(SKIP_2) | instid1(VALU_DEP_3)
	v_max3_f32 v9, v9, |v18|, |v19|
	v_lshlrev_b32_e32 v18, 16, v17
	v_and_b32_e32 v19, 0xffff0000, v17
	v_max3_f32 v9, v9, |v10|, |v13|
	s_delay_alu instid0(VALU_DEP_1)
	v_max3_f32 v13, v9, |v18|, |v19|
	s_and_not1_b32 exec_lo, exec_lo, s2
	s_cbranch_execnz .LBB27_15
; %bb.16:
	s_set_inst_prefetch_distance 0x2
	s_or_b32 exec_lo, exec_lo, s2
.LBB27_17:
	s_delay_alu instid0(SALU_CYCLE_1)
	s_or_b32 exec_lo, exec_lo, s6
.LBB27_18:
	s_delay_alu instid0(SALU_CYCLE_1) | instskip(SKIP_4) | instid1(VALU_DEP_2)
	s_or_b32 exec_lo, exec_lo, s5
	v_mbcnt_lo_u32_b32 v5, -1, 0
	s_load_b64 s[8:9], s[0:1], 0x8
	s_mov_b32 s2, exec_lo
	v_max_f32_e32 v9, v13, v13
	v_xor_b32_e32 v7, 8, v5
	v_and_b32_e32 v6, 16, v5
	v_xor_b32_e32 v8, 4, v5
	s_delay_alu instid0(VALU_DEP_2) | instskip(NEXT) | instid1(VALU_DEP_1)
	v_add_nc_u32_e32 v6, 16, v6
	v_cmp_lt_i32_e32 vcc_lo, v7, v6
	v_cndmask_b32_e32 v7, v5, v7, vcc_lo
	s_delay_alu instid0(VALU_DEP_4) | instskip(NEXT) | instid1(VALU_DEP_2)
	v_cmp_lt_i32_e32 vcc_lo, v8, v6
	v_dual_cndmask_b32 v8, v5, v8 :: v_dual_lshlrev_b32 v7, 2, v7
	ds_bpermute_b32 v7, v7, v13
	s_waitcnt lgkmcnt(0)
	v_dual_max_f32 v7, v7, v7 :: v_dual_lshlrev_b32 v8, 2, v8
	s_delay_alu instid0(VALU_DEP_1)
	v_max_f32_e32 v7, v9, v7
	v_xor_b32_e32 v9, 2, v5
	ds_bpermute_b32 v8, v8, v7
	v_cmp_lt_i32_e32 vcc_lo, v9, v6
	s_waitcnt lgkmcnt(0)
	v_dual_cndmask_b32 v9, v5, v9 :: v_dual_max_f32 v8, v8, v8
	s_delay_alu instid0(VALU_DEP_1) | instskip(NEXT) | instid1(VALU_DEP_2)
	v_max_f32_e32 v7, v7, v8
	v_lshlrev_b32_e32 v9, 2, v9
	ds_bpermute_b32 v8, v9, v7
	v_xor_b32_e32 v9, 1, v5
	s_delay_alu instid0(VALU_DEP_1) | instskip(SKIP_2) | instid1(VALU_DEP_1)
	v_cmp_lt_i32_e32 vcc_lo, v9, v6
	v_cndmask_b32_e32 v5, v5, v9, vcc_lo
	s_waitcnt lgkmcnt(0)
	v_dual_max_f32 v6, v8, v8 :: v_dual_lshlrev_b32 v5, 2, v5
	s_delay_alu instid0(VALU_DEP_1) | instskip(SKIP_3) | instid1(VALU_DEP_1)
	v_max_f32_e32 v6, v7, v6
	ds_bpermute_b32 v5, v5, v6
	s_waitcnt lgkmcnt(0)
	v_max_f32_e32 v5, v5, v5
	v_max_f32_e32 v5, v6, v5
	s_delay_alu instid0(VALU_DEP_1) | instskip(SKIP_1) | instid1(VALU_DEP_2)
	v_div_scale_f32 v6, null, s11, s11, v5
	v_div_scale_f32 v9, vcc_lo, v5, s11, v5
	v_rcp_f32_e32 v7, v6
	s_waitcnt_depctr 0xfff
	v_fma_f32 v8, -v6, v7, 1.0
	s_delay_alu instid0(VALU_DEP_1) | instskip(NEXT) | instid1(VALU_DEP_1)
	v_fmac_f32_e32 v7, v8, v7
	v_mul_f32_e32 v8, v9, v7
	s_delay_alu instid0(VALU_DEP_1) | instskip(NEXT) | instid1(VALU_DEP_1)
	v_fma_f32 v10, -v6, v8, v9
	v_fmac_f32_e32 v8, v10, v7
	s_delay_alu instid0(VALU_DEP_1) | instskip(NEXT) | instid1(VALU_DEP_1)
	v_fma_f32 v6, -v6, v8, v9
	v_div_fmas_f32 v6, v6, v7, v8
	s_delay_alu instid0(VALU_DEP_1)
	v_div_fixup_f32 v5, v6, s11, v5
	v_cmpx_eq_u32_e32 0, v11
	s_cbranch_execz .LBB27_20
; %bb.19:
	s_load_b64 s[0:1], s[0:1], 0x10
	v_lshlrev_b64 v[3:4], 2, v[3:4]
	s_waitcnt lgkmcnt(0)
	s_delay_alu instid0(VALU_DEP_1) | instskip(NEXT) | instid1(VALU_DEP_2)
	v_add_co_u32 v3, vcc_lo, s0, v3
	v_add_co_ci_u32_e32 v4, vcc_lo, s1, v4, vcc_lo
	global_store_b32 v[3:4], v5, off
.LBB27_20:
	s_or_b32 exec_lo, exec_lo, s2
	v_dual_mov_b32 v4, 0 :: v_dual_and_b32 v3, 15, v0
	s_xor_b32 s0, s4, -1
	s_waitcnt_vscnt null, 0x0
	s_barrier
	buffer_gl0_inv
	v_cmp_ne_u64_e32 vcc_lo, 0, v[3:4]
	s_or_b32 s0, s0, vcc_lo
	s_delay_alu instid0(SALU_CYCLE_1) | instskip(NEXT) | instid1(SALU_CYCLE_1)
	s_and_saveexec_b32 s1, s0
	s_xor_b32 s13, exec_lo, s1
	s_cbranch_execz .LBB27_37
; %bb.21:
	v_sub_nc_u32_e32 v3, 0, v0
	v_add_co_u32 v7, vcc_lo, s8, v1
	v_add_co_ci_u32_e32 v8, vcc_lo, s9, v2, vcc_lo
	s_delay_alu instid0(VALU_DEP_3) | instskip(SKIP_1) | instid1(VALU_DEP_1)
	v_bfe_u32 v3, v3, 1, 3
	s_mov_b32 s0, exec_lo
	v_min_i32_e32 v6, s12, v3
	s_delay_alu instid0(VALU_DEP_1)
	v_cmpx_gt_i32_e64 v6, v11
	s_cbranch_execz .LBB27_23
; %bb.22:
	v_lshl_add_u32 v0, v11, 1, v0
	ds_load_u16 v0, v0
	s_waitcnt lgkmcnt(0)
	v_lshlrev_b32_e32 v0, 16, v0
	s_delay_alu instid0(VALU_DEP_1) | instskip(SKIP_1) | instid1(VALU_DEP_2)
	v_div_scale_f32 v3, null, v5, v5, v0
	v_div_scale_f32 v10, vcc_lo, v0, v5, v0
	v_rcp_f32_e32 v4, v3
	s_waitcnt_depctr 0xfff
	v_fma_f32 v9, -v3, v4, 1.0
	s_delay_alu instid0(VALU_DEP_1) | instskip(NEXT) | instid1(VALU_DEP_1)
	v_fmac_f32_e32 v4, v9, v4
	v_mul_f32_e32 v9, v10, v4
	s_delay_alu instid0(VALU_DEP_1) | instskip(NEXT) | instid1(VALU_DEP_1)
	v_fma_f32 v13, -v3, v9, v10
	v_fmac_f32_e32 v9, v13, v4
	s_delay_alu instid0(VALU_DEP_1) | instskip(NEXT) | instid1(VALU_DEP_1)
	v_fma_f32 v3, -v3, v9, v10
	v_div_fmas_f32 v3, v3, v4, v9
	v_max_f32_e64 v4, s10, s10
	s_delay_alu instid0(VALU_DEP_2) | instskip(SKIP_1) | instid1(VALU_DEP_1)
	v_div_fixup_f32 v0, v3, v5, v0
	v_max_f32_e64 v3, s11, s11
	v_maxmin_f32 v0, v0, v4, v3
	v_add_co_u32 v3, vcc_lo, v7, v11
	v_add_co_ci_u32_e32 v4, vcc_lo, 0, v8, vcc_lo
	s_delay_alu instid0(VALU_DEP_3)
	v_cvt_i32_f32_e32 v0, v0
	global_store_b8 v[3:4], v0, off
.LBB27_23:
	s_or_b32 exec_lo, exec_lo, s0
	v_sub_nc_u32_e32 v3, s12, v6
	v_ashrrev_i32_e32 v10, 31, v6
	v_lshlrev_b32_e32 v4, 1, v6
	s_mov_b32 s14, exec_lo
	s_delay_alu instid0(VALU_DEP_3) | instskip(NEXT) | instid1(VALU_DEP_1)
	v_ashrrev_i32_e32 v0, 31, v3
	v_lshrrev_b32_e32 v0, 29, v0
	s_delay_alu instid0(VALU_DEP_1) | instskip(NEXT) | instid1(VALU_DEP_1)
	v_add_nc_u32_e32 v0, v3, v0
	v_ashrrev_i32_e32 v9, 3, v0
	s_delay_alu instid0(VALU_DEP_1)
	v_cmpx_gt_i32_e64 v9, v11
	s_cbranch_execz .LBB27_26
; %bb.24:
	v_dual_mov_b32 v15, v11 :: v_dual_lshlrev_b32 v0, 4, v11
	v_lshlrev_b32_e32 v13, 3, v11
	v_add_co_u32 v1, vcc_lo, v6, v1
	v_add_co_ci_u32_e32 v2, vcc_lo, v10, v2, vcc_lo
	s_delay_alu instid0(VALU_DEP_4) | instskip(SKIP_1) | instid1(VALU_DEP_4)
	v_lshl_add_u32 v0, v12, 1, v0
	v_lshlrev_b32_e32 v14, 1, v6
	v_add_co_u32 v1, vcc_lo, v1, v13
	s_delay_alu instid0(VALU_DEP_4) | instskip(NEXT) | instid1(VALU_DEP_3)
	v_add_co_ci_u32_e32 v13, vcc_lo, 0, v2, vcc_lo
	v_add3_u32 v2, v0, v14, 0
	s_delay_alu instid0(VALU_DEP_3) | instskip(NEXT) | instid1(VALU_DEP_3)
	v_add_co_u32 v0, vcc_lo, s8, v1
	v_add_co_ci_u32_e32 v1, vcc_lo, s9, v13, vcc_lo
	v_max_f32_e64 v13, s10, s10
	v_max_f32_e64 v14, s11, s11
	s_mov_b32 s15, 0
.LBB27_25:                              ; =>This Inner Loop Header: Depth=1
	ds_load_b128 v[16:19], v2
	s_waitcnt lgkmcnt(0)
	v_lshlrev_b32_e32 v23, 16, v19
	v_and_b32_e32 v19, 0xffff0000, v19
	v_lshlrev_b32_e32 v21, 16, v17
	s_delay_alu instid0(VALU_DEP_3) | instskip(NEXT) | instid1(VALU_DEP_3)
	v_div_scale_f32 v36, null, v5, v5, v23
	v_div_scale_f32 v38, null, v5, v5, v19
	s_delay_alu instid0(VALU_DEP_3) | instskip(NEXT) | instid1(VALU_DEP_3)
	v_div_scale_f32 v28, null, v5, v5, v21
	v_rcp_f32_e32 v46, v36
	s_delay_alu instid0(VALU_DEP_2) | instskip(NEXT) | instid1(VALU_DEP_1)
	v_rcp_f32_e32 v47, v38
	v_rcp_f32_e32 v42, v28
	s_delay_alu instid0(TRANS32_DEP_3)
	v_fma_f32 v54, -v36, v46, 1.0
	s_waitcnt_depctr 0xfff
	v_fma_f32 v55, -v38, v47, 1.0
	v_lshlrev_b32_e32 v22, 16, v18
	v_and_b32_e32 v18, 0xffff0000, v18
	v_fma_f32 v50, -v28, v42, 1.0
	s_delay_alu instid0(VALU_DEP_4) | instskip(NEXT) | instid1(VALU_DEP_4)
	v_dual_fmac_f32 v46, v54, v46 :: v_dual_fmac_f32 v47, v55, v47
	v_div_scale_f32 v32, null, v5, v5, v22
	s_delay_alu instid0(VALU_DEP_4) | instskip(NEXT) | instid1(VALU_DEP_4)
	v_div_scale_f32 v34, null, v5, v5, v18
	v_fmac_f32_e32 v42, v50, v42
	s_delay_alu instid0(VALU_DEP_3) | instskip(SKIP_1) | instid1(VALU_DEP_3)
	v_rcp_f32_e32 v44, v32
	v_div_scale_f32 v29, s2, v21, v5, v21
	v_rcp_f32_e32 v45, v34
	v_div_scale_f32 v33, s4, v22, v5, v22
	v_div_scale_f32 v37, s6, v23, v5, v23
	s_waitcnt_depctr 0xfff
	v_fma_f32 v52, -v32, v44, 1.0
	v_and_b32_e32 v17, 0xffff0000, v17
	v_fma_f32 v53, -v34, v45, 1.0
	s_delay_alu instid0(VALU_DEP_3) | instskip(NEXT) | instid1(VALU_DEP_3)
	v_fmac_f32_e32 v44, v52, v44
	v_div_scale_f32 v30, null, v5, v5, v17
	v_div_scale_f32 v31, s3, v17, v5, v17
	s_delay_alu instid0(VALU_DEP_4) | instskip(NEXT) | instid1(VALU_DEP_3)
	v_fmac_f32_e32 v45, v53, v45
	v_rcp_f32_e32 v43, v30
	s_waitcnt_depctr 0xfff
	v_fma_f32 v51, -v30, v43, 1.0
	v_lshlrev_b32_e32 v20, 16, v16
	s_delay_alu instid0(VALU_DEP_2) | instskip(NEXT) | instid1(VALU_DEP_2)
	v_dual_fmac_f32 v43, v51, v43 :: v_dual_and_b32 v16, 0xffff0000, v16
	v_div_scale_f32 v24, null, v5, v5, v20
	s_delay_alu instid0(VALU_DEP_2) | instskip(SKIP_1) | instid1(VALU_DEP_3)
	v_div_scale_f32 v26, null, v5, v5, v16
	v_div_scale_f32 v25, vcc_lo, v20, v5, v20
	v_rcp_f32_e32 v40, v24
	s_delay_alu instid0(VALU_DEP_2) | instskip(SKIP_2) | instid1(VALU_DEP_1)
	v_rcp_f32_e32 v41, v26
	v_div_scale_f32 v27, s1, v16, v5, v16
	v_dual_mul_f32 v50, v29, v42 :: v_dual_mul_f32 v51, v31, v43
	v_fma_f32 v58, -v28, v50, v29
	s_waitcnt_depctr 0xfff
	v_fma_f32 v48, -v24, v40, 1.0
	v_fma_f32 v49, -v26, v41, 1.0
	v_add_nc_u32_e32 v15, 16, v15
	v_add_nc_u32_e32 v2, 0x100, v2
	v_fma_f32 v59, -v30, v51, v31
	s_delay_alu instid0(VALU_DEP_4) | instskip(SKIP_2) | instid1(VALU_DEP_3)
	v_dual_fmac_f32 v40, v48, v40 :: v_dual_fmac_f32 v41, v49, v41
	v_fmac_f32_e32 v50, v58, v42
	v_cmp_ge_i32_e64 s0, v15, v9
	v_dual_fmac_f32 v51, v59, v43 :: v_dual_mul_f32 v48, v25, v40
	s_delay_alu instid0(VALU_DEP_4) | instskip(SKIP_2) | instid1(VALU_DEP_4)
	v_mul_f32_e32 v49, v27, v41
	v_div_scale_f32 v35, s5, v18, v5, v18
	v_mul_f32_e32 v52, v33, v44
	v_fma_f32 v56, -v24, v48, v25
	s_delay_alu instid0(VALU_DEP_4) | instskip(NEXT) | instid1(VALU_DEP_4)
	v_fma_f32 v57, -v26, v49, v27
	v_mul_f32_e32 v53, v35, v45
	v_div_scale_f32 v39, s7, v19, v5, v19
	s_delay_alu instid0(VALU_DEP_3) | instskip(NEXT) | instid1(VALU_DEP_2)
	v_dual_fmac_f32 v48, v56, v40 :: v_dual_fmac_f32 v49, v57, v41
	v_dual_mul_f32 v54, v37, v46 :: v_dual_mul_f32 v55, v39, v47
	v_fma_f32 v60, -v32, v52, v33
	v_fma_f32 v61, -v34, v53, v35
	s_delay_alu instid0(VALU_DEP_4) | instskip(NEXT) | instid1(VALU_DEP_4)
	v_fma_f32 v24, -v24, v48, v25
	v_fma_f32 v62, -v36, v54, v37
	;; [unrolled: 1-line block ×3, first 2 shown]
	s_delay_alu instid0(VALU_DEP_4)
	v_dual_fmac_f32 v52, v60, v44 :: v_dual_fmac_f32 v53, v61, v45
	v_fma_f32 v26, -v28, v50, v29
	v_div_fmas_f32 v24, v24, v40, v48
	s_mov_b32 vcc_lo, s1
	v_fma_f32 v27, -v30, v51, v31
	v_fma_f32 v63, -v38, v55, v39
	v_fmac_f32_e32 v54, v62, v46
	v_div_fmas_f32 v25, v25, v41, v49
	s_mov_b32 vcc_lo, s2
	v_fma_f32 v28, -v32, v52, v33
	v_fmac_f32_e32 v55, v63, v47
	v_div_fmas_f32 v26, v26, v42, v50
	s_mov_b32 vcc_lo, s3
	v_fma_f32 v29, -v34, v53, v35
	v_div_fixup_f32 v20, v24, v5, v20
	v_div_fmas_f32 v24, v27, v43, v51
	s_mov_b32 vcc_lo, s4
	v_fma_f32 v30, -v36, v54, v37
	v_div_fixup_f32 v16, v25, v5, v16
	v_div_fmas_f32 v25, v28, v44, v52
	s_mov_b32 vcc_lo, s5
	v_div_fixup_f32 v21, v26, v5, v21
	v_div_fmas_f32 v26, v29, v45, v53
	s_mov_b32 vcc_lo, s6
	v_fma_f32 v31, -v38, v55, v39
	v_div_fixup_f32 v17, v24, v5, v17
	v_div_fmas_f32 v24, v30, v46, v54
	s_mov_b32 vcc_lo, s7
	v_maxmin_f32 v16, v16, v13, v14
	v_div_fixup_f32 v22, v25, v5, v22
	v_maxmin_f32 v21, v21, v13, v14
	v_div_fmas_f32 v25, v31, v47, v55
	v_div_fixup_f32 v18, v26, v5, v18
	v_div_fixup_f32 v23, v24, v5, v23
	v_maxmin_f32 v17, v17, v13, v14
	v_cvt_i32_f32_e32 v16, v16
	v_cvt_i32_f32_e32 v21, v21
	v_div_fixup_f32 v19, v25, v5, v19
	v_maxmin_f32 v18, v18, v13, v14
	v_maxmin_f32 v23, v23, v13, v14
	v_cvt_i32_f32_e32 v17, v17
	v_and_b32_e32 v16, 0xff, v16
	v_maxmin_f32 v19, v19, v13, v14
	v_and_b32_e32 v21, 0xff, v21
	v_cvt_i32_f32_e32 v18, v18
	v_cvt_i32_f32_e32 v23, v23
	v_maxmin_f32 v20, v20, v13, v14
	v_maxmin_f32 v22, v22, v13, v14
	v_lshlrev_b32_e32 v17, 24, v17
	v_lshlrev_b32_e32 v16, 8, v16
	v_cvt_i32_f32_e32 v19, v19
	v_lshlrev_b32_e32 v21, 16, v21
	v_and_b32_e32 v18, 0xff, v18
	v_and_b32_e32 v23, 0xff, v23
	v_cvt_i32_f32_e32 v20, v20
	v_cvt_i32_f32_e32 v22, v22
	v_lshlrev_b32_e32 v19, 24, v19
	v_or3_b32 v16, v17, v21, v16
	v_lshlrev_b32_e32 v17, 8, v18
	v_lshlrev_b32_e32 v18, 16, v23
	v_and_b32_e32 v20, 0xff, v20
	v_and_b32_e32 v22, 0xff, v22
	s_or_b32 s15, s0, s15
	s_delay_alu instid0(VALU_DEP_3) | instskip(NEXT) | instid1(VALU_DEP_3)
	v_or_b32_e32 v18, v19, v18
	v_or_b32_e32 v16, v16, v20
	s_delay_alu instid0(VALU_DEP_2)
	v_or3_b32 v17, v18, v17, v22
	global_store_b64 v[0:1], v[16:17], off
	v_add_co_u32 v0, vcc_lo, 0x80, v0
	v_add_co_ci_u32_e32 v1, vcc_lo, 0, v1, vcc_lo
	s_and_not1_b32 exec_lo, exec_lo, s15
	s_cbranch_execnz .LBB27_25
.LBB27_26:
	s_or_b32 exec_lo, exec_lo, s14
	v_lshlrev_b32_e32 v2, 3, v9
	s_mov_b32 s2, exec_lo
	s_delay_alu instid0(VALU_DEP_1) | instskip(NEXT) | instid1(VALU_DEP_1)
	v_add_nc_u32_e32 v0, v2, v11
	v_cmpx_lt_i32_e64 v0, v3
	s_cbranch_execz .LBB27_36
; %bb.27:
	v_add_nc_u32_e32 v1, 16, v0
	v_add_co_u32 v7, vcc_lo, v7, v6
	v_add_co_ci_u32_e32 v8, vcc_lo, v8, v10, vcc_lo
	s_delay_alu instid0(VALU_DEP_3) | instskip(SKIP_2) | instid1(VALU_DEP_1)
	v_max_i32_e32 v13, v1, v3
	s_mov_b32 s0, 0
                                        ; implicit-def: $vgpr10
	s_mov_b32 s1, exec_lo
	v_xad_u32 v13, v11, -1, v13
	s_delay_alu instid0(VALU_DEP_1) | instskip(NEXT) | instid1(VALU_DEP_1)
	v_sub_nc_u32_e32 v2, v13, v2
	v_cmpx_lt_u32_e32 15, v2
	s_xor_b32 s3, exec_lo, s1
	s_cbranch_execnz .LBB27_30
; %bb.28:
	s_and_not1_saveexec_b32 s1, s3
	s_cbranch_execnz .LBB27_33
.LBB27_29:
	s_or_b32 exec_lo, exec_lo, s1
	s_delay_alu instid0(SALU_CYCLE_1)
	s_and_b32 exec_lo, exec_lo, s0
	s_cbranch_execnz .LBB27_34
	s_branch .LBB27_36
.LBB27_30:
	v_lshrrev_b32_e32 v2, 4, v2
	v_lshlrev_b32_e32 v4, 1, v6
	v_lshlrev_b32_e32 v10, 1, v12
	s_mov_b32 s0, s10
	s_mov_b32 s1, s10
	v_add_nc_u32_e32 v6, 1, v2
	v_lshlrev_b32_e32 v2, 1, v11
	s_mov_b32 s4, s11
	s_mov_b32 s5, s11
	v_max_f32_e64 v13, s1, s1
	v_and_b32_e32 v11, 0x1ffffffe, v6
	v_dual_mov_b32 v9, v5 :: v_dual_lshlrev_b32 v12, 4, v9
	v_max_f32_e64 v14, s0, s0
	v_max_f32_e64 v15, s4, s4
	s_delay_alu instid0(VALU_DEP_4) | instskip(NEXT) | instid1(VALU_DEP_4)
	v_mov_b32_e32 v17, v11
	v_add3_u32 v12, v10, v12, v4
	v_max_f32_e64 v16, s5, s5
	s_mov_b32 s4, 0
	s_delay_alu instid0(VALU_DEP_2)
	v_add3_u32 v12, v12, v2, 0
	v_mov_b32_e32 v2, v1
	v_mov_b32_e32 v1, v0
.LBB27_31:                              ; =>This Inner Loop Header: Depth=1
	ds_load_u16 v19, v12 offset:32
	ds_load_u16 v20, v12
	v_ashrrev_i32_e32 v21, 31, v2
	v_mov_b32_e32 v22, v2
	v_ashrrev_i32_e32 v23, 31, v1
	v_add_co_u32 v18, s0, v7, v1
	v_add_nc_u32_e32 v1, 32, v1
	v_add_nc_u32_e32 v12, 64, v12
	s_waitcnt lgkmcnt(1)
	v_lshlrev_b32_e32 v24, 16, v19
	s_waitcnt lgkmcnt(0)
	v_lshlrev_b32_e32 v20, 16, v20
	s_delay_alu instid0(VALU_DEP_2) | instskip(NEXT) | instid1(VALU_DEP_2)
	v_div_scale_f32 v19, null, v9, v9, v24
	v_div_scale_f32 v25, null, v5, v5, v20
	v_div_scale_f32 v29, s1, v20, v5, v20
	s_delay_alu instid0(VALU_DEP_3) | instskip(NEXT) | instid1(VALU_DEP_2)
	v_rcp_f32_e32 v26, v19
	v_rcp_f32_e32 v27, v25
	v_div_scale_f32 v28, vcc_lo, v24, v9, v24
	s_waitcnt_depctr 0xfff
	v_fma_f32 v30, -v19, v26, 1.0
	v_fma_f32 v31, -v25, v27, 1.0
	v_add_nc_u32_e32 v2, 32, v2
	s_delay_alu instid0(VALU_DEP_3) | instskip(NEXT) | instid1(VALU_DEP_3)
	v_dual_fmac_f32 v26, v30, v26 :: v_dual_add_nc_u32 v17, -2, v17
	v_fmac_f32_e32 v27, v31, v27
	s_delay_alu instid0(VALU_DEP_1) | instskip(NEXT) | instid1(VALU_DEP_1)
	v_mul_f32_e32 v31, v29, v27
	v_fma_f32 v33, -v25, v31, v29
	s_delay_alu instid0(VALU_DEP_1) | instskip(NEXT) | instid1(VALU_DEP_1)
	v_dual_mul_f32 v30, v28, v26 :: v_dual_fmac_f32 v31, v33, v27
	v_fma_f32 v32, -v19, v30, v28
	s_delay_alu instid0(VALU_DEP_2) | instskip(NEXT) | instid1(VALU_DEP_2)
	v_fma_f32 v25, -v25, v31, v29
	v_fmac_f32_e32 v30, v32, v26
	s_delay_alu instid0(VALU_DEP_1) | instskip(NEXT) | instid1(VALU_DEP_1)
	v_fma_f32 v19, -v19, v30, v28
	v_div_fmas_f32 v26, v19, v26, v30
	s_mov_b32 vcc_lo, s1
	v_div_fmas_f32 v25, v25, v27, v31
	v_add_co_ci_u32_e64 v19, vcc_lo, v8, v23, s0
	s_delay_alu instid0(VALU_DEP_3) | instskip(NEXT) | instid1(VALU_DEP_3)
	v_div_fixup_f32 v23, v26, v9, v24
	v_div_fixup_f32 v24, v25, v5, v20
	v_add_co_u32 v20, vcc_lo, v7, v22
	s_delay_alu instid0(VALU_DEP_3) | instskip(SKIP_1) | instid1(VALU_DEP_4)
	v_maxmin_f32 v22, v23, v13, v16
	v_add_co_ci_u32_e32 v21, vcc_lo, v8, v21, vcc_lo
	v_maxmin_f32 v23, v24, v14, v15
	v_cmp_eq_u32_e32 vcc_lo, 0, v17
	s_delay_alu instid0(VALU_DEP_4) | instskip(NEXT) | instid1(VALU_DEP_3)
	v_cvt_i32_f32_e32 v22, v22
	v_cvt_i32_f32_e32 v23, v23
	s_or_b32 s4, vcc_lo, s4
	s_clause 0x1
	global_store_b8 v[18:19], v23, off
	global_store_b8 v[20:21], v22, off
	s_and_not1_b32 exec_lo, exec_lo, s4
	s_cbranch_execnz .LBB27_31
; %bb.32:
	s_or_b32 exec_lo, exec_lo, s4
	v_cmp_ne_u32_e32 vcc_lo, v6, v11
	v_lshl_add_u32 v0, v11, 4, v0
                                        ; implicit-def: $vgpr12
	s_and_b32 s0, vcc_lo, exec_lo
	s_and_not1_saveexec_b32 s1, s3
	s_cbranch_execz .LBB27_29
.LBB27_33:
	v_lshlrev_b32_e32 v10, 1, v12
	s_or_b32 s0, s0, exec_lo
	s_or_b32 exec_lo, exec_lo, s1
	s_delay_alu instid0(SALU_CYCLE_1)
	s_and_b32 exec_lo, exec_lo, s0
	s_cbranch_execz .LBB27_36
.LBB27_34:
	v_lshl_add_u32 v6, v0, 1, v10
	v_ashrrev_i32_e32 v1, 31, v0
	v_max_f32_e64 v2, s10, s10
	s_mov_b32 s1, 0
	s_delay_alu instid0(VALU_DEP_3)
	v_add3_u32 v4, v6, v4, 0
	v_max_f32_e64 v6, s11, s11
	s_set_inst_prefetch_distance 0x1
	.p2align	6
.LBB27_35:                              ; =>This Inner Loop Header: Depth=1
	ds_load_u16 v9, v4
	v_add_nc_u32_e32 v4, 32, v4
	s_waitcnt lgkmcnt(0)
	v_lshlrev_b32_e32 v10, 16, v9
	s_delay_alu instid0(VALU_DEP_1) | instskip(NEXT) | instid1(VALU_DEP_1)
	v_div_scale_f32 v9, null, v5, v5, v10
	v_rcp_f32_e32 v11, v9
	s_waitcnt_depctr 0xfff
	v_fma_f32 v12, -v9, v11, 1.0
	s_delay_alu instid0(VALU_DEP_1) | instskip(SKIP_1) | instid1(VALU_DEP_1)
	v_fmac_f32_e32 v11, v12, v11
	v_div_scale_f32 v13, vcc_lo, v10, v5, v10
	v_mul_f32_e32 v12, v13, v11
	s_delay_alu instid0(VALU_DEP_1) | instskip(NEXT) | instid1(VALU_DEP_1)
	v_fma_f32 v14, -v9, v12, v13
	v_fmac_f32_e32 v12, v14, v11
	s_delay_alu instid0(VALU_DEP_1) | instskip(NEXT) | instid1(VALU_DEP_1)
	v_fma_f32 v9, -v9, v12, v13
	v_div_fmas_f32 v11, v9, v11, v12
	v_add_co_u32 v9, vcc_lo, v7, v0
	v_add_co_u32 v0, s0, v0, 16
	s_delay_alu instid0(VALU_DEP_3) | instskip(SKIP_2) | instid1(VALU_DEP_3)
	v_div_fixup_f32 v11, v11, v5, v10
	v_add_co_ci_u32_e32 v10, vcc_lo, v8, v1, vcc_lo
	v_add_co_ci_u32_e64 v1, vcc_lo, 0, v1, s0
	v_maxmin_f32 v11, v11, v2, v6
	v_cmp_ge_i32_e32 vcc_lo, v0, v3
	s_delay_alu instid0(VALU_DEP_2)
	v_cvt_i32_f32_e32 v11, v11
	s_or_b32 s1, vcc_lo, s1
	global_store_b8 v[9:10], v11, off
	s_and_not1_b32 exec_lo, exec_lo, s1
	s_cbranch_execnz .LBB27_35
.LBB27_36:
	s_set_inst_prefetch_distance 0x2
	s_or_b32 exec_lo, exec_lo, s2
                                        ; implicit-def: $vgpr11
                                        ; implicit-def: $vgpr5
                                        ; implicit-def: $vgpr12
                                        ; implicit-def: $vgpr1_vgpr2
.LBB27_37:
	s_and_not1_saveexec_b32 s0, s13
	s_cbranch_execz .LBB27_41
; %bb.38:
	s_ashr_i32 s12, s12, 3
	s_mov_b32 s0, exec_lo
	v_cmpx_gt_i32_e64 s12, v11
	s_cbranch_execz .LBB27_41
; %bb.39:
	v_lshlrev_b32_e32 v0, 3, v11
	v_lshlrev_b32_e32 v3, 1, v12
	;; [unrolled: 1-line block ×3, first 2 shown]
	s_delay_alu instid0(VALU_DEP_3) | instskip(SKIP_1) | instid1(VALU_DEP_3)
	v_add_co_u32 v0, vcc_lo, v1, v0
	v_add_co_ci_u32_e32 v1, vcc_lo, 0, v2, vcc_lo
	v_add3_u32 v2, v3, v4, 0
	s_delay_alu instid0(VALU_DEP_3) | instskip(NEXT) | instid1(VALU_DEP_3)
	v_add_co_u32 v0, vcc_lo, s8, v0
	v_add_co_ci_u32_e32 v1, vcc_lo, s9, v1, vcc_lo
	v_max_f32_e64 v3, s10, s10
	v_max_f32_e64 v4, s11, s11
	s_mov_b32 s8, 0
.LBB27_40:                              ; =>This Inner Loop Header: Depth=1
	ds_load_b128 v[6:9], v2
	s_waitcnt lgkmcnt(0)
	v_lshlrev_b32_e32 v14, 16, v9
	v_and_b32_e32 v9, 0xffff0000, v9
	s_delay_alu instid0(VALU_DEP_2) | instskip(NEXT) | instid1(VALU_DEP_2)
	v_div_scale_f32 v27, null, v5, v5, v14
	v_div_scale_f32 v29, null, v5, v5, v9
	s_delay_alu instid0(VALU_DEP_2) | instskip(NEXT) | instid1(VALU_DEP_1)
	v_rcp_f32_e32 v37, v27
	v_rcp_f32_e32 v38, v29
	s_waitcnt_depctr 0xfff
	v_fma_f32 v45, -v27, v37, 1.0
	v_lshlrev_b32_e32 v12, 16, v7
	v_fma_f32 v46, -v29, v38, 1.0
	v_lshlrev_b32_e32 v13, 16, v8
	v_and_b32_e32 v7, 0xffff0000, v7
	v_fmac_f32_e32 v37, v45, v37
	v_div_scale_f32 v19, null, v5, v5, v12
	v_fmac_f32_e32 v38, v46, v38
	v_div_scale_f32 v23, null, v5, v5, v13
	s_delay_alu instid0(VALU_DEP_3) | instskip(SKIP_1) | instid1(VALU_DEP_2)
	v_rcp_f32_e32 v33, v19
	v_div_scale_f32 v21, null, v5, v5, v7
	v_rcp_f32_e32 v35, v23
	v_div_scale_f32 v20, s2, v12, v5, v12
	s_delay_alu instid0(VALU_DEP_2) | instskip(SKIP_1) | instid1(TRANS32_DEP_3)
	v_rcp_f32_e32 v34, v21
	v_div_scale_f32 v24, s4, v13, v5, v13
	v_fma_f32 v41, -v19, v33, 1.0
	v_lshlrev_b32_e32 v10, 16, v6
	s_waitcnt_depctr 0xfff
	v_fma_f32 v43, -v23, v35, 1.0
	v_dual_fmac_f32 v33, v41, v33 :: v_dual_and_b32 v6, 0xffff0000, v6
	v_div_scale_f32 v15, null, v5, v5, v10
	s_delay_alu instid0(VALU_DEP_3) | instskip(NEXT) | instid1(VALU_DEP_3)
	v_fmac_f32_e32 v35, v43, v35
	v_div_scale_f32 v17, null, v5, v5, v6
	s_delay_alu instid0(VALU_DEP_3) | instskip(SKIP_1) | instid1(VALU_DEP_2)
	v_rcp_f32_e32 v31, v15
	v_div_scale_f32 v16, vcc_lo, v10, v5, v10
	v_rcp_f32_e32 v32, v17
	v_fma_f32 v42, -v21, v34, 1.0
	v_div_scale_f32 v18, s1, v6, v5, v6
	v_mul_f32_e32 v43, v24, v35
	v_div_scale_f32 v28, s6, v14, v5, v14
	s_delay_alu instid0(TRANS32_DEP_2) | instskip(SKIP_2) | instid1(TRANS32_DEP_1)
	v_fma_f32 v39, -v15, v31, 1.0
	v_add_nc_u32_e32 v2, 0x100, v2
	v_fmac_f32_e32 v34, v42, v34
	v_fma_f32 v40, -v17, v32, 1.0
	v_add_nc_u32_e32 v11, 16, v11
	v_dual_fmac_f32 v31, v39, v31 :: v_dual_and_b32 v8, 0xffff0000, v8
	v_div_scale_f32 v22, s3, v7, v5, v7
	s_delay_alu instid0(VALU_DEP_4) | instskip(NEXT) | instid1(VALU_DEP_3)
	v_fmac_f32_e32 v32, v40, v32
	v_mul_f32_e32 v39, v16, v31
	s_delay_alu instid0(VALU_DEP_4) | instskip(NEXT) | instid1(VALU_DEP_3)
	v_div_scale_f32 v25, null, v5, v5, v8
	v_dual_mul_f32 v41, v20, v33 :: v_dual_mul_f32 v40, v18, v32
	v_div_scale_f32 v26, s5, v8, v5, v8
	s_delay_alu instid0(VALU_DEP_3)
	v_rcp_f32_e32 v36, v25
	v_fma_f32 v47, -v15, v39, v16
	v_dual_mul_f32 v42, v22, v34 :: v_dual_mul_f32 v45, v28, v37
	v_fma_f32 v48, -v17, v40, v18
	v_fma_f32 v49, -v19, v41, v20
	;; [unrolled: 1-line block ×3, first 2 shown]
	s_delay_alu instid0(VALU_DEP_4) | instskip(SKIP_2) | instid1(TRANS32_DEP_1)
	v_fma_f32 v50, -v21, v42, v22
	v_fma_f32 v53, -v27, v45, v28
	v_fmac_f32_e32 v40, v48, v32
	v_fma_f32 v44, -v25, v36, 1.0
	s_delay_alu instid0(VALU_DEP_4) | instskip(NEXT) | instid1(VALU_DEP_4)
	v_dual_fmac_f32 v43, v51, v35 :: v_dual_fmac_f32 v42, v50, v34
	v_fmac_f32_e32 v45, v53, v37
	v_cmp_le_i32_e64 s0, s12, v11
	s_delay_alu instid0(VALU_DEP_4) | instskip(SKIP_2) | instid1(VALU_DEP_3)
	v_fmac_f32_e32 v36, v44, v36
	v_div_scale_f32 v30, s7, v9, v5, v9
	v_fmac_f32_e32 v39, v47, v31
	v_dual_fmac_f32 v41, v49, v33 :: v_dual_mul_f32 v44, v26, v36
	s_delay_alu instid0(VALU_DEP_3) | instskip(SKIP_1) | instid1(VALU_DEP_3)
	v_mul_f32_e32 v46, v30, v38
	s_or_b32 s8, s0, s8
	v_fma_f32 v15, -v15, v39, v16
	v_fma_f32 v16, -v17, v40, v18
	;; [unrolled: 1-line block ×5, first 2 shown]
	v_div_fmas_f32 v15, v15, v31, v39
	s_mov_b32 vcc_lo, s1
	v_fma_f32 v52, -v25, v44, v26
	v_div_fmas_f32 v16, v16, v32, v40
	s_mov_b32 vcc_lo, s2
	v_div_fixup_f32 v10, v15, v5, v10
	v_div_fmas_f32 v17, v17, v33, v41
	s_mov_b32 vcc_lo, s3
	v_div_fixup_f32 v6, v16, v5, v6
	v_div_fmas_f32 v15, v18, v34, v42
	s_mov_b32 vcc_lo, s4
	v_fma_f32 v54, -v29, v46, v30
	v_div_fmas_f32 v16, v19, v35, v43
	v_fma_f32 v21, -v27, v45, v28
	v_div_fixup_f32 v7, v15, v5, v7
	s_mov_b32 vcc_lo, s5
	v_div_fixup_f32 v12, v17, v5, v12
	v_div_fixup_f32 v13, v16, v5, v13
	v_maxmin_f32 v6, v6, v3, v4
	v_maxmin_f32 v7, v7, v3, v4
	;; [unrolled: 1-line block ×5, first 2 shown]
	v_cvt_i32_f32_e32 v6, v6
	v_cvt_i32_f32_e32 v7, v7
	v_fmac_f32_e32 v44, v52, v36
	v_cvt_i32_f32_e32 v12, v12
	v_cvt_i32_f32_e32 v13, v13
	s_delay_alu instid0(VALU_DEP_4) | instskip(NEXT) | instid1(VALU_DEP_4)
	v_dual_fmac_f32 v46, v54, v38 :: v_dual_lshlrev_b32 v7, 24, v7
	v_fma_f32 v20, -v25, v44, v26
	v_and_b32_e32 v6, 0xff, v6
	s_delay_alu instid0(VALU_DEP_4) | instskip(NEXT) | instid1(VALU_DEP_4)
	v_and_b32_e32 v13, 0xff, v13
	v_fma_f32 v22, -v29, v46, v30
	v_and_b32_e32 v12, 0xff, v12
	v_div_fmas_f32 v17, v20, v36, v44
	s_mov_b32 vcc_lo, s6
	v_lshlrev_b32_e32 v6, 8, v6
	v_div_fmas_f32 v15, v21, v37, v45
	s_mov_b32 vcc_lo, s7
	v_div_fixup_f32 v8, v17, v5, v8
	v_div_fmas_f32 v16, v22, v38, v46
	v_lshlrev_b32_e32 v12, 16, v12
	v_div_fixup_f32 v14, v15, v5, v14
	v_cvt_i32_f32_e32 v10, v10
	v_maxmin_f32 v8, v8, v3, v4
	v_div_fixup_f32 v9, v16, v5, v9
	v_or3_b32 v6, v7, v12, v6
	v_maxmin_f32 v14, v14, v3, v4
	v_and_b32_e32 v10, 0xff, v10
	v_cvt_i32_f32_e32 v8, v8
	v_maxmin_f32 v9, v9, v3, v4
	s_delay_alu instid0(VALU_DEP_4) | instskip(NEXT) | instid1(VALU_DEP_4)
	v_cvt_i32_f32_e32 v14, v14
	v_or_b32_e32 v6, v6, v10
	s_delay_alu instid0(VALU_DEP_4) | instskip(NEXT) | instid1(VALU_DEP_4)
	v_and_b32_e32 v8, 0xff, v8
	v_cvt_i32_f32_e32 v9, v9
	s_delay_alu instid0(VALU_DEP_4) | instskip(NEXT) | instid1(VALU_DEP_3)
	v_and_b32_e32 v14, 0xff, v14
	v_lshlrev_b32_e32 v7, 8, v8
	s_delay_alu instid0(VALU_DEP_3) | instskip(NEXT) | instid1(VALU_DEP_3)
	v_lshlrev_b32_e32 v9, 24, v9
	v_lshlrev_b32_e32 v8, 16, v14
	s_delay_alu instid0(VALU_DEP_1) | instskip(NEXT) | instid1(VALU_DEP_1)
	v_or_b32_e32 v8, v9, v8
	v_or3_b32 v7, v8, v7, v13
	global_store_b64 v[0:1], v[6:7], off
	v_add_co_u32 v0, vcc_lo, 0x80, v0
	v_add_co_ci_u32_e32 v1, vcc_lo, 0, v1, vcc_lo
	s_and_not1_b32 exec_lo, exec_lo, s8
	s_cbranch_execnz .LBB27_40
.LBB27_41:
	s_nop 0
	s_sendmsg sendmsg(MSG_DEALLOC_VGPRS)
	s_endpgm
	.section	.rodata,"a",@progbits
	.p2align	6, 0x0
	.amdhsa_kernel _Z33per_token_group_quant_8bit_kernelIN3c108BFloat16EaLb0ELb0EfEvPKT_PvPT3_iiifffii
		.amdhsa_group_segment_fixed_size 0
		.amdhsa_private_segment_fixed_size 0
		.amdhsa_kernarg_size 56
		.amdhsa_user_sgpr_count 15
		.amdhsa_user_sgpr_dispatch_ptr 0
		.amdhsa_user_sgpr_queue_ptr 0
		.amdhsa_user_sgpr_kernarg_segment_ptr 1
		.amdhsa_user_sgpr_dispatch_id 0
		.amdhsa_user_sgpr_private_segment_size 0
		.amdhsa_wavefront_size32 1
		.amdhsa_uses_dynamic_stack 0
		.amdhsa_enable_private_segment 0
		.amdhsa_system_sgpr_workgroup_id_x 1
		.amdhsa_system_sgpr_workgroup_id_y 0
		.amdhsa_system_sgpr_workgroup_id_z 0
		.amdhsa_system_sgpr_workgroup_info 0
		.amdhsa_system_vgpr_workitem_id 0
		.amdhsa_next_free_vgpr 64
		.amdhsa_next_free_sgpr 16
		.amdhsa_reserve_vcc 1
		.amdhsa_float_round_mode_32 0
		.amdhsa_float_round_mode_16_64 0
		.amdhsa_float_denorm_mode_32 3
		.amdhsa_float_denorm_mode_16_64 3
		.amdhsa_dx10_clamp 1
		.amdhsa_ieee_mode 1
		.amdhsa_fp16_overflow 0
		.amdhsa_workgroup_processor_mode 1
		.amdhsa_memory_ordered 1
		.amdhsa_forward_progress 0
		.amdhsa_shared_vgpr_count 0
		.amdhsa_exception_fp_ieee_invalid_op 0
		.amdhsa_exception_fp_denorm_src 0
		.amdhsa_exception_fp_ieee_div_zero 0
		.amdhsa_exception_fp_ieee_overflow 0
		.amdhsa_exception_fp_ieee_underflow 0
		.amdhsa_exception_fp_ieee_inexact 0
		.amdhsa_exception_int_div_zero 0
	.end_amdhsa_kernel
	.section	.text._Z33per_token_group_quant_8bit_kernelIN3c108BFloat16EaLb0ELb0EfEvPKT_PvPT3_iiifffii,"axG",@progbits,_Z33per_token_group_quant_8bit_kernelIN3c108BFloat16EaLb0ELb0EfEvPKT_PvPT3_iiifffii,comdat
.Lfunc_end27:
	.size	_Z33per_token_group_quant_8bit_kernelIN3c108BFloat16EaLb0ELb0EfEvPKT_PvPT3_iiifffii, .Lfunc_end27-_Z33per_token_group_quant_8bit_kernelIN3c108BFloat16EaLb0ELb0EfEvPKT_PvPT3_iiifffii
                                        ; -- End function
	.section	.AMDGPU.csdata,"",@progbits
; Kernel info:
; codeLenInByte = 4956
; NumSgprs: 18
; NumVgprs: 64
; ScratchSize: 0
; MemoryBound: 0
; FloatMode: 240
; IeeeMode: 1
; LDSByteSize: 0 bytes/workgroup (compile time only)
; SGPRBlocks: 2
; VGPRBlocks: 7
; NumSGPRsForWavesPerEU: 18
; NumVGPRsForWavesPerEU: 64
; Occupancy: 16
; WaveLimiterHint : 0
; COMPUTE_PGM_RSRC2:SCRATCH_EN: 0
; COMPUTE_PGM_RSRC2:USER_SGPR: 15
; COMPUTE_PGM_RSRC2:TRAP_HANDLER: 0
; COMPUTE_PGM_RSRC2:TGID_X_EN: 1
; COMPUTE_PGM_RSRC2:TGID_Y_EN: 0
; COMPUTE_PGM_RSRC2:TGID_Z_EN: 0
; COMPUTE_PGM_RSRC2:TIDIG_COMP_CNT: 0
	.section	.text._Z33per_token_group_quant_8bit_kernelIN3c108BFloat16ENS0_13Float8_e4m3fnELb1ELb1EfEvPKT_PvPT3_iiifffii,"axG",@progbits,_Z33per_token_group_quant_8bit_kernelIN3c108BFloat16ENS0_13Float8_e4m3fnELb1ELb1EfEvPKT_PvPT3_iiifffii,comdat
	.protected	_Z33per_token_group_quant_8bit_kernelIN3c108BFloat16ENS0_13Float8_e4m3fnELb1ELb1EfEvPKT_PvPT3_iiifffii ; -- Begin function _Z33per_token_group_quant_8bit_kernelIN3c108BFloat16ENS0_13Float8_e4m3fnELb1ELb1EfEvPKT_PvPT3_iiifffii
	.globl	_Z33per_token_group_quant_8bit_kernelIN3c108BFloat16ENS0_13Float8_e4m3fnELb1ELb1EfEvPKT_PvPT3_iiifffii
	.p2align	8
	.type	_Z33per_token_group_quant_8bit_kernelIN3c108BFloat16ENS0_13Float8_e4m3fnELb1ELb1EfEvPKT_PvPT3_iiifffii,@function
_Z33per_token_group_quant_8bit_kernelIN3c108BFloat16ENS0_13Float8_e4m3fnELb1ELb1EfEvPKT_PvPT3_iiifffii: ; @_Z33per_token_group_quant_8bit_kernelIN3c108BFloat16ENS0_13Float8_e4m3fnELb1ELb1EfEvPKT_PvPT3_iiifffii
; %bb.0:
	s_clause 0x1
	s_load_b128 s[4:7], s[0:1], 0x20
	s_load_b32 s14, s[0:1], 0x18
	v_lshrrev_b32_e32 v3, 4, v0
	s_load_b64 s[8:9], s[0:1], 0x30
	v_and_b32_e32 v10, 15, v0
                                        ; implicit-def: $vgpr14
	s_waitcnt lgkmcnt(0)
	s_mul_i32 s15, s15, s4
	s_ashr_i32 s4, s14, 31
	v_add_co_u32 v12, s2, s15, v3
	s_delay_alu instid0(VALU_DEP_1) | instskip(SKIP_1) | instid1(VALU_DEP_2)
	v_add_co_ci_u32_e64 v13, null, 0, 0, s2
	s_load_b64 s[2:3], s[0:1], 0x0
	v_mul_lo_u32 v2, v12, s4
	v_mad_u64_u32 v[4:5], null, v12, s14, 0
	s_delay_alu instid0(VALU_DEP_3) | instskip(SKIP_2) | instid1(SALU_CYCLE_1)
	v_mul_lo_u32 v1, v13, s14
	v_mul_lo_u32 v11, v3, s14
	s_and_b32 s4, s14, 7
	s_cmp_eq_u32 s4, 0
	s_cselect_b32 s15, -1, 0
	s_cmp_lg_u32 s4, 0
	s_delay_alu instid0(VALU_DEP_2) | instskip(NEXT) | instid1(VALU_DEP_2)
	v_add3_u32 v5, v5, v2, v1
	v_lshl_add_u32 v3, v11, 1, 0
	s_cselect_b32 s4, -1, 0
	s_delay_alu instid0(VALU_DEP_2) | instskip(SKIP_1) | instid1(VALU_DEP_1)
	v_lshlrev_b64 v[1:2], 1, v[4:5]
	s_waitcnt lgkmcnt(0)
	v_add_co_u32 v6, vcc_lo, s2, v1
	v_mov_b32_e32 v9, 0
	s_delay_alu instid0(VALU_DEP_3) | instskip(NEXT) | instid1(VALU_DEP_3)
	v_add_co_ci_u32_e32 v7, vcc_lo, s3, v2, vcc_lo
	v_and_b32_e32 v8, 15, v6
	s_delay_alu instid0(VALU_DEP_1) | instskip(SKIP_1) | instid1(SALU_CYCLE_1)
	v_cmp_ne_u64_e32 vcc_lo, 0, v[8:9]
	s_or_b32 s4, s4, vcc_lo
	s_and_saveexec_b32 s10, s4
	s_delay_alu instid0(SALU_CYCLE_1)
	s_xor_b32 s4, exec_lo, s10
	s_cbranch_execz .LBB28_12
; %bb.1:
	v_sub_nc_u32_e32 v0, 0, v6
	v_mov_b32_e32 v14, s5
	s_mov_b32 s10, exec_lo
	s_delay_alu instid0(VALU_DEP_2) | instskip(NEXT) | instid1(VALU_DEP_1)
	v_bfe_u32 v0, v0, 1, 3
	v_min_i32_e32 v8, s14, v0
	s_delay_alu instid0(VALU_DEP_1)
	v_cmpx_gt_i32_e64 v8, v10
	s_cbranch_execz .LBB28_3
; %bb.2:
	v_lshlrev_b32_e32 v0, 1, v10
	v_max_f32_e64 v9, s5, s5
	s_delay_alu instid0(VALU_DEP_2)
	v_add_co_u32 v6, vcc_lo, v6, v0
	v_add_co_ci_u32_e32 v7, vcc_lo, 0, v7, vcc_lo
	v_add_nc_u32_e32 v0, v3, v0
	global_load_u16 v6, v[6:7], off
	s_waitcnt vmcnt(0)
	v_lshlrev_b32_e32 v7, 16, v6
	ds_store_b16 v0, v6
	v_max_f32_e64 v7, |v7|, |v7|
	s_delay_alu instid0(VALU_DEP_1)
	v_max_f32_e32 v14, v9, v7
.LBB28_3:
	s_or_b32 exec_lo, exec_lo, s10
	v_sub_nc_u32_e32 v15, s14, v8
	v_ashrrev_i32_e32 v9, 31, v8
	s_mov_b32 s10, exec_lo
	s_delay_alu instid0(VALU_DEP_2) | instskip(NEXT) | instid1(VALU_DEP_2)
	v_ashrrev_i32_e32 v0, 31, v15
	v_lshlrev_b64 v[6:7], 1, v[8:9]
	s_delay_alu instid0(VALU_DEP_2) | instskip(NEXT) | instid1(VALU_DEP_1)
	v_lshrrev_b32_e32 v0, 29, v0
	v_add_nc_u32_e32 v0, v15, v0
	s_delay_alu instid0(VALU_DEP_1) | instskip(SKIP_1) | instid1(VALU_DEP_2)
	v_ashrrev_i32_e32 v16, 3, v0
	v_lshlrev_b32_e32 v0, 1, v8
	v_cmpx_gt_i32_e64 v16, v10
	s_cbranch_execz .LBB28_7
; %bb.4:
	v_lshlrev_b32_e32 v8, 4, v10
	s_mov_b32 s11, 0
	s_delay_alu instid0(VALU_DEP_1) | instskip(SKIP_2) | instid1(VALU_DEP_3)
	v_add_co_u32 v9, vcc_lo, v1, v8
	v_add_co_ci_u32_e32 v17, vcc_lo, 0, v2, vcc_lo
	v_lshl_add_u32 v8, v11, 1, v8
	v_add_co_u32 v9, vcc_lo, v9, v6
	s_delay_alu instid0(VALU_DEP_3) | instskip(NEXT) | instid1(VALU_DEP_2)
	v_add_co_ci_u32_e32 v17, vcc_lo, v17, v7, vcc_lo
	v_add_co_u32 v9, vcc_lo, v9, s2
	s_delay_alu instid0(VALU_DEP_2) | instskip(SKIP_1) | instid1(VALU_DEP_3)
	v_add_co_ci_u32_e32 v18, vcc_lo, s3, v17, vcc_lo
	v_add3_u32 v17, v8, v0, 0
	v_add_co_u32 v8, vcc_lo, v9, 8
	s_delay_alu instid0(VALU_DEP_3)
	v_add_co_ci_u32_e32 v9, vcc_lo, 0, v18, vcc_lo
	v_mov_b32_e32 v18, v10
	s_set_inst_prefetch_distance 0x1
	.p2align	6
.LBB28_5:                               ; =>This Inner Loop Header: Depth=1
	global_load_b128 v[19:22], v[8:9], off offset:-8
	v_add_nc_u32_e32 v18, 16, v18
	v_add_co_u32 v8, vcc_lo, 0x100, v8
	v_add_co_ci_u32_e32 v9, vcc_lo, 0, v9, vcc_lo
	s_delay_alu instid0(VALU_DEP_3)
	v_cmp_ge_i32_e32 vcc_lo, v18, v16
	s_or_b32 s11, vcc_lo, s11
	s_waitcnt vmcnt(0)
	v_lshlrev_b32_e32 v23, 16, v19
	v_and_b32_e32 v24, 0xffff0000, v19
	v_lshlrev_b32_e32 v25, 16, v20
	v_and_b32_e32 v26, 0xffff0000, v20
	ds_store_b128 v17, v[19:22]
	v_add_nc_u32_e32 v17, 0x100, v17
	v_max3_f32 v14, v14, |v23|, |v24|
	v_lshlrev_b32_e32 v23, 16, v21
	v_and_b32_e32 v24, 0xffff0000, v21
	s_delay_alu instid0(VALU_DEP_3) | instskip(SKIP_2) | instid1(VALU_DEP_3)
	v_max3_f32 v14, v14, |v25|, |v26|
	v_lshlrev_b32_e32 v25, 16, v22
	v_and_b32_e32 v26, 0xffff0000, v22
	v_max3_f32 v14, v14, |v23|, |v24|
	s_delay_alu instid0(VALU_DEP_1)
	v_max3_f32 v14, v14, |v25|, |v26|
	s_and_not1_b32 exec_lo, exec_lo, s11
	s_cbranch_execnz .LBB28_5
; %bb.6:
	s_set_inst_prefetch_distance 0x2
	s_or_b32 exec_lo, exec_lo, s11
.LBB28_7:
	s_delay_alu instid0(SALU_CYCLE_1) | instskip(SKIP_2) | instid1(VALU_DEP_1)
	s_or_b32 exec_lo, exec_lo, s10
	v_lshl_add_u32 v8, v16, 3, v10
	s_mov_b32 s10, exec_lo
	v_cmpx_lt_i32_e64 v8, v15
	s_cbranch_execz .LBB28_11
; %bb.8:
	v_ashrrev_i32_e32 v9, 31, v8
	v_lshlrev_b32_e32 v19, 4, v16
	v_lshlrev_b32_e32 v18, 1, v11
	v_add_co_u32 v1, vcc_lo, v1, v6
	s_delay_alu instid0(VALU_DEP_4) | instskip(SKIP_4) | instid1(VALU_DEP_4)
	v_lshlrev_b64 v[16:17], 1, v[8:9]
	v_add_co_ci_u32_e32 v2, vcc_lo, v2, v7, vcc_lo
	v_lshlrev_b32_e32 v20, 1, v10
	v_add3_u32 v0, v18, v19, v0
	s_mov_b32 s11, 0
	v_add_co_u32 v1, vcc_lo, v1, v16
	v_add_co_ci_u32_e32 v6, vcc_lo, v2, v17, vcc_lo
	s_delay_alu instid0(VALU_DEP_3) | instskip(NEXT) | instid1(VALU_DEP_3)
	v_add3_u32 v2, v0, v20, 0
	v_add_co_u32 v0, vcc_lo, s2, v1
	s_delay_alu instid0(VALU_DEP_3)
	v_add_co_ci_u32_e32 v1, vcc_lo, s3, v6, vcc_lo
	.p2align	6
.LBB28_9:                               ; =>This Inner Loop Header: Depth=1
	global_load_u16 v6, v[0:1], off
	v_dual_max_f32 v7, v14, v14 :: v_dual_add_nc_u32 v8, 16, v8
	v_add_co_u32 v0, vcc_lo, v0, 32
	v_add_co_ci_u32_e32 v1, vcc_lo, 0, v1, vcc_lo
	s_delay_alu instid0(VALU_DEP_3)
	v_cmp_ge_i32_e32 vcc_lo, v8, v15
	s_or_b32 s11, vcc_lo, s11
	s_waitcnt vmcnt(0)
	v_lshlrev_b32_e32 v9, 16, v6
	ds_store_b16 v2, v6
	v_add_nc_u32_e32 v2, 32, v2
	v_max_f32_e64 v9, |v9|, |v9|
	s_delay_alu instid0(VALU_DEP_1)
	v_max_f32_e32 v14, v7, v9
	s_and_not1_b32 exec_lo, exec_lo, s11
	s_cbranch_execnz .LBB28_9
; %bb.10:
	s_or_b32 exec_lo, exec_lo, s11
.LBB28_11:
	s_delay_alu instid0(SALU_CYCLE_1)
	s_or_b32 exec_lo, exec_lo, s10
                                        ; implicit-def: $vgpr1_vgpr2
.LBB28_12:
	s_and_not1_saveexec_b32 s4, s4
	s_cbranch_execz .LBB28_18
; %bb.13:
	v_mov_b32_e32 v14, s5
	s_ashr_i32 s11, s14, 3
	s_mov_b32 s10, exec_lo
	v_cmpx_gt_i32_e64 s11, v10
	s_cbranch_execz .LBB28_17
; %bb.14:
	v_lshlrev_b32_e32 v0, 4, v10
	v_lshlrev_b32_e32 v6, 1, v11
	v_mov_b32_e32 v14, s5
	s_delay_alu instid0(VALU_DEP_3) | instskip(SKIP_1) | instid1(VALU_DEP_2)
	v_add_co_u32 v1, vcc_lo, v1, v0
	v_add_co_ci_u32_e32 v2, vcc_lo, 0, v2, vcc_lo
	v_add_co_u32 v1, vcc_lo, v1, s2
	s_delay_alu instid0(VALU_DEP_2) | instskip(SKIP_1) | instid1(VALU_DEP_3)
	v_add_co_ci_u32_e32 v7, vcc_lo, s3, v2, vcc_lo
	v_add3_u32 v2, v6, v0, 0
	v_add_co_u32 v0, vcc_lo, v1, 8
	s_delay_alu instid0(VALU_DEP_3)
	v_add_co_ci_u32_e32 v1, vcc_lo, 0, v7, vcc_lo
	v_mov_b32_e32 v6, v10
	s_mov_b32 s2, 0
	s_set_inst_prefetch_distance 0x1
	.p2align	6
.LBB28_15:                              ; =>This Inner Loop Header: Depth=1
	global_load_b128 v[15:18], v[0:1], off offset:-8
	v_add_nc_u32_e32 v6, 16, v6
	v_add_co_u32 v0, vcc_lo, 0x100, v0
	v_add_co_ci_u32_e32 v1, vcc_lo, 0, v1, vcc_lo
	s_delay_alu instid0(VALU_DEP_3)
	v_cmp_le_i32_e32 vcc_lo, s11, v6
	s_or_b32 s2, vcc_lo, s2
	s_waitcnt vmcnt(0)
	v_lshlrev_b32_e32 v7, 16, v15
	v_and_b32_e32 v8, 0xffff0000, v15
	v_lshlrev_b32_e32 v9, 16, v16
	v_and_b32_e32 v19, 0xffff0000, v16
	ds_store_b128 v2, v[15:18]
	v_add_nc_u32_e32 v2, 0x100, v2
	v_max3_f32 v7, v14, |v7|, |v8|
	v_lshlrev_b32_e32 v8, 16, v17
	v_and_b32_e32 v14, 0xffff0000, v17
	s_delay_alu instid0(VALU_DEP_3) | instskip(SKIP_2) | instid1(VALU_DEP_3)
	v_max3_f32 v7, v7, |v9|, |v19|
	v_lshlrev_b32_e32 v9, 16, v18
	v_and_b32_e32 v19, 0xffff0000, v18
	v_max3_f32 v7, v7, |v8|, |v14|
	s_delay_alu instid0(VALU_DEP_1)
	v_max3_f32 v14, v7, |v9|, |v19|
	s_and_not1_b32 exec_lo, exec_lo, s2
	s_cbranch_execnz .LBB28_15
; %bb.16:
	s_set_inst_prefetch_distance 0x2
	s_or_b32 exec_lo, exec_lo, s2
.LBB28_17:
	s_delay_alu instid0(SALU_CYCLE_1)
	s_or_b32 exec_lo, exec_lo, s10
.LBB28_18:
	s_delay_alu instid0(SALU_CYCLE_1) | instskip(SKIP_4) | instid1(VALU_DEP_2)
	s_or_b32 exec_lo, exec_lo, s4
	v_mbcnt_lo_u32_b32 v0, -1, 0
	v_max_f32_e32 v7, v14, v14
	s_load_b64 s[2:3], s[0:1], 0x8
	s_mov_b32 s16, exec_lo
	v_xor_b32_e32 v2, 8, v0
	v_and_b32_e32 v1, 16, v0
	v_xor_b32_e32 v6, 4, v0
	s_delay_alu instid0(VALU_DEP_2) | instskip(NEXT) | instid1(VALU_DEP_1)
	v_add_nc_u32_e32 v1, 16, v1
	v_cmp_lt_i32_e32 vcc_lo, v2, v1
	v_cndmask_b32_e32 v2, v0, v2, vcc_lo
	s_delay_alu instid0(VALU_DEP_4) | instskip(NEXT) | instid1(VALU_DEP_2)
	v_cmp_lt_i32_e32 vcc_lo, v6, v1
	v_lshlrev_b32_e32 v2, 2, v2
	v_cndmask_b32_e32 v6, v0, v6, vcc_lo
	ds_bpermute_b32 v2, v2, v14
	v_lshlrev_b32_e32 v6, 2, v6
	s_waitcnt lgkmcnt(0)
	v_max_f32_e32 v2, v2, v2
	s_delay_alu instid0(VALU_DEP_1)
	v_max_f32_e32 v2, v7, v2
	v_xor_b32_e32 v7, 2, v0
	ds_bpermute_b32 v6, v6, v2
	v_cmp_lt_i32_e32 vcc_lo, v7, v1
	v_cndmask_b32_e32 v7, v0, v7, vcc_lo
	s_waitcnt lgkmcnt(0)
	s_delay_alu instid0(VALU_DEP_1) | instskip(NEXT) | instid1(VALU_DEP_1)
	v_dual_max_f32 v6, v6, v6 :: v_dual_lshlrev_b32 v7, 2, v7
	v_max_f32_e32 v2, v2, v6
	ds_bpermute_b32 v6, v7, v2
	v_xor_b32_e32 v7, 1, v0
	s_delay_alu instid0(VALU_DEP_1) | instskip(SKIP_2) | instid1(VALU_DEP_1)
	v_cmp_lt_i32_e32 vcc_lo, v7, v1
	s_waitcnt lgkmcnt(0)
	v_dual_cndmask_b32 v0, v0, v7 :: v_dual_max_f32 v1, v6, v6
	v_dual_max_f32 v1, v2, v1 :: v_dual_lshlrev_b32 v0, 2, v0
	ds_bpermute_b32 v0, v0, v1
	s_waitcnt lgkmcnt(0)
	v_max_f32_e32 v0, v0, v0
	s_delay_alu instid0(VALU_DEP_1) | instskip(NEXT) | instid1(VALU_DEP_1)
	v_max_f32_e32 v0, v1, v0
	v_div_scale_f32 v1, null, s7, s7, v0
	v_div_scale_f32 v7, vcc_lo, v0, s7, v0
	s_delay_alu instid0(VALU_DEP_2) | instskip(SKIP_2) | instid1(VALU_DEP_1)
	v_rcp_f32_e32 v2, v1
	s_waitcnt_depctr 0xfff
	v_fma_f32 v6, -v1, v2, 1.0
	v_fmac_f32_e32 v2, v6, v2
	s_delay_alu instid0(VALU_DEP_1) | instskip(NEXT) | instid1(VALU_DEP_1)
	v_mul_f32_e32 v6, v7, v2
	v_fma_f32 v8, -v1, v6, v7
	s_delay_alu instid0(VALU_DEP_1) | instskip(NEXT) | instid1(VALU_DEP_1)
	v_fmac_f32_e32 v6, v8, v2
	v_fma_f32 v1, -v1, v6, v7
	s_delay_alu instid0(VALU_DEP_1) | instskip(NEXT) | instid1(VALU_DEP_1)
	v_div_fmas_f32 v1, v1, v2, v6
	v_div_fixup_f32 v0, v1, s7, v0
	s_delay_alu instid0(VALU_DEP_1) | instskip(NEXT) | instid1(VALU_DEP_1)
	v_max_f32_e64 v0, 0x2edbe6ff, |v0|
	v_cmp_gt_f32_e32 vcc_lo, 0x800000, v0
	v_cndmask_b32_e64 v1, 1.0, 0x4f800000, vcc_lo
	s_delay_alu instid0(VALU_DEP_1) | instskip(SKIP_1) | instid1(VALU_DEP_2)
	v_mul_f32_e32 v0, v0, v1
	v_cndmask_b32_e64 v1, 0, 0x42000000, vcc_lo
	v_log_f32_e32 v0, v0
	s_waitcnt_depctr 0xfff
	v_sub_f32_e32 v0, v0, v1
	s_delay_alu instid0(VALU_DEP_1) | instskip(NEXT) | instid1(VALU_DEP_1)
	v_ceil_f32_e32 v0, v0
	v_cmp_gt_f32_e32 vcc_lo, 0xc2fc0000, v0
	v_cndmask_b32_e64 v1, 0, 0x42800000, vcc_lo
	s_delay_alu instid0(VALU_DEP_1) | instskip(SKIP_1) | instid1(VALU_DEP_2)
	v_add_f32_e32 v0, v0, v1
	v_cndmask_b32_e64 v1, 1.0, 0x1f800000, vcc_lo
	v_exp_f32_e32 v0, v0
	s_waitcnt_depctr 0xfff
	v_mul_f32_e32 v8, v0, v1
	v_cmpx_eq_u32_e32 0, v10
	s_cbranch_execz .LBB28_24
; %bb.19:
	s_load_b64 s[4:5], s[0:1], 0x10
	s_ashr_i32 s0, s8, 31
	v_mov_b32_e32 v0, 0
	v_or_b32_e32 v1, s0, v13
	s_mov_b32 s1, s8
	s_delay_alu instid0(VALU_DEP_1) | instskip(SKIP_1) | instid1(SALU_CYCLE_1)
	v_cmp_ne_u64_e32 vcc_lo, 0, v[0:1]
                                        ; implicit-def: $vgpr0_vgpr1
	s_and_saveexec_b32 s8, vcc_lo
	s_xor_b32 s8, exec_lo, s8
	s_cbranch_execz .LBB28_21
; %bb.20:
	s_add_u32 s12, s1, s0
	s_mov_b32 s10, s0
	s_mov_b32 s11, s0
	s_addc_u32 s13, s0, s0
	s_delay_alu instid0(SALU_CYCLE_1) | instskip(NEXT) | instid1(SALU_CYCLE_1)
	s_xor_b64 s[12:13], s[12:13], s[10:11]
	v_cvt_f32_u32_e32 v0, s12
	v_cvt_f32_u32_e32 v1, s13
	s_sub_u32 s0, 0, s12
	s_subb_u32 s11, 0, s13
	s_delay_alu instid0(VALU_DEP_1) | instskip(NEXT) | instid1(VALU_DEP_1)
	v_fmamk_f32 v0, v1, 0x4f800000, v0
	v_rcp_f32_e32 v0, v0
	s_waitcnt_depctr 0xfff
	v_mul_f32_e32 v0, 0x5f7ffffc, v0
	s_delay_alu instid0(VALU_DEP_1) | instskip(NEXT) | instid1(VALU_DEP_1)
	v_mul_f32_e32 v1, 0x2f800000, v0
	v_trunc_f32_e32 v1, v1
	s_delay_alu instid0(VALU_DEP_1) | instskip(SKIP_1) | instid1(VALU_DEP_2)
	v_fmamk_f32 v0, v1, 0xcf800000, v0
	v_cvt_u32_f32_e32 v1, v1
	v_cvt_u32_f32_e32 v0, v0
	s_delay_alu instid0(VALU_DEP_2) | instskip(NEXT) | instid1(VALU_DEP_2)
	v_mul_lo_u32 v2, s0, v1
	v_mul_hi_u32 v6, s0, v0
	v_mul_lo_u32 v7, s11, v0
	s_delay_alu instid0(VALU_DEP_2) | instskip(SKIP_1) | instid1(VALU_DEP_2)
	v_add_nc_u32_e32 v2, v6, v2
	v_mul_lo_u32 v6, s0, v0
	v_add_nc_u32_e32 v2, v2, v7
	s_delay_alu instid0(VALU_DEP_2) | instskip(NEXT) | instid1(VALU_DEP_2)
	v_mul_hi_u32 v7, v0, v6
	v_mul_lo_u32 v9, v0, v2
	v_mul_hi_u32 v14, v0, v2
	v_mul_hi_u32 v15, v1, v6
	v_mul_lo_u32 v6, v1, v6
	v_mul_hi_u32 v16, v1, v2
	v_mul_lo_u32 v2, v1, v2
	v_add_co_u32 v7, vcc_lo, v7, v9
	v_add_co_ci_u32_e32 v9, vcc_lo, 0, v14, vcc_lo
	s_delay_alu instid0(VALU_DEP_2) | instskip(NEXT) | instid1(VALU_DEP_2)
	v_add_co_u32 v6, vcc_lo, v7, v6
	v_add_co_ci_u32_e32 v6, vcc_lo, v9, v15, vcc_lo
	v_add_co_ci_u32_e32 v7, vcc_lo, 0, v16, vcc_lo
	s_delay_alu instid0(VALU_DEP_2) | instskip(NEXT) | instid1(VALU_DEP_2)
	v_add_co_u32 v2, vcc_lo, v6, v2
	v_add_co_ci_u32_e32 v6, vcc_lo, 0, v7, vcc_lo
	s_delay_alu instid0(VALU_DEP_2) | instskip(NEXT) | instid1(VALU_DEP_2)
	v_add_co_u32 v0, vcc_lo, v0, v2
	v_add_co_ci_u32_e32 v1, vcc_lo, v1, v6, vcc_lo
	s_delay_alu instid0(VALU_DEP_2) | instskip(SKIP_1) | instid1(VALU_DEP_3)
	v_mul_hi_u32 v2, s0, v0
	v_mul_lo_u32 v7, s11, v0
	v_mul_lo_u32 v6, s0, v1
	s_delay_alu instid0(VALU_DEP_1) | instskip(SKIP_1) | instid1(VALU_DEP_2)
	v_add_nc_u32_e32 v2, v2, v6
	v_mul_lo_u32 v6, s0, v0
	v_add_nc_u32_e32 v2, v2, v7
	s_delay_alu instid0(VALU_DEP_2) | instskip(NEXT) | instid1(VALU_DEP_2)
	v_mul_hi_u32 v7, v0, v6
	v_mul_lo_u32 v9, v0, v2
	v_mul_hi_u32 v14, v0, v2
	v_mul_hi_u32 v15, v1, v6
	v_mul_lo_u32 v6, v1, v6
	v_mul_hi_u32 v16, v1, v2
	v_mul_lo_u32 v2, v1, v2
	v_add_co_u32 v7, vcc_lo, v7, v9
	v_add_co_ci_u32_e32 v9, vcc_lo, 0, v14, vcc_lo
	s_delay_alu instid0(VALU_DEP_2) | instskip(NEXT) | instid1(VALU_DEP_2)
	v_add_co_u32 v6, vcc_lo, v7, v6
	v_add_co_ci_u32_e32 v6, vcc_lo, v9, v15, vcc_lo
	v_add_co_ci_u32_e32 v7, vcc_lo, 0, v16, vcc_lo
	s_delay_alu instid0(VALU_DEP_2) | instskip(NEXT) | instid1(VALU_DEP_2)
	v_add_co_u32 v2, vcc_lo, v6, v2
	v_add_co_ci_u32_e32 v6, vcc_lo, 0, v7, vcc_lo
	s_delay_alu instid0(VALU_DEP_2) | instskip(NEXT) | instid1(VALU_DEP_2)
	v_add_co_u32 v2, vcc_lo, v0, v2
	v_add_co_ci_u32_e32 v9, vcc_lo, v1, v6, vcc_lo
	s_delay_alu instid0(VALU_DEP_2) | instskip(SKIP_1) | instid1(VALU_DEP_3)
	v_mul_hi_u32 v16, v12, v2
	v_mad_u64_u32 v[6:7], null, v13, v2, 0
	v_mad_u64_u32 v[0:1], null, v12, v9, 0
	;; [unrolled: 1-line block ×3, first 2 shown]
	s_delay_alu instid0(VALU_DEP_2) | instskip(NEXT) | instid1(VALU_DEP_3)
	v_add_co_u32 v0, vcc_lo, v16, v0
	v_add_co_ci_u32_e32 v1, vcc_lo, 0, v1, vcc_lo
	s_delay_alu instid0(VALU_DEP_2) | instskip(NEXT) | instid1(VALU_DEP_2)
	v_add_co_u32 v0, vcc_lo, v0, v6
	v_add_co_ci_u32_e32 v0, vcc_lo, v1, v7, vcc_lo
	v_add_co_ci_u32_e32 v1, vcc_lo, 0, v15, vcc_lo
	s_delay_alu instid0(VALU_DEP_2) | instskip(NEXT) | instid1(VALU_DEP_2)
	v_add_co_u32 v2, vcc_lo, v0, v14
	v_add_co_ci_u32_e32 v6, vcc_lo, 0, v1, vcc_lo
	s_delay_alu instid0(VALU_DEP_2) | instskip(SKIP_1) | instid1(VALU_DEP_3)
	v_mul_lo_u32 v7, s13, v2
	v_mad_u64_u32 v[0:1], null, s12, v2, 0
	v_mul_lo_u32 v6, s12, v6
	s_delay_alu instid0(VALU_DEP_2) | instskip(NEXT) | instid1(VALU_DEP_2)
	v_sub_co_u32 v0, vcc_lo, v12, v0
	v_add3_u32 v1, v1, v6, v7
	v_add_co_u32 v7, s0, v2, 2
	s_delay_alu instid0(VALU_DEP_2) | instskip(NEXT) | instid1(VALU_DEP_1)
	v_sub_nc_u32_e32 v6, v13, v1
	v_subrev_co_ci_u32_e64 v6, s0, s13, v6, vcc_lo
	v_sub_co_u32 v9, s0, v0, s12
	v_sub_co_ci_u32_e32 v1, vcc_lo, v13, v1, vcc_lo
	s_delay_alu instid0(VALU_DEP_3) | instskip(NEXT) | instid1(VALU_DEP_3)
	v_subrev_co_ci_u32_e64 v6, s0, 0, v6, s0
	v_cmp_le_u32_e32 vcc_lo, s12, v9
	v_cndmask_b32_e64 v9, 0, -1, vcc_lo
	s_delay_alu instid0(VALU_DEP_3)
	v_cmp_le_u32_e32 vcc_lo, s13, v6
	v_cndmask_b32_e64 v13, 0, -1, vcc_lo
	v_cmp_le_u32_e32 vcc_lo, s12, v0
	v_cndmask_b32_e64 v0, 0, -1, vcc_lo
	;; [unrolled: 2-line block ×3, first 2 shown]
	v_cmp_eq_u32_e32 vcc_lo, s13, v6
	v_cndmask_b32_e32 v6, v13, v9, vcc_lo
	v_add_co_u32 v9, vcc_lo, v2, 1
	v_cmp_eq_u32_e32 vcc_lo, s13, v1
	v_cndmask_b32_e32 v0, v14, v0, vcc_lo
	s_delay_alu instid0(VALU_DEP_4) | instskip(NEXT) | instid1(VALU_DEP_4)
	v_cmp_ne_u32_e32 vcc_lo, 0, v6
	v_cndmask_b32_e32 v1, v9, v7, vcc_lo
	s_delay_alu instid0(VALU_DEP_3) | instskip(NEXT) | instid1(VALU_DEP_2)
	v_cmp_ne_u32_e32 vcc_lo, 0, v0
	v_cndmask_b32_e32 v0, v2, v1, vcc_lo
	s_delay_alu instid0(VALU_DEP_1) | instskip(NEXT) | instid1(VALU_DEP_1)
	v_xor_b32_e32 v0, s10, v0
	v_sub_co_u32 v0, vcc_lo, v0, s10
.LBB28_21:
	s_and_not1_saveexec_b32 s0, s8
	s_cbranch_execz .LBB28_23
; %bb.22:
	v_cvt_f32_u32_e32 v0, s1
	s_sub_i32 s8, 0, s1
	s_delay_alu instid0(VALU_DEP_1) | instskip(SKIP_2) | instid1(VALU_DEP_1)
	v_rcp_iflag_f32_e32 v0, v0
	s_waitcnt_depctr 0xfff
	v_mul_f32_e32 v0, 0x4f7ffffe, v0
	v_cvt_u32_f32_e32 v0, v0
	s_delay_alu instid0(VALU_DEP_1) | instskip(NEXT) | instid1(VALU_DEP_1)
	v_mul_lo_u32 v1, s8, v0
	v_mul_hi_u32 v1, v0, v1
	s_delay_alu instid0(VALU_DEP_1) | instskip(NEXT) | instid1(VALU_DEP_1)
	v_add_nc_u32_e32 v0, v0, v1
	v_mul_hi_u32 v0, v12, v0
	s_delay_alu instid0(VALU_DEP_1) | instskip(SKIP_1) | instid1(VALU_DEP_2)
	v_mul_lo_u32 v1, v0, s1
	v_add_nc_u32_e32 v2, 1, v0
	v_sub_nc_u32_e32 v1, v12, v1
	s_delay_alu instid0(VALU_DEP_1) | instskip(SKIP_1) | instid1(VALU_DEP_2)
	v_subrev_nc_u32_e32 v6, s1, v1
	v_cmp_le_u32_e32 vcc_lo, s1, v1
	v_cndmask_b32_e32 v1, v1, v6, vcc_lo
	v_cndmask_b32_e32 v0, v0, v2, vcc_lo
	s_delay_alu instid0(VALU_DEP_2) | instskip(NEXT) | instid1(VALU_DEP_2)
	v_cmp_le_u32_e32 vcc_lo, s1, v1
	v_add_nc_u32_e32 v2, 1, v0
	s_delay_alu instid0(VALU_DEP_1)
	v_cndmask_b32_e32 v0, v0, v2, vcc_lo
.LBB28_23:
	s_or_b32 exec_lo, exec_lo, s0
	s_delay_alu instid0(VALU_DEP_1) | instskip(NEXT) | instid1(VALU_DEP_1)
	v_mul_lo_u32 v1, v0, s1
	v_sub_nc_u32_e32 v6, v12, v1
	s_delay_alu instid0(VALU_DEP_1) | instskip(NEXT) | instid1(VALU_DEP_1)
	v_mad_u64_u32 v[1:2], null, v6, s9, v[0:1]
	v_ashrrev_i32_e32 v2, 31, v1
	s_delay_alu instid0(VALU_DEP_1) | instskip(SKIP_1) | instid1(VALU_DEP_1)
	v_lshlrev_b64 v[0:1], 2, v[1:2]
	s_waitcnt lgkmcnt(0)
	v_add_co_u32 v0, vcc_lo, s4, v0
	s_delay_alu instid0(VALU_DEP_2)
	v_add_co_ci_u32_e32 v1, vcc_lo, s5, v1, vcc_lo
	global_store_b32 v[0:1], v8, off
.LBB28_24:
	s_or_b32 exec_lo, exec_lo, s16
	v_dual_mov_b32 v1, 0 :: v_dual_and_b32 v0, 15, v3
	s_xor_b32 s0, s15, -1
	s_waitcnt_vscnt null, 0x0
	s_barrier
	buffer_gl0_inv
	v_cmp_ne_u64_e32 vcc_lo, 0, v[0:1]
	s_or_b32 s0, s0, vcc_lo
	s_delay_alu instid0(SALU_CYCLE_1) | instskip(NEXT) | instid1(SALU_CYCLE_1)
	s_and_saveexec_b32 s1, s0
	s_xor_b32 s4, exec_lo, s1
	s_cbranch_execz .LBB28_101
; %bb.25:
	v_sub_nc_u32_e32 v0, 0, v3
	v_add_co_u32 v15, vcc_lo, s2, v4
	v_add_co_ci_u32_e32 v16, vcc_lo, s3, v5, vcc_lo
	s_delay_alu instid0(VALU_DEP_3) | instskip(SKIP_1) | instid1(VALU_DEP_1)
	v_bfe_u32 v0, v0, 1, 3
	s_mov_b32 s0, exec_lo
	v_min_i32_e32 v12, s14, v0
	s_delay_alu instid0(VALU_DEP_1)
	v_cmpx_gt_i32_e64 v12, v10
	s_cbranch_execz .LBB28_33
; %bb.26:
	v_lshl_add_u32 v0, v10, 1, v3
	s_mov_b32 s1, exec_lo
	ds_load_u16 v0, v0
	s_waitcnt lgkmcnt(0)
	v_lshlrev_b32_e32 v0, 16, v0
	s_delay_alu instid0(VALU_DEP_1) | instskip(SKIP_1) | instid1(VALU_DEP_2)
	v_div_scale_f32 v1, null, v8, v8, v0
	v_div_scale_f32 v6, vcc_lo, v0, v8, v0
	v_rcp_f32_e32 v2, v1
	s_waitcnt_depctr 0xfff
	v_fma_f32 v3, -v1, v2, 1.0
	s_delay_alu instid0(VALU_DEP_1) | instskip(NEXT) | instid1(VALU_DEP_1)
	v_fmac_f32_e32 v2, v3, v2
	v_mul_f32_e32 v3, v6, v2
	s_delay_alu instid0(VALU_DEP_1) | instskip(NEXT) | instid1(VALU_DEP_1)
	v_fma_f32 v7, -v1, v3, v6
	v_fmac_f32_e32 v3, v7, v2
	s_delay_alu instid0(VALU_DEP_1) | instskip(NEXT) | instid1(VALU_DEP_1)
	v_fma_f32 v1, -v1, v3, v6
	v_div_fmas_f32 v1, v1, v2, v3
	v_max_f32_e64 v2, s6, s6
	v_max_f32_e64 v3, s7, s7
	s_delay_alu instid0(VALU_DEP_3) | instskip(SKIP_1) | instid1(VALU_DEP_2)
	v_div_fixup_f32 v0, v1, v8, v0
	v_mov_b32_e32 v1, 0x7f
	v_maxmin_f32 v0, v0, v2, v3
	s_delay_alu instid0(VALU_DEP_1) | instskip(NEXT) | instid1(VALU_DEP_1)
	v_and_b32_e32 v2, 0x7fffffff, v0
	v_cmpx_gt_u32_e32 0x43f00000, v2
	s_cbranch_execz .LBB28_32
; %bb.27:
	s_mov_b32 s5, exec_lo
                                        ; implicit-def: $vgpr1
	v_cmpx_lt_u32_e32 0x3c7fffff, v2
	s_xor_b32 s5, exec_lo, s5
; %bb.28:
	v_bfe_u32 v1, v0, 20, 1
	s_delay_alu instid0(VALU_DEP_1) | instskip(NEXT) | instid1(VALU_DEP_1)
	v_add3_u32 v1, v0, v1, 0x407ffff
	v_lshrrev_b32_e32 v1, 20, v1
; %bb.29:
	s_and_not1_saveexec_b32 s5, s5
; %bb.30:
	v_add_f32_e64 v1, 0x46800000, |v0|
; %bb.31:
	s_or_b32 exec_lo, exec_lo, s5
.LBB28_32:
	s_delay_alu instid0(SALU_CYCLE_1) | instskip(SKIP_3) | instid1(VALU_DEP_3)
	s_or_b32 exec_lo, exec_lo, s1
	v_lshrrev_b32_e32 v0, 24, v0
	v_add_co_u32 v2, vcc_lo, v15, v10
	v_add_co_ci_u32_e32 v3, vcc_lo, 0, v16, vcc_lo
	v_and_or_b32 v0, 0x80, v0, v1
	global_store_b8 v[2:3], v0, off
.LBB28_33:
	s_or_b32 exec_lo, exec_lo, s0
	v_sub_nc_u32_e32 v9, s14, v12
	v_ashrrev_i32_e32 v13, 31, v12
	v_lshlrev_b32_e32 v14, 1, v12
	s_mov_b32 s1, exec_lo
	s_delay_alu instid0(VALU_DEP_3) | instskip(NEXT) | instid1(VALU_DEP_1)
	v_ashrrev_i32_e32 v0, 31, v9
	v_lshrrev_b32_e32 v0, 29, v0
	s_delay_alu instid0(VALU_DEP_1) | instskip(NEXT) | instid1(VALU_DEP_1)
	v_add_nc_u32_e32 v0, v9, v0
	v_ashrrev_i32_e32 v17, 3, v0
	s_delay_alu instid0(VALU_DEP_1)
	v_cmpx_gt_i32_e64 v17, v10
	s_cbranch_execz .LBB28_84
; %bb.34:
	v_dual_mov_b32 v21, v10 :: v_dual_lshlrev_b32 v0, 4, v10
	v_lshlrev_b32_e32 v1, 3, v10
	v_add_co_u32 v2, vcc_lo, v12, v4
	v_add_co_ci_u32_e32 v3, vcc_lo, v13, v5, vcc_lo
	s_delay_alu instid0(VALU_DEP_4) | instskip(SKIP_1) | instid1(VALU_DEP_4)
	v_lshl_add_u32 v0, v11, 1, v0
	v_lshlrev_b32_e32 v6, 1, v12
	v_add_co_u32 v1, vcc_lo, v2, v1
	s_delay_alu instid0(VALU_DEP_4) | instskip(NEXT) | instid1(VALU_DEP_3)
	v_add_co_ci_u32_e32 v2, vcc_lo, 0, v3, vcc_lo
	v_add3_u32 v18, v0, v6, 0
	s_delay_alu instid0(VALU_DEP_3) | instskip(NEXT) | instid1(VALU_DEP_3)
	v_add_co_u32 v6, vcc_lo, s2, v1
	v_add_co_ci_u32_e32 v7, vcc_lo, s3, v2, vcc_lo
	v_max_f32_e64 v19, s6, s6
	v_max_f32_e64 v20, s7, s7
	s_mov_b32 s5, 0
	s_branch .LBB28_37
.LBB28_35:                              ;   in Loop: Header=BB28_37 Depth=1
	s_or_b32 exec_lo, exec_lo, s8
.LBB28_36:                              ;   in Loop: Header=BB28_37 Depth=1
	s_delay_alu instid0(SALU_CYCLE_1)
	s_or_b32 exec_lo, exec_lo, s0
	v_lshrrev_b32_e32 v33, 24, v33
	v_lshrrev_b32_e32 v27, 24, v27
	;; [unrolled: 1-line block ×5, first 2 shown]
	v_and_b32_e32 v33, 0x80, v33
	v_and_b32_e32 v27, 0x80, v27
	v_lshrrev_b32_e32 v30, 24, v30
	v_and_b32_e32 v2, 0x80, v2
	v_lshrrev_b32_e32 v24, 24, v24
	v_and_or_b32 v3, 0x80, v3, v32
	v_and_or_b32 v31, 0xff, v31, v33
	v_and_b32_e32 v0, 0x80, v0
	v_and_or_b32 v26, 0xff, v26, v27
	v_and_b32_e32 v30, 0x80, v30
	v_and_b32_e32 v24, 0x80, v24
	v_lshlrev_b32_e32 v3, 24, v3
	v_lshlrev_b32_e32 v31, 16, v31
	v_and_or_b32 v2, 0xff, v29, v2
	v_lshlrev_b32_e32 v25, 24, v25
	v_and_b32_e32 v1, 0x80000000, v1
	v_and_or_b32 v0, 0xff, v23, v0
	v_lshlrev_b32_e32 v23, 16, v26
	v_or_b32_e32 v3, v3, v31
	v_lshlrev_b32_e32 v2, 8, v2
	v_and_or_b32 v26, 0xff, v28, v30
	v_lshlrev_b32_e32 v0, 8, v0
	v_or3_b32 v23, v25, v1, v23
	v_and_or_b32 v22, 0xff, v22, v24
	v_add_nc_u32_e32 v21, 16, v21
	v_or3_b32 v1, v3, v2, v26
	v_add_nc_u32_e32 v18, 0x100, v18
	s_delay_alu instid0(VALU_DEP_4) | instskip(NEXT) | instid1(VALU_DEP_4)
	v_or3_b32 v0, v23, v0, v22
	v_cmp_ge_i32_e32 vcc_lo, v21, v17
	global_store_b64 v[6:7], v[0:1], off
	v_add_co_u32 v6, s0, 0x80, v6
	s_delay_alu instid0(VALU_DEP_1) | instskip(SKIP_1) | instid1(SALU_CYCLE_1)
	v_add_co_ci_u32_e64 v7, s0, 0, v7, s0
	s_or_b32 s5, vcc_lo, s5
	s_and_not1_b32 exec_lo, exec_lo, s5
	s_cbranch_execz .LBB28_84
.LBB28_37:                              ; =>This Inner Loop Header: Depth=1
	ds_load_b128 v[0:3], v18
	s_mov_b32 s0, exec_lo
	s_waitcnt lgkmcnt(0)
	v_lshlrev_b32_e32 v22, 16, v0
	s_delay_alu instid0(VALU_DEP_1) | instskip(SKIP_1) | instid1(VALU_DEP_2)
	v_div_scale_f32 v23, null, v8, v8, v22
	v_div_scale_f32 v26, vcc_lo, v22, v8, v22
	v_rcp_f32_e32 v24, v23
	s_waitcnt_depctr 0xfff
	v_fma_f32 v25, -v23, v24, 1.0
	s_delay_alu instid0(VALU_DEP_1) | instskip(NEXT) | instid1(VALU_DEP_1)
	v_fmac_f32_e32 v24, v25, v24
	v_mul_f32_e32 v25, v26, v24
	s_delay_alu instid0(VALU_DEP_1) | instskip(NEXT) | instid1(VALU_DEP_1)
	v_fma_f32 v27, -v23, v25, v26
	v_fmac_f32_e32 v25, v27, v24
	s_delay_alu instid0(VALU_DEP_1) | instskip(NEXT) | instid1(VALU_DEP_1)
	v_fma_f32 v23, -v23, v25, v26
	v_div_fmas_f32 v23, v23, v24, v25
	s_delay_alu instid0(VALU_DEP_1) | instskip(SKIP_1) | instid1(VALU_DEP_2)
	v_div_fixup_f32 v22, v23, v8, v22
	v_mov_b32_e32 v23, 0x7f
	v_maxmin_f32 v24, v22, v19, v20
	v_mov_b32_e32 v22, 0x7f
	s_delay_alu instid0(VALU_DEP_2) | instskip(NEXT) | instid1(VALU_DEP_1)
	v_and_b32_e32 v25, 0x7fffffff, v24
	v_cmpx_gt_u32_e32 0x43f00000, v25
	s_cbranch_execz .LBB28_43
; %bb.38:                               ;   in Loop: Header=BB28_37 Depth=1
	s_mov_b32 s8, exec_lo
                                        ; implicit-def: $vgpr22
	v_cmpx_lt_u32_e32 0x3c7fffff, v25
	s_xor_b32 s8, exec_lo, s8
; %bb.39:                               ;   in Loop: Header=BB28_37 Depth=1
	v_bfe_u32 v22, v24, 20, 1
	s_delay_alu instid0(VALU_DEP_1) | instskip(NEXT) | instid1(VALU_DEP_1)
	v_add3_u32 v22, v24, v22, 0x407ffff
	v_lshrrev_b32_e32 v22, 20, v22
; %bb.40:                               ;   in Loop: Header=BB28_37 Depth=1
	s_and_not1_saveexec_b32 s8, s8
; %bb.41:                               ;   in Loop: Header=BB28_37 Depth=1
	v_add_f32_e64 v22, 0x46800000, |v24|
; %bb.42:                               ;   in Loop: Header=BB28_37 Depth=1
	s_or_b32 exec_lo, exec_lo, s8
.LBB28_43:                              ;   in Loop: Header=BB28_37 Depth=1
	s_delay_alu instid0(SALU_CYCLE_1) | instskip(SKIP_2) | instid1(VALU_DEP_1)
	s_or_b32 exec_lo, exec_lo, s0
	v_and_b32_e32 v0, 0xffff0000, v0
	s_mov_b32 s0, exec_lo
	v_div_scale_f32 v25, null, v8, v8, v0
	s_delay_alu instid0(VALU_DEP_1) | instskip(SKIP_2) | instid1(VALU_DEP_1)
	v_rcp_f32_e32 v26, v25
	s_waitcnt_depctr 0xfff
	v_fma_f32 v27, -v25, v26, 1.0
	v_fmac_f32_e32 v26, v27, v26
	v_div_scale_f32 v27, vcc_lo, v0, v8, v0
	s_delay_alu instid0(VALU_DEP_1) | instskip(NEXT) | instid1(VALU_DEP_1)
	v_mul_f32_e32 v28, v27, v26
	v_fma_f32 v29, -v25, v28, v27
	s_delay_alu instid0(VALU_DEP_1) | instskip(NEXT) | instid1(VALU_DEP_1)
	v_fmac_f32_e32 v28, v29, v26
	v_fma_f32 v25, -v25, v28, v27
	s_delay_alu instid0(VALU_DEP_1) | instskip(NEXT) | instid1(VALU_DEP_1)
	v_div_fmas_f32 v25, v25, v26, v28
	v_div_fixup_f32 v0, v25, v8, v0
	s_delay_alu instid0(VALU_DEP_1) | instskip(NEXT) | instid1(VALU_DEP_1)
	v_maxmin_f32 v0, v0, v19, v20
	v_and_b32_e32 v25, 0x7fffffff, v0
	s_delay_alu instid0(VALU_DEP_1)
	v_cmpx_gt_u32_e32 0x43f00000, v25
	s_cbranch_execz .LBB28_49
; %bb.44:                               ;   in Loop: Header=BB28_37 Depth=1
	s_mov_b32 s8, exec_lo
                                        ; implicit-def: $vgpr23
	v_cmpx_lt_u32_e32 0x3c7fffff, v25
	s_xor_b32 s8, exec_lo, s8
; %bb.45:                               ;   in Loop: Header=BB28_37 Depth=1
	v_bfe_u32 v23, v0, 20, 1
	s_delay_alu instid0(VALU_DEP_1) | instskip(NEXT) | instid1(VALU_DEP_1)
	v_add3_u32 v23, v0, v23, 0x407ffff
	v_lshrrev_b32_e32 v23, 20, v23
; %bb.46:                               ;   in Loop: Header=BB28_37 Depth=1
	s_and_not1_saveexec_b32 s8, s8
; %bb.47:                               ;   in Loop: Header=BB28_37 Depth=1
	v_add_f32_e64 v23, 0x46800000, |v0|
; %bb.48:                               ;   in Loop: Header=BB28_37 Depth=1
	s_or_b32 exec_lo, exec_lo, s8
.LBB28_49:                              ;   in Loop: Header=BB28_37 Depth=1
	s_delay_alu instid0(SALU_CYCLE_1) | instskip(SKIP_2) | instid1(VALU_DEP_1)
	s_or_b32 exec_lo, exec_lo, s0
	v_lshlrev_b32_e32 v25, 16, v1
	s_mov_b32 s0, exec_lo
	v_div_scale_f32 v26, null, v8, v8, v25
	v_div_scale_f32 v29, vcc_lo, v25, v8, v25
	s_delay_alu instid0(VALU_DEP_2) | instskip(SKIP_2) | instid1(VALU_DEP_1)
	v_rcp_f32_e32 v27, v26
	s_waitcnt_depctr 0xfff
	v_fma_f32 v28, -v26, v27, 1.0
	v_fmac_f32_e32 v27, v28, v27
	s_delay_alu instid0(VALU_DEP_1) | instskip(NEXT) | instid1(VALU_DEP_1)
	v_mul_f32_e32 v28, v29, v27
	v_fma_f32 v30, -v26, v28, v29
	s_delay_alu instid0(VALU_DEP_1) | instskip(NEXT) | instid1(VALU_DEP_1)
	v_fmac_f32_e32 v28, v30, v27
	v_fma_f32 v26, -v26, v28, v29
	s_delay_alu instid0(VALU_DEP_1) | instskip(NEXT) | instid1(VALU_DEP_1)
	v_div_fmas_f32 v26, v26, v27, v28
	v_div_fixup_f32 v25, v26, v8, v25
	v_mov_b32_e32 v26, 0x7f
	s_delay_alu instid0(VALU_DEP_2) | instskip(SKIP_1) | instid1(VALU_DEP_2)
	v_maxmin_f32 v27, v25, v19, v20
	v_mov_b32_e32 v25, 0x7f
	v_and_b32_e32 v28, 0x7fffffff, v27
	s_delay_alu instid0(VALU_DEP_1)
	v_cmpx_gt_u32_e32 0x43f00000, v28
	s_cbranch_execz .LBB28_55
; %bb.50:                               ;   in Loop: Header=BB28_37 Depth=1
	s_mov_b32 s8, exec_lo
                                        ; implicit-def: $vgpr26
	v_cmpx_lt_u32_e32 0x3c7fffff, v28
	s_xor_b32 s8, exec_lo, s8
; %bb.51:                               ;   in Loop: Header=BB28_37 Depth=1
	v_bfe_u32 v26, v27, 20, 1
	s_delay_alu instid0(VALU_DEP_1) | instskip(NEXT) | instid1(VALU_DEP_1)
	v_add3_u32 v26, v27, v26, 0x407ffff
	v_lshrrev_b32_e32 v26, 20, v26
; %bb.52:                               ;   in Loop: Header=BB28_37 Depth=1
	s_and_not1_saveexec_b32 s8, s8
; %bb.53:                               ;   in Loop: Header=BB28_37 Depth=1
	v_add_f32_e64 v26, 0x46800000, |v27|
; %bb.54:                               ;   in Loop: Header=BB28_37 Depth=1
	s_or_b32 exec_lo, exec_lo, s8
.LBB28_55:                              ;   in Loop: Header=BB28_37 Depth=1
	s_delay_alu instid0(SALU_CYCLE_1) | instskip(SKIP_2) | instid1(VALU_DEP_1)
	s_or_b32 exec_lo, exec_lo, s0
	v_and_b32_e32 v1, 0xffff0000, v1
	s_mov_b32 s0, exec_lo
	v_div_scale_f32 v28, null, v8, v8, v1
	s_delay_alu instid0(VALU_DEP_1) | instskip(SKIP_2) | instid1(VALU_DEP_1)
	v_rcp_f32_e32 v29, v28
	s_waitcnt_depctr 0xfff
	v_fma_f32 v30, -v28, v29, 1.0
	v_fmac_f32_e32 v29, v30, v29
	v_div_scale_f32 v30, vcc_lo, v1, v8, v1
	s_delay_alu instid0(VALU_DEP_1) | instskip(NEXT) | instid1(VALU_DEP_1)
	v_mul_f32_e32 v31, v30, v29
	v_fma_f32 v32, -v28, v31, v30
	s_delay_alu instid0(VALU_DEP_1) | instskip(NEXT) | instid1(VALU_DEP_1)
	v_fmac_f32_e32 v31, v32, v29
	v_fma_f32 v28, -v28, v31, v30
	s_delay_alu instid0(VALU_DEP_1) | instskip(NEXT) | instid1(VALU_DEP_1)
	v_div_fmas_f32 v28, v28, v29, v31
	v_div_fixup_f32 v1, v28, v8, v1
	s_delay_alu instid0(VALU_DEP_1) | instskip(NEXT) | instid1(VALU_DEP_1)
	v_maxmin_f32 v1, v1, v19, v20
	v_and_b32_e32 v28, 0x7fffffff, v1
	s_delay_alu instid0(VALU_DEP_1)
	v_cmpx_gt_u32_e32 0x43f00000, v28
	s_cbranch_execz .LBB28_61
; %bb.56:                               ;   in Loop: Header=BB28_37 Depth=1
	s_mov_b32 s8, exec_lo
                                        ; implicit-def: $vgpr25
	v_cmpx_lt_u32_e32 0x3c7fffff, v28
	s_xor_b32 s8, exec_lo, s8
; %bb.57:                               ;   in Loop: Header=BB28_37 Depth=1
	v_bfe_u32 v25, v1, 20, 1
	s_delay_alu instid0(VALU_DEP_1) | instskip(NEXT) | instid1(VALU_DEP_1)
	v_add3_u32 v25, v1, v25, 0x407ffff
	v_lshrrev_b32_e32 v25, 20, v25
; %bb.58:                               ;   in Loop: Header=BB28_37 Depth=1
	s_and_not1_saveexec_b32 s8, s8
; %bb.59:                               ;   in Loop: Header=BB28_37 Depth=1
	v_add_f32_e64 v25, 0x46800000, |v1|
; %bb.60:                               ;   in Loop: Header=BB28_37 Depth=1
	s_or_b32 exec_lo, exec_lo, s8
.LBB28_61:                              ;   in Loop: Header=BB28_37 Depth=1
	s_delay_alu instid0(SALU_CYCLE_1) | instskip(SKIP_2) | instid1(VALU_DEP_1)
	s_or_b32 exec_lo, exec_lo, s0
	v_lshlrev_b32_e32 v28, 16, v2
	s_mov_b32 s0, exec_lo
	v_div_scale_f32 v29, null, v8, v8, v28
	v_div_scale_f32 v32, vcc_lo, v28, v8, v28
	s_delay_alu instid0(VALU_DEP_2) | instskip(SKIP_2) | instid1(VALU_DEP_1)
	v_rcp_f32_e32 v30, v29
	s_waitcnt_depctr 0xfff
	v_fma_f32 v31, -v29, v30, 1.0
	v_fmac_f32_e32 v30, v31, v30
	s_delay_alu instid0(VALU_DEP_1) | instskip(NEXT) | instid1(VALU_DEP_1)
	v_mul_f32_e32 v31, v32, v30
	v_fma_f32 v33, -v29, v31, v32
	s_delay_alu instid0(VALU_DEP_1) | instskip(NEXT) | instid1(VALU_DEP_1)
	v_fmac_f32_e32 v31, v33, v30
	v_fma_f32 v29, -v29, v31, v32
	s_delay_alu instid0(VALU_DEP_1) | instskip(NEXT) | instid1(VALU_DEP_1)
	v_div_fmas_f32 v29, v29, v30, v31
	v_div_fixup_f32 v28, v29, v8, v28
	v_mov_b32_e32 v29, 0x7f
	s_delay_alu instid0(VALU_DEP_2) | instskip(SKIP_1) | instid1(VALU_DEP_2)
	v_maxmin_f32 v30, v28, v19, v20
	v_mov_b32_e32 v28, 0x7f
	v_and_b32_e32 v31, 0x7fffffff, v30
	s_delay_alu instid0(VALU_DEP_1)
	v_cmpx_gt_u32_e32 0x43f00000, v31
	s_cbranch_execz .LBB28_67
; %bb.62:                               ;   in Loop: Header=BB28_37 Depth=1
	s_mov_b32 s8, exec_lo
                                        ; implicit-def: $vgpr28
	v_cmpx_lt_u32_e32 0x3c7fffff, v31
	s_xor_b32 s8, exec_lo, s8
; %bb.63:                               ;   in Loop: Header=BB28_37 Depth=1
	v_bfe_u32 v28, v30, 20, 1
	s_delay_alu instid0(VALU_DEP_1) | instskip(NEXT) | instid1(VALU_DEP_1)
	v_add3_u32 v28, v30, v28, 0x407ffff
	v_lshrrev_b32_e32 v28, 20, v28
; %bb.64:                               ;   in Loop: Header=BB28_37 Depth=1
	s_and_not1_saveexec_b32 s8, s8
; %bb.65:                               ;   in Loop: Header=BB28_37 Depth=1
	v_add_f32_e64 v28, 0x46800000, |v30|
; %bb.66:                               ;   in Loop: Header=BB28_37 Depth=1
	s_or_b32 exec_lo, exec_lo, s8
.LBB28_67:                              ;   in Loop: Header=BB28_37 Depth=1
	s_delay_alu instid0(SALU_CYCLE_1) | instskip(SKIP_2) | instid1(VALU_DEP_1)
	s_or_b32 exec_lo, exec_lo, s0
	v_and_b32_e32 v2, 0xffff0000, v2
	s_mov_b32 s0, exec_lo
	v_div_scale_f32 v31, null, v8, v8, v2
	s_delay_alu instid0(VALU_DEP_1) | instskip(SKIP_2) | instid1(VALU_DEP_1)
	v_rcp_f32_e32 v32, v31
	s_waitcnt_depctr 0xfff
	v_fma_f32 v33, -v31, v32, 1.0
	v_fmac_f32_e32 v32, v33, v32
	v_div_scale_f32 v33, vcc_lo, v2, v8, v2
	s_delay_alu instid0(VALU_DEP_1) | instskip(NEXT) | instid1(VALU_DEP_1)
	v_mul_f32_e32 v34, v33, v32
	v_fma_f32 v35, -v31, v34, v33
	s_delay_alu instid0(VALU_DEP_1) | instskip(NEXT) | instid1(VALU_DEP_1)
	v_fmac_f32_e32 v34, v35, v32
	v_fma_f32 v31, -v31, v34, v33
	s_delay_alu instid0(VALU_DEP_1) | instskip(NEXT) | instid1(VALU_DEP_1)
	v_div_fmas_f32 v31, v31, v32, v34
	v_div_fixup_f32 v2, v31, v8, v2
	s_delay_alu instid0(VALU_DEP_1) | instskip(NEXT) | instid1(VALU_DEP_1)
	v_maxmin_f32 v2, v2, v19, v20
	v_and_b32_e32 v31, 0x7fffffff, v2
	s_delay_alu instid0(VALU_DEP_1)
	v_cmpx_gt_u32_e32 0x43f00000, v31
	s_cbranch_execz .LBB28_73
; %bb.68:                               ;   in Loop: Header=BB28_37 Depth=1
	s_mov_b32 s8, exec_lo
                                        ; implicit-def: $vgpr29
	v_cmpx_lt_u32_e32 0x3c7fffff, v31
	s_xor_b32 s8, exec_lo, s8
; %bb.69:                               ;   in Loop: Header=BB28_37 Depth=1
	v_bfe_u32 v29, v2, 20, 1
	s_delay_alu instid0(VALU_DEP_1) | instskip(NEXT) | instid1(VALU_DEP_1)
	v_add3_u32 v29, v2, v29, 0x407ffff
	v_lshrrev_b32_e32 v29, 20, v29
; %bb.70:                               ;   in Loop: Header=BB28_37 Depth=1
	s_and_not1_saveexec_b32 s8, s8
; %bb.71:                               ;   in Loop: Header=BB28_37 Depth=1
	v_add_f32_e64 v29, 0x46800000, |v2|
; %bb.72:                               ;   in Loop: Header=BB28_37 Depth=1
	s_or_b32 exec_lo, exec_lo, s8
.LBB28_73:                              ;   in Loop: Header=BB28_37 Depth=1
	s_delay_alu instid0(SALU_CYCLE_1) | instskip(SKIP_2) | instid1(VALU_DEP_1)
	s_or_b32 exec_lo, exec_lo, s0
	v_lshlrev_b32_e32 v31, 16, v3
	s_mov_b32 s0, exec_lo
	v_div_scale_f32 v32, null, v8, v8, v31
	v_div_scale_f32 v35, vcc_lo, v31, v8, v31
	s_delay_alu instid0(VALU_DEP_2) | instskip(SKIP_2) | instid1(VALU_DEP_1)
	v_rcp_f32_e32 v33, v32
	s_waitcnt_depctr 0xfff
	v_fma_f32 v34, -v32, v33, 1.0
	v_fmac_f32_e32 v33, v34, v33
	s_delay_alu instid0(VALU_DEP_1) | instskip(NEXT) | instid1(VALU_DEP_1)
	v_mul_f32_e32 v34, v35, v33
	v_fma_f32 v36, -v32, v34, v35
	s_delay_alu instid0(VALU_DEP_1) | instskip(NEXT) | instid1(VALU_DEP_1)
	v_fmac_f32_e32 v34, v36, v33
	v_fma_f32 v32, -v32, v34, v35
	s_delay_alu instid0(VALU_DEP_1) | instskip(NEXT) | instid1(VALU_DEP_1)
	v_div_fmas_f32 v32, v32, v33, v34
	v_div_fixup_f32 v31, v32, v8, v31
	v_mov_b32_e32 v32, 0x7f
	s_delay_alu instid0(VALU_DEP_2) | instskip(SKIP_1) | instid1(VALU_DEP_2)
	v_maxmin_f32 v33, v31, v19, v20
	v_mov_b32_e32 v31, 0x7f
	v_and_b32_e32 v34, 0x7fffffff, v33
	s_delay_alu instid0(VALU_DEP_1)
	v_cmpx_gt_u32_e32 0x43f00000, v34
	s_cbranch_execz .LBB28_79
; %bb.74:                               ;   in Loop: Header=BB28_37 Depth=1
	s_mov_b32 s8, exec_lo
                                        ; implicit-def: $vgpr31
	v_cmpx_lt_u32_e32 0x3c7fffff, v34
	s_xor_b32 s8, exec_lo, s8
; %bb.75:                               ;   in Loop: Header=BB28_37 Depth=1
	v_bfe_u32 v31, v33, 20, 1
	s_delay_alu instid0(VALU_DEP_1) | instskip(NEXT) | instid1(VALU_DEP_1)
	v_add3_u32 v31, v33, v31, 0x407ffff
	v_lshrrev_b32_e32 v31, 20, v31
; %bb.76:                               ;   in Loop: Header=BB28_37 Depth=1
	s_and_not1_saveexec_b32 s8, s8
; %bb.77:                               ;   in Loop: Header=BB28_37 Depth=1
	v_add_f32_e64 v31, 0x46800000, |v33|
; %bb.78:                               ;   in Loop: Header=BB28_37 Depth=1
	s_or_b32 exec_lo, exec_lo, s8
.LBB28_79:                              ;   in Loop: Header=BB28_37 Depth=1
	s_delay_alu instid0(SALU_CYCLE_1) | instskip(SKIP_2) | instid1(VALU_DEP_1)
	s_or_b32 exec_lo, exec_lo, s0
	v_and_b32_e32 v3, 0xffff0000, v3
	s_mov_b32 s0, exec_lo
	v_div_scale_f32 v34, null, v8, v8, v3
	s_delay_alu instid0(VALU_DEP_1) | instskip(SKIP_2) | instid1(VALU_DEP_1)
	v_rcp_f32_e32 v35, v34
	s_waitcnt_depctr 0xfff
	v_fma_f32 v36, -v34, v35, 1.0
	v_fmac_f32_e32 v35, v36, v35
	v_div_scale_f32 v36, vcc_lo, v3, v8, v3
	s_delay_alu instid0(VALU_DEP_1) | instskip(NEXT) | instid1(VALU_DEP_1)
	v_mul_f32_e32 v37, v36, v35
	v_fma_f32 v38, -v34, v37, v36
	s_delay_alu instid0(VALU_DEP_1) | instskip(NEXT) | instid1(VALU_DEP_1)
	v_fmac_f32_e32 v37, v38, v35
	v_fma_f32 v34, -v34, v37, v36
	s_delay_alu instid0(VALU_DEP_1) | instskip(NEXT) | instid1(VALU_DEP_1)
	v_div_fmas_f32 v34, v34, v35, v37
	v_div_fixup_f32 v3, v34, v8, v3
	s_delay_alu instid0(VALU_DEP_1) | instskip(NEXT) | instid1(VALU_DEP_1)
	v_maxmin_f32 v3, v3, v19, v20
	v_and_b32_e32 v34, 0x7fffffff, v3
	s_delay_alu instid0(VALU_DEP_1)
	v_cmpx_gt_u32_e32 0x43f00000, v34
	s_cbranch_execz .LBB28_36
; %bb.80:                               ;   in Loop: Header=BB28_37 Depth=1
	s_mov_b32 s8, exec_lo
                                        ; implicit-def: $vgpr32
	v_cmpx_lt_u32_e32 0x3c7fffff, v34
	s_xor_b32 s8, exec_lo, s8
; %bb.81:                               ;   in Loop: Header=BB28_37 Depth=1
	v_bfe_u32 v32, v3, 20, 1
	s_delay_alu instid0(VALU_DEP_1) | instskip(NEXT) | instid1(VALU_DEP_1)
	v_add3_u32 v32, v3, v32, 0x407ffff
	v_lshrrev_b32_e32 v32, 20, v32
; %bb.82:                               ;   in Loop: Header=BB28_37 Depth=1
	s_and_not1_saveexec_b32 s8, s8
	s_cbranch_execz .LBB28_35
; %bb.83:                               ;   in Loop: Header=BB28_37 Depth=1
	v_add_f32_e64 v32, 0x46800000, |v3|
	s_branch .LBB28_35
.LBB28_84:
	s_or_b32 exec_lo, exec_lo, s1
	v_lshlrev_b32_e32 v2, 3, v17
	s_mov_b32 s5, exec_lo
	s_delay_alu instid0(VALU_DEP_1) | instskip(NEXT) | instid1(VALU_DEP_1)
	v_add_nc_u32_e32 v0, v2, v10
	v_cmpx_lt_i32_e64 v0, v9
	s_cbranch_execz .LBB28_100
; %bb.85:
	v_add_nc_u32_e32 v1, 16, v0
	s_mov_b32 s0, 0
	s_mov_b32 s1, exec_lo
	s_delay_alu instid0(VALU_DEP_1) | instskip(NEXT) | instid1(VALU_DEP_1)
	v_max_i32_e32 v3, v1, v9
	v_xad_u32 v3, v10, -1, v3
	s_delay_alu instid0(VALU_DEP_1) | instskip(NEXT) | instid1(VALU_DEP_1)
	v_sub_nc_u32_e32 v2, v3, v2
                                        ; implicit-def: $vgpr3
	v_cmpx_lt_u32_e32 15, v2
	s_xor_b32 s8, exec_lo, s1
	s_cbranch_execnz .LBB28_88
; %bb.86:
	s_and_not1_saveexec_b32 s1, s8
	s_cbranch_execnz .LBB28_91
.LBB28_87:
	s_or_b32 exec_lo, exec_lo, s1
	s_delay_alu instid0(SALU_CYCLE_1)
	s_and_b32 exec_lo, exec_lo, s0
	s_cbranch_execnz .LBB28_92
	s_branch .LBB28_100
.LBB28_88:
	v_lshrrev_b32_e32 v2, 4, v2
	v_lshlrev_b32_e32 v3, 1, v11
	v_lshlrev_b32_e32 v17, 4, v17
	v_add_co_u32 v11, vcc_lo, v15, v12
	s_delay_alu instid0(VALU_DEP_4) | instskip(SKIP_3) | instid1(VALU_DEP_4)
	v_add_nc_u32_e32 v6, 1, v2
	v_add_co_ci_u32_e32 v15, vcc_lo, v16, v13, vcc_lo
	v_mov_b32_e32 v16, v8
	v_lshlrev_b32_e32 v10, 1, v10
	v_and_b32_e32 v7, 0x1ffffffe, v6
	v_lshlrev_b32_e32 v14, 1, v12
	s_mov_b32 s0, s6
	s_mov_b32 s1, s6
	;; [unrolled: 1-line block ×3, first 2 shown]
	v_mov_b32_e32 v21, v7
	v_add3_u32 v2, v3, v17, v14
	s_mov_b32 s10, s7
	v_max_f32_e64 v17, s0, s0
	v_max_f32_e64 v18, s1, s1
	;; [unrolled: 1-line block ×3, first 2 shown]
	v_add3_u32 v10, v2, v10, 0
	v_mov_b32_e32 v2, v1
	v_max_f32_e64 v20, s9, s9
	v_mov_b32_e32 v1, v0
	s_mov_b32 s9, 0
.LBB28_89:                              ; =>This Inner Loop Header: Depth=1
	ds_load_u16 v22, v10
	ds_load_u16 v23, v10 offset:32
	v_mov_b32_e32 v24, v2
	v_ashrrev_i32_e32 v25, 31, v2
	v_ashrrev_i32_e32 v26, 31, v1
	v_add_nc_u32_e32 v21, -2, v21
	v_add_nc_u32_e32 v10, 64, v10
	s_waitcnt lgkmcnt(1)
	v_lshlrev_b32_e32 v27, 16, v22
	s_waitcnt lgkmcnt(0)
	v_lshlrev_b32_e32 v23, 16, v23
	s_delay_alu instid0(VALU_DEP_2) | instskip(NEXT) | instid1(VALU_DEP_2)
	v_div_scale_f32 v22, null, v8, v8, v27
	v_div_scale_f32 v28, null, v16, v16, v23
	v_div_scale_f32 v31, vcc_lo, v27, v8, v27
	s_delay_alu instid0(VALU_DEP_3) | instskip(NEXT) | instid1(VALU_DEP_2)
	v_rcp_f32_e32 v29, v22
	v_rcp_f32_e32 v30, v28
	s_waitcnt_depctr 0xfff
	v_fma_f32 v33, -v22, v29, 1.0
	v_fma_f32 v34, -v28, v30, 1.0
	s_delay_alu instid0(VALU_DEP_2) | instskip(NEXT) | instid1(VALU_DEP_2)
	v_dual_fmac_f32 v29, v33, v29 :: v_dual_add_nc_u32 v2, 32, v2
	v_fmac_f32_e32 v30, v34, v30
	v_div_scale_f32 v32, s0, v23, v16, v23
	s_delay_alu instid0(VALU_DEP_1) | instskip(NEXT) | instid1(VALU_DEP_1)
	v_dual_mul_f32 v33, v31, v29 :: v_dual_mul_f32 v34, v32, v30
	v_fma_f32 v35, -v22, v33, v31
	s_delay_alu instid0(VALU_DEP_2) | instskip(NEXT) | instid1(VALU_DEP_1)
	v_fma_f32 v36, -v28, v34, v32
	v_dual_fmac_f32 v33, v35, v29 :: v_dual_fmac_f32 v34, v36, v30
	s_delay_alu instid0(VALU_DEP_1) | instskip(NEXT) | instid1(VALU_DEP_2)
	v_fma_f32 v22, -v22, v33, v31
	v_fma_f32 v28, -v28, v34, v32
	s_delay_alu instid0(VALU_DEP_2) | instskip(SKIP_1) | instid1(VALU_DEP_2)
	v_div_fmas_f32 v29, v22, v29, v33
	s_mov_b32 vcc_lo, s0
	v_div_fmas_f32 v28, v28, v30, v34
	v_add_co_u32 v22, vcc_lo, v11, v1
	s_delay_alu instid0(VALU_DEP_3) | instskip(SKIP_1) | instid1(VALU_DEP_4)
	v_div_fixup_f32 v27, v29, v8, v27
	v_add_nc_u32_e32 v1, 32, v1
	v_div_fixup_f32 v23, v28, v16, v23
	s_delay_alu instid0(VALU_DEP_3) | instskip(NEXT) | instid1(VALU_DEP_2)
	v_maxmin_f32 v27, v27, v17, v20
	v_maxmin_f32 v28, v23, v18, v19
	v_add_co_ci_u32_e32 v23, vcc_lo, v15, v26, vcc_lo
	s_delay_alu instid0(VALU_DEP_3) | instskip(SKIP_1) | instid1(VALU_DEP_4)
	v_bfe_u32 v26, v27, 20, 1
	v_and_b32_e32 v30, 0x7fffffff, v27
	v_bfe_u32 v29, v28, 20, 1
	v_and_b32_e32 v32, 0x7fffffff, v28
	v_add_f32_e64 v31, 0x46800000, |v27|
	v_add3_u32 v26, v27, v26, 0x407ffff
	v_add_nc_u32_e32 v34, 0xc3800000, v30
	v_add3_u32 v29, v28, v29, 0x407ffff
	v_add_nc_u32_e32 v35, 0xc3800000, v32
	v_add_f32_e64 v33, 0x46800000, |v28|
	v_lshrrev_b32_e32 v26, 20, v26
	v_cmp_gt_u32_e64 s0, 0x7700000, v34
	v_lshrrev_b32_e32 v29, 20, v29
	v_cmp_gt_u32_e64 s1, 0x7700000, v35
	v_add_co_u32 v24, vcc_lo, v11, v24
	s_delay_alu instid0(VALU_DEP_4) | instskip(SKIP_1) | instid1(VALU_DEP_4)
	v_cndmask_b32_e64 v26, v31, v26, s0
	v_cmp_gt_u32_e64 s0, 0x43f00000, v30
	v_cndmask_b32_e64 v29, v33, v29, s1
	v_cmp_gt_u32_e64 s1, 0x43f00000, v32
	v_lshrrev_b32_e32 v27, 24, v27
	v_lshrrev_b32_e32 v28, 24, v28
	v_cndmask_b32_e64 v26, 0x7f, v26, s0
	v_add_co_ci_u32_e32 v25, vcc_lo, v15, v25, vcc_lo
	v_cndmask_b32_e64 v29, 0x7f, v29, s1
	v_cmp_eq_u32_e32 vcc_lo, 0, v21
	s_delay_alu instid0(VALU_DEP_4) | instskip(NEXT) | instid1(VALU_DEP_3)
	v_and_or_b32 v26, 0x80, v27, v26
	v_and_or_b32 v27, 0x80, v28, v29
	s_or_b32 s9, vcc_lo, s9
	s_clause 0x1
	global_store_b8 v[22:23], v26, off
	global_store_b8 v[24:25], v27, off
	s_and_not1_b32 exec_lo, exec_lo, s9
	s_cbranch_execnz .LBB28_89
; %bb.90:
	s_or_b32 exec_lo, exec_lo, s9
	v_cmp_ne_u32_e32 vcc_lo, v6, v7
	v_lshl_add_u32 v0, v7, 4, v0
                                        ; implicit-def: $vgpr11
	s_and_b32 s0, vcc_lo, exec_lo
	s_and_not1_saveexec_b32 s1, s8
	s_cbranch_execz .LBB28_87
.LBB28_91:
	v_lshlrev_b32_e32 v3, 1, v11
	s_or_b32 s0, s0, exec_lo
	s_or_b32 exec_lo, exec_lo, s1
	s_delay_alu instid0(SALU_CYCLE_1)
	s_and_b32 exec_lo, exec_lo, s0
	s_cbranch_execz .LBB28_100
.LBB28_92:
	v_add_co_u32 v1, vcc_lo, v12, v4
	v_add_co_ci_u32_e32 v2, vcc_lo, v13, v5, vcc_lo
	v_ashrrev_i32_e32 v4, 31, v0
	s_delay_alu instid0(VALU_DEP_3) | instskip(SKIP_2) | instid1(VALU_DEP_4)
	v_add_co_u32 v1, vcc_lo, v1, v0
	v_lshl_add_u32 v3, v0, 1, v3
	v_max_f32_e64 v5, s7, s7
	v_add_co_ci_u32_e32 v2, vcc_lo, v2, v4, vcc_lo
	s_delay_alu instid0(VALU_DEP_4) | instskip(NEXT) | instid1(VALU_DEP_4)
	v_add_co_u32 v1, vcc_lo, s2, v1
	v_add3_u32 v3, v3, v14, 0
	s_delay_alu instid0(VALU_DEP_3)
	v_add_co_ci_u32_e32 v2, vcc_lo, s3, v2, vcc_lo
	v_max_f32_e64 v4, s6, s6
	s_mov_b32 s1, 0
	s_branch .LBB28_95
.LBB28_93:                              ;   in Loop: Header=BB28_95 Depth=1
	s_or_b32 exec_lo, exec_lo, s8
.LBB28_94:                              ;   in Loop: Header=BB28_95 Depth=1
	s_delay_alu instid0(SALU_CYCLE_1) | instskip(SKIP_3) | instid1(VALU_DEP_3)
	s_or_b32 exec_lo, exec_lo, s0
	v_lshrrev_b32_e32 v6, 24, v6
	v_add_nc_u32_e32 v0, 16, v0
	v_add_nc_u32_e32 v3, 32, v3
	v_and_or_b32 v6, 0x80, v6, v7
	s_delay_alu instid0(VALU_DEP_3) | instskip(SKIP_2) | instid1(VALU_DEP_1)
	v_cmp_ge_i32_e32 vcc_lo, v0, v9
	global_store_b8 v[1:2], v6, off
	v_add_co_u32 v1, s0, v1, 16
	v_add_co_ci_u32_e64 v2, s0, 0, v2, s0
	s_or_b32 s1, vcc_lo, s1
	s_delay_alu instid0(SALU_CYCLE_1)
	s_and_not1_b32 exec_lo, exec_lo, s1
	s_cbranch_execz .LBB28_100
.LBB28_95:                              ; =>This Inner Loop Header: Depth=1
	ds_load_u16 v6, v3
	s_mov_b32 s0, exec_lo
	s_waitcnt lgkmcnt(0)
	v_lshlrev_b32_e32 v6, 16, v6
	s_delay_alu instid0(VALU_DEP_1) | instskip(SKIP_1) | instid1(VALU_DEP_2)
	v_div_scale_f32 v7, null, v8, v8, v6
	v_div_scale_f32 v12, vcc_lo, v6, v8, v6
	v_rcp_f32_e32 v10, v7
	s_waitcnt_depctr 0xfff
	v_fma_f32 v11, -v7, v10, 1.0
	s_delay_alu instid0(VALU_DEP_1) | instskip(NEXT) | instid1(VALU_DEP_1)
	v_fmac_f32_e32 v10, v11, v10
	v_mul_f32_e32 v11, v12, v10
	s_delay_alu instid0(VALU_DEP_1) | instskip(NEXT) | instid1(VALU_DEP_1)
	v_fma_f32 v13, -v7, v11, v12
	v_fmac_f32_e32 v11, v13, v10
	s_delay_alu instid0(VALU_DEP_1) | instskip(NEXT) | instid1(VALU_DEP_1)
	v_fma_f32 v7, -v7, v11, v12
	v_div_fmas_f32 v7, v7, v10, v11
	s_delay_alu instid0(VALU_DEP_1) | instskip(SKIP_1) | instid1(VALU_DEP_2)
	v_div_fixup_f32 v6, v7, v8, v6
	v_mov_b32_e32 v7, 0x7f
	v_maxmin_f32 v6, v6, v4, v5
	s_delay_alu instid0(VALU_DEP_1) | instskip(NEXT) | instid1(VALU_DEP_1)
	v_and_b32_e32 v10, 0x7fffffff, v6
	v_cmpx_gt_u32_e32 0x43f00000, v10
	s_cbranch_execz .LBB28_94
; %bb.96:                               ;   in Loop: Header=BB28_95 Depth=1
	s_mov_b32 s8, exec_lo
                                        ; implicit-def: $vgpr7
	v_cmpx_lt_u32_e32 0x3c7fffff, v10
	s_xor_b32 s8, exec_lo, s8
; %bb.97:                               ;   in Loop: Header=BB28_95 Depth=1
	v_bfe_u32 v7, v6, 20, 1
	s_delay_alu instid0(VALU_DEP_1) | instskip(NEXT) | instid1(VALU_DEP_1)
	v_add3_u32 v7, v6, v7, 0x407ffff
	v_lshrrev_b32_e32 v7, 20, v7
; %bb.98:                               ;   in Loop: Header=BB28_95 Depth=1
	s_and_not1_saveexec_b32 s8, s8
	s_cbranch_execz .LBB28_93
; %bb.99:                               ;   in Loop: Header=BB28_95 Depth=1
	v_add_f32_e64 v7, 0x46800000, |v6|
	s_branch .LBB28_93
.LBB28_100:
	s_or_b32 exec_lo, exec_lo, s5
                                        ; implicit-def: $vgpr10
                                        ; implicit-def: $vgpr8
                                        ; implicit-def: $vgpr11
                                        ; implicit-def: $vgpr4_vgpr5
.LBB28_101:
	s_and_not1_saveexec_b32 s0, s4
	s_cbranch_execz .LBB28_153
; %bb.102:
	s_ashr_i32 s1, s14, 3
	s_mov_b32 s0, exec_lo
	v_cmpx_gt_i32_e64 s1, v10
	s_cbranch_execz .LBB28_153
; %bb.103:
	v_lshlrev_b32_e32 v0, 3, v10
	v_lshlrev_b32_e32 v1, 1, v11
	;; [unrolled: 1-line block ×3, first 2 shown]
	v_max_f32_e64 v7, s6, s6
	v_max_f32_e64 v9, s7, s7
	v_add_co_u32 v0, vcc_lo, v4, v0
	v_add_co_ci_u32_e32 v3, vcc_lo, 0, v5, vcc_lo
	v_add3_u32 v6, v1, v2, 0
	s_delay_alu instid0(VALU_DEP_3) | instskip(NEXT) | instid1(VALU_DEP_3)
	v_add_co_u32 v4, vcc_lo, s2, v0
	v_add_co_ci_u32_e32 v5, vcc_lo, s3, v3, vcc_lo
	s_mov_b32 s2, 0
	s_branch .LBB28_106
.LBB28_104:                             ;   in Loop: Header=BB28_106 Depth=1
	s_or_b32 exec_lo, exec_lo, s3
.LBB28_105:                             ;   in Loop: Header=BB28_106 Depth=1
	s_delay_alu instid0(SALU_CYCLE_1)
	s_or_b32 exec_lo, exec_lo, s0
	v_lshrrev_b32_e32 v22, 24, v22
	v_lshrrev_b32_e32 v16, 24, v16
	;; [unrolled: 1-line block ×5, first 2 shown]
	v_and_b32_e32 v22, 0x80, v22
	v_and_b32_e32 v16, 0x80, v16
	v_lshrrev_b32_e32 v19, 24, v19
	v_and_b32_e32 v2, 0x80, v2
	v_lshrrev_b32_e32 v13, 24, v13
	v_and_or_b32 v3, 0x80, v3, v21
	v_and_or_b32 v20, 0xff, v20, v22
	v_and_b32_e32 v0, 0x80, v0
	v_and_or_b32 v15, 0xff, v15, v16
	v_and_b32_e32 v19, 0x80, v19
	v_and_b32_e32 v13, 0x80, v13
	v_lshlrev_b32_e32 v3, 24, v3
	v_lshlrev_b32_e32 v20, 16, v20
	v_and_or_b32 v2, 0xff, v18, v2
	v_lshlrev_b32_e32 v14, 24, v14
	v_and_b32_e32 v1, 0x80000000, v1
	v_and_or_b32 v0, 0xff, v12, v0
	v_lshlrev_b32_e32 v12, 16, v15
	v_or_b32_e32 v3, v3, v20
	v_lshlrev_b32_e32 v2, 8, v2
	v_and_or_b32 v15, 0xff, v17, v19
	v_lshlrev_b32_e32 v0, 8, v0
	v_or3_b32 v12, v14, v1, v12
	v_and_or_b32 v11, 0xff, v11, v13
	v_add_nc_u32_e32 v10, 16, v10
	v_or3_b32 v1, v3, v2, v15
	v_add_nc_u32_e32 v6, 0x100, v6
	s_delay_alu instid0(VALU_DEP_4) | instskip(NEXT) | instid1(VALU_DEP_4)
	v_or3_b32 v0, v12, v0, v11
	v_cmp_le_i32_e32 vcc_lo, s1, v10
	global_store_b64 v[4:5], v[0:1], off
	v_add_co_u32 v4, s0, 0x80, v4
	s_delay_alu instid0(VALU_DEP_1) | instskip(SKIP_1) | instid1(SALU_CYCLE_1)
	v_add_co_ci_u32_e64 v5, s0, 0, v5, s0
	s_or_b32 s2, vcc_lo, s2
	s_and_not1_b32 exec_lo, exec_lo, s2
	s_cbranch_execz .LBB28_153
.LBB28_106:                             ; =>This Inner Loop Header: Depth=1
	ds_load_b128 v[0:3], v6
	s_mov_b32 s0, exec_lo
	s_waitcnt lgkmcnt(0)
	v_lshlrev_b32_e32 v11, 16, v0
	s_delay_alu instid0(VALU_DEP_1) | instskip(SKIP_1) | instid1(VALU_DEP_2)
	v_div_scale_f32 v12, null, v8, v8, v11
	v_div_scale_f32 v15, vcc_lo, v11, v8, v11
	v_rcp_f32_e32 v13, v12
	s_waitcnt_depctr 0xfff
	v_fma_f32 v14, -v12, v13, 1.0
	s_delay_alu instid0(VALU_DEP_1) | instskip(NEXT) | instid1(VALU_DEP_1)
	v_fmac_f32_e32 v13, v14, v13
	v_mul_f32_e32 v14, v15, v13
	s_delay_alu instid0(VALU_DEP_1) | instskip(NEXT) | instid1(VALU_DEP_1)
	v_fma_f32 v16, -v12, v14, v15
	v_fmac_f32_e32 v14, v16, v13
	s_delay_alu instid0(VALU_DEP_1) | instskip(NEXT) | instid1(VALU_DEP_1)
	v_fma_f32 v12, -v12, v14, v15
	v_div_fmas_f32 v12, v12, v13, v14
	s_delay_alu instid0(VALU_DEP_1) | instskip(SKIP_1) | instid1(VALU_DEP_2)
	v_div_fixup_f32 v11, v12, v8, v11
	v_mov_b32_e32 v12, 0x7f
	v_maxmin_f32 v13, v11, v7, v9
	v_mov_b32_e32 v11, 0x7f
	s_delay_alu instid0(VALU_DEP_2) | instskip(NEXT) | instid1(VALU_DEP_1)
	v_and_b32_e32 v14, 0x7fffffff, v13
	v_cmpx_gt_u32_e32 0x43f00000, v14
	s_cbranch_execz .LBB28_112
; %bb.107:                              ;   in Loop: Header=BB28_106 Depth=1
	s_mov_b32 s3, exec_lo
                                        ; implicit-def: $vgpr11
	v_cmpx_lt_u32_e32 0x3c7fffff, v14
	s_xor_b32 s3, exec_lo, s3
; %bb.108:                              ;   in Loop: Header=BB28_106 Depth=1
	v_bfe_u32 v11, v13, 20, 1
	s_delay_alu instid0(VALU_DEP_1) | instskip(NEXT) | instid1(VALU_DEP_1)
	v_add3_u32 v11, v13, v11, 0x407ffff
	v_lshrrev_b32_e32 v11, 20, v11
; %bb.109:                              ;   in Loop: Header=BB28_106 Depth=1
	s_and_not1_saveexec_b32 s3, s3
; %bb.110:                              ;   in Loop: Header=BB28_106 Depth=1
	v_add_f32_e64 v11, 0x46800000, |v13|
; %bb.111:                              ;   in Loop: Header=BB28_106 Depth=1
	s_or_b32 exec_lo, exec_lo, s3
.LBB28_112:                             ;   in Loop: Header=BB28_106 Depth=1
	s_delay_alu instid0(SALU_CYCLE_1) | instskip(SKIP_2) | instid1(VALU_DEP_1)
	s_or_b32 exec_lo, exec_lo, s0
	v_and_b32_e32 v0, 0xffff0000, v0
	s_mov_b32 s0, exec_lo
	v_div_scale_f32 v14, null, v8, v8, v0
	s_delay_alu instid0(VALU_DEP_1) | instskip(SKIP_2) | instid1(VALU_DEP_1)
	v_rcp_f32_e32 v15, v14
	s_waitcnt_depctr 0xfff
	v_fma_f32 v16, -v14, v15, 1.0
	v_fmac_f32_e32 v15, v16, v15
	v_div_scale_f32 v16, vcc_lo, v0, v8, v0
	s_delay_alu instid0(VALU_DEP_1) | instskip(NEXT) | instid1(VALU_DEP_1)
	v_mul_f32_e32 v17, v16, v15
	v_fma_f32 v18, -v14, v17, v16
	s_delay_alu instid0(VALU_DEP_1) | instskip(NEXT) | instid1(VALU_DEP_1)
	v_fmac_f32_e32 v17, v18, v15
	v_fma_f32 v14, -v14, v17, v16
	s_delay_alu instid0(VALU_DEP_1) | instskip(NEXT) | instid1(VALU_DEP_1)
	v_div_fmas_f32 v14, v14, v15, v17
	v_div_fixup_f32 v0, v14, v8, v0
	s_delay_alu instid0(VALU_DEP_1) | instskip(NEXT) | instid1(VALU_DEP_1)
	v_maxmin_f32 v0, v0, v7, v9
	v_and_b32_e32 v14, 0x7fffffff, v0
	s_delay_alu instid0(VALU_DEP_1)
	v_cmpx_gt_u32_e32 0x43f00000, v14
	s_cbranch_execz .LBB28_118
; %bb.113:                              ;   in Loop: Header=BB28_106 Depth=1
	s_mov_b32 s3, exec_lo
                                        ; implicit-def: $vgpr12
	v_cmpx_lt_u32_e32 0x3c7fffff, v14
	s_xor_b32 s3, exec_lo, s3
; %bb.114:                              ;   in Loop: Header=BB28_106 Depth=1
	v_bfe_u32 v12, v0, 20, 1
	s_delay_alu instid0(VALU_DEP_1) | instskip(NEXT) | instid1(VALU_DEP_1)
	v_add3_u32 v12, v0, v12, 0x407ffff
	v_lshrrev_b32_e32 v12, 20, v12
; %bb.115:                              ;   in Loop: Header=BB28_106 Depth=1
	s_and_not1_saveexec_b32 s3, s3
; %bb.116:                              ;   in Loop: Header=BB28_106 Depth=1
	v_add_f32_e64 v12, 0x46800000, |v0|
; %bb.117:                              ;   in Loop: Header=BB28_106 Depth=1
	s_or_b32 exec_lo, exec_lo, s3
.LBB28_118:                             ;   in Loop: Header=BB28_106 Depth=1
	s_delay_alu instid0(SALU_CYCLE_1) | instskip(SKIP_2) | instid1(VALU_DEP_1)
	s_or_b32 exec_lo, exec_lo, s0
	v_lshlrev_b32_e32 v14, 16, v1
	s_mov_b32 s0, exec_lo
	v_div_scale_f32 v15, null, v8, v8, v14
	v_div_scale_f32 v18, vcc_lo, v14, v8, v14
	s_delay_alu instid0(VALU_DEP_2) | instskip(SKIP_2) | instid1(VALU_DEP_1)
	v_rcp_f32_e32 v16, v15
	s_waitcnt_depctr 0xfff
	v_fma_f32 v17, -v15, v16, 1.0
	v_fmac_f32_e32 v16, v17, v16
	s_delay_alu instid0(VALU_DEP_1) | instskip(NEXT) | instid1(VALU_DEP_1)
	v_mul_f32_e32 v17, v18, v16
	v_fma_f32 v19, -v15, v17, v18
	s_delay_alu instid0(VALU_DEP_1) | instskip(NEXT) | instid1(VALU_DEP_1)
	v_fmac_f32_e32 v17, v19, v16
	v_fma_f32 v15, -v15, v17, v18
	s_delay_alu instid0(VALU_DEP_1) | instskip(NEXT) | instid1(VALU_DEP_1)
	v_div_fmas_f32 v15, v15, v16, v17
	v_div_fixup_f32 v14, v15, v8, v14
	v_mov_b32_e32 v15, 0x7f
	s_delay_alu instid0(VALU_DEP_2) | instskip(SKIP_1) | instid1(VALU_DEP_2)
	v_maxmin_f32 v16, v14, v7, v9
	v_mov_b32_e32 v14, 0x7f
	v_and_b32_e32 v17, 0x7fffffff, v16
	s_delay_alu instid0(VALU_DEP_1)
	v_cmpx_gt_u32_e32 0x43f00000, v17
	s_cbranch_execz .LBB28_124
; %bb.119:                              ;   in Loop: Header=BB28_106 Depth=1
	s_mov_b32 s3, exec_lo
                                        ; implicit-def: $vgpr15
	v_cmpx_lt_u32_e32 0x3c7fffff, v17
	s_xor_b32 s3, exec_lo, s3
; %bb.120:                              ;   in Loop: Header=BB28_106 Depth=1
	v_bfe_u32 v15, v16, 20, 1
	s_delay_alu instid0(VALU_DEP_1) | instskip(NEXT) | instid1(VALU_DEP_1)
	v_add3_u32 v15, v16, v15, 0x407ffff
	v_lshrrev_b32_e32 v15, 20, v15
; %bb.121:                              ;   in Loop: Header=BB28_106 Depth=1
	s_and_not1_saveexec_b32 s3, s3
; %bb.122:                              ;   in Loop: Header=BB28_106 Depth=1
	v_add_f32_e64 v15, 0x46800000, |v16|
; %bb.123:                              ;   in Loop: Header=BB28_106 Depth=1
	s_or_b32 exec_lo, exec_lo, s3
.LBB28_124:                             ;   in Loop: Header=BB28_106 Depth=1
	s_delay_alu instid0(SALU_CYCLE_1) | instskip(SKIP_2) | instid1(VALU_DEP_1)
	s_or_b32 exec_lo, exec_lo, s0
	v_and_b32_e32 v1, 0xffff0000, v1
	s_mov_b32 s0, exec_lo
	v_div_scale_f32 v17, null, v8, v8, v1
	s_delay_alu instid0(VALU_DEP_1) | instskip(SKIP_2) | instid1(VALU_DEP_1)
	v_rcp_f32_e32 v18, v17
	s_waitcnt_depctr 0xfff
	v_fma_f32 v19, -v17, v18, 1.0
	v_fmac_f32_e32 v18, v19, v18
	v_div_scale_f32 v19, vcc_lo, v1, v8, v1
	s_delay_alu instid0(VALU_DEP_1) | instskip(NEXT) | instid1(VALU_DEP_1)
	v_mul_f32_e32 v20, v19, v18
	v_fma_f32 v21, -v17, v20, v19
	s_delay_alu instid0(VALU_DEP_1) | instskip(NEXT) | instid1(VALU_DEP_1)
	v_fmac_f32_e32 v20, v21, v18
	v_fma_f32 v17, -v17, v20, v19
	s_delay_alu instid0(VALU_DEP_1) | instskip(NEXT) | instid1(VALU_DEP_1)
	v_div_fmas_f32 v17, v17, v18, v20
	v_div_fixup_f32 v1, v17, v8, v1
	s_delay_alu instid0(VALU_DEP_1) | instskip(NEXT) | instid1(VALU_DEP_1)
	v_maxmin_f32 v1, v1, v7, v9
	v_and_b32_e32 v17, 0x7fffffff, v1
	s_delay_alu instid0(VALU_DEP_1)
	v_cmpx_gt_u32_e32 0x43f00000, v17
	s_cbranch_execz .LBB28_130
; %bb.125:                              ;   in Loop: Header=BB28_106 Depth=1
	s_mov_b32 s3, exec_lo
                                        ; implicit-def: $vgpr14
	v_cmpx_lt_u32_e32 0x3c7fffff, v17
	s_xor_b32 s3, exec_lo, s3
; %bb.126:                              ;   in Loop: Header=BB28_106 Depth=1
	v_bfe_u32 v14, v1, 20, 1
	s_delay_alu instid0(VALU_DEP_1) | instskip(NEXT) | instid1(VALU_DEP_1)
	v_add3_u32 v14, v1, v14, 0x407ffff
	v_lshrrev_b32_e32 v14, 20, v14
; %bb.127:                              ;   in Loop: Header=BB28_106 Depth=1
	s_and_not1_saveexec_b32 s3, s3
; %bb.128:                              ;   in Loop: Header=BB28_106 Depth=1
	v_add_f32_e64 v14, 0x46800000, |v1|
; %bb.129:                              ;   in Loop: Header=BB28_106 Depth=1
	s_or_b32 exec_lo, exec_lo, s3
.LBB28_130:                             ;   in Loop: Header=BB28_106 Depth=1
	s_delay_alu instid0(SALU_CYCLE_1) | instskip(SKIP_2) | instid1(VALU_DEP_1)
	s_or_b32 exec_lo, exec_lo, s0
	v_lshlrev_b32_e32 v17, 16, v2
	s_mov_b32 s0, exec_lo
	v_div_scale_f32 v18, null, v8, v8, v17
	v_div_scale_f32 v21, vcc_lo, v17, v8, v17
	s_delay_alu instid0(VALU_DEP_2) | instskip(SKIP_2) | instid1(VALU_DEP_1)
	v_rcp_f32_e32 v19, v18
	s_waitcnt_depctr 0xfff
	v_fma_f32 v20, -v18, v19, 1.0
	v_fmac_f32_e32 v19, v20, v19
	s_delay_alu instid0(VALU_DEP_1) | instskip(NEXT) | instid1(VALU_DEP_1)
	v_mul_f32_e32 v20, v21, v19
	v_fma_f32 v22, -v18, v20, v21
	s_delay_alu instid0(VALU_DEP_1) | instskip(NEXT) | instid1(VALU_DEP_1)
	v_fmac_f32_e32 v20, v22, v19
	v_fma_f32 v18, -v18, v20, v21
	s_delay_alu instid0(VALU_DEP_1) | instskip(NEXT) | instid1(VALU_DEP_1)
	v_div_fmas_f32 v18, v18, v19, v20
	v_div_fixup_f32 v17, v18, v8, v17
	v_mov_b32_e32 v18, 0x7f
	s_delay_alu instid0(VALU_DEP_2) | instskip(SKIP_1) | instid1(VALU_DEP_2)
	v_maxmin_f32 v19, v17, v7, v9
	v_mov_b32_e32 v17, 0x7f
	v_and_b32_e32 v20, 0x7fffffff, v19
	s_delay_alu instid0(VALU_DEP_1)
	v_cmpx_gt_u32_e32 0x43f00000, v20
	s_cbranch_execz .LBB28_136
; %bb.131:                              ;   in Loop: Header=BB28_106 Depth=1
	s_mov_b32 s3, exec_lo
                                        ; implicit-def: $vgpr17
	v_cmpx_lt_u32_e32 0x3c7fffff, v20
	s_xor_b32 s3, exec_lo, s3
; %bb.132:                              ;   in Loop: Header=BB28_106 Depth=1
	v_bfe_u32 v17, v19, 20, 1
	s_delay_alu instid0(VALU_DEP_1) | instskip(NEXT) | instid1(VALU_DEP_1)
	v_add3_u32 v17, v19, v17, 0x407ffff
	v_lshrrev_b32_e32 v17, 20, v17
; %bb.133:                              ;   in Loop: Header=BB28_106 Depth=1
	s_and_not1_saveexec_b32 s3, s3
; %bb.134:                              ;   in Loop: Header=BB28_106 Depth=1
	v_add_f32_e64 v17, 0x46800000, |v19|
; %bb.135:                              ;   in Loop: Header=BB28_106 Depth=1
	s_or_b32 exec_lo, exec_lo, s3
.LBB28_136:                             ;   in Loop: Header=BB28_106 Depth=1
	s_delay_alu instid0(SALU_CYCLE_1) | instskip(SKIP_2) | instid1(VALU_DEP_1)
	s_or_b32 exec_lo, exec_lo, s0
	v_and_b32_e32 v2, 0xffff0000, v2
	s_mov_b32 s0, exec_lo
	v_div_scale_f32 v20, null, v8, v8, v2
	s_delay_alu instid0(VALU_DEP_1) | instskip(SKIP_2) | instid1(VALU_DEP_1)
	v_rcp_f32_e32 v21, v20
	s_waitcnt_depctr 0xfff
	v_fma_f32 v22, -v20, v21, 1.0
	v_fmac_f32_e32 v21, v22, v21
	v_div_scale_f32 v22, vcc_lo, v2, v8, v2
	s_delay_alu instid0(VALU_DEP_1) | instskip(NEXT) | instid1(VALU_DEP_1)
	v_mul_f32_e32 v23, v22, v21
	v_fma_f32 v24, -v20, v23, v22
	s_delay_alu instid0(VALU_DEP_1) | instskip(NEXT) | instid1(VALU_DEP_1)
	v_fmac_f32_e32 v23, v24, v21
	v_fma_f32 v20, -v20, v23, v22
	s_delay_alu instid0(VALU_DEP_1) | instskip(NEXT) | instid1(VALU_DEP_1)
	v_div_fmas_f32 v20, v20, v21, v23
	v_div_fixup_f32 v2, v20, v8, v2
	s_delay_alu instid0(VALU_DEP_1) | instskip(NEXT) | instid1(VALU_DEP_1)
	v_maxmin_f32 v2, v2, v7, v9
	v_and_b32_e32 v20, 0x7fffffff, v2
	s_delay_alu instid0(VALU_DEP_1)
	v_cmpx_gt_u32_e32 0x43f00000, v20
	s_cbranch_execz .LBB28_142
; %bb.137:                              ;   in Loop: Header=BB28_106 Depth=1
	s_mov_b32 s3, exec_lo
                                        ; implicit-def: $vgpr18
	v_cmpx_lt_u32_e32 0x3c7fffff, v20
	s_xor_b32 s3, exec_lo, s3
; %bb.138:                              ;   in Loop: Header=BB28_106 Depth=1
	v_bfe_u32 v18, v2, 20, 1
	s_delay_alu instid0(VALU_DEP_1) | instskip(NEXT) | instid1(VALU_DEP_1)
	v_add3_u32 v18, v2, v18, 0x407ffff
	v_lshrrev_b32_e32 v18, 20, v18
; %bb.139:                              ;   in Loop: Header=BB28_106 Depth=1
	s_and_not1_saveexec_b32 s3, s3
; %bb.140:                              ;   in Loop: Header=BB28_106 Depth=1
	v_add_f32_e64 v18, 0x46800000, |v2|
; %bb.141:                              ;   in Loop: Header=BB28_106 Depth=1
	s_or_b32 exec_lo, exec_lo, s3
.LBB28_142:                             ;   in Loop: Header=BB28_106 Depth=1
	s_delay_alu instid0(SALU_CYCLE_1) | instskip(SKIP_2) | instid1(VALU_DEP_1)
	s_or_b32 exec_lo, exec_lo, s0
	v_lshlrev_b32_e32 v20, 16, v3
	s_mov_b32 s0, exec_lo
	v_div_scale_f32 v21, null, v8, v8, v20
	v_div_scale_f32 v24, vcc_lo, v20, v8, v20
	s_delay_alu instid0(VALU_DEP_2) | instskip(SKIP_2) | instid1(VALU_DEP_1)
	v_rcp_f32_e32 v22, v21
	s_waitcnt_depctr 0xfff
	v_fma_f32 v23, -v21, v22, 1.0
	v_fmac_f32_e32 v22, v23, v22
	s_delay_alu instid0(VALU_DEP_1) | instskip(NEXT) | instid1(VALU_DEP_1)
	v_mul_f32_e32 v23, v24, v22
	v_fma_f32 v25, -v21, v23, v24
	s_delay_alu instid0(VALU_DEP_1) | instskip(NEXT) | instid1(VALU_DEP_1)
	v_fmac_f32_e32 v23, v25, v22
	v_fma_f32 v21, -v21, v23, v24
	s_delay_alu instid0(VALU_DEP_1) | instskip(NEXT) | instid1(VALU_DEP_1)
	v_div_fmas_f32 v21, v21, v22, v23
	v_div_fixup_f32 v20, v21, v8, v20
	v_mov_b32_e32 v21, 0x7f
	s_delay_alu instid0(VALU_DEP_2) | instskip(SKIP_1) | instid1(VALU_DEP_2)
	v_maxmin_f32 v22, v20, v7, v9
	v_mov_b32_e32 v20, 0x7f
	v_and_b32_e32 v23, 0x7fffffff, v22
	s_delay_alu instid0(VALU_DEP_1)
	v_cmpx_gt_u32_e32 0x43f00000, v23
	s_cbranch_execz .LBB28_148
; %bb.143:                              ;   in Loop: Header=BB28_106 Depth=1
	s_mov_b32 s3, exec_lo
                                        ; implicit-def: $vgpr20
	v_cmpx_lt_u32_e32 0x3c7fffff, v23
	s_xor_b32 s3, exec_lo, s3
; %bb.144:                              ;   in Loop: Header=BB28_106 Depth=1
	v_bfe_u32 v20, v22, 20, 1
	s_delay_alu instid0(VALU_DEP_1) | instskip(NEXT) | instid1(VALU_DEP_1)
	v_add3_u32 v20, v22, v20, 0x407ffff
	v_lshrrev_b32_e32 v20, 20, v20
; %bb.145:                              ;   in Loop: Header=BB28_106 Depth=1
	s_and_not1_saveexec_b32 s3, s3
; %bb.146:                              ;   in Loop: Header=BB28_106 Depth=1
	v_add_f32_e64 v20, 0x46800000, |v22|
; %bb.147:                              ;   in Loop: Header=BB28_106 Depth=1
	s_or_b32 exec_lo, exec_lo, s3
.LBB28_148:                             ;   in Loop: Header=BB28_106 Depth=1
	s_delay_alu instid0(SALU_CYCLE_1) | instskip(SKIP_2) | instid1(VALU_DEP_1)
	s_or_b32 exec_lo, exec_lo, s0
	v_and_b32_e32 v3, 0xffff0000, v3
	s_mov_b32 s0, exec_lo
	v_div_scale_f32 v23, null, v8, v8, v3
	s_delay_alu instid0(VALU_DEP_1) | instskip(SKIP_2) | instid1(VALU_DEP_1)
	v_rcp_f32_e32 v24, v23
	s_waitcnt_depctr 0xfff
	v_fma_f32 v25, -v23, v24, 1.0
	v_fmac_f32_e32 v24, v25, v24
	v_div_scale_f32 v25, vcc_lo, v3, v8, v3
	s_delay_alu instid0(VALU_DEP_1) | instskip(NEXT) | instid1(VALU_DEP_1)
	v_mul_f32_e32 v26, v25, v24
	v_fma_f32 v27, -v23, v26, v25
	s_delay_alu instid0(VALU_DEP_1) | instskip(NEXT) | instid1(VALU_DEP_1)
	v_fmac_f32_e32 v26, v27, v24
	v_fma_f32 v23, -v23, v26, v25
	s_delay_alu instid0(VALU_DEP_1) | instskip(NEXT) | instid1(VALU_DEP_1)
	v_div_fmas_f32 v23, v23, v24, v26
	v_div_fixup_f32 v3, v23, v8, v3
	s_delay_alu instid0(VALU_DEP_1) | instskip(NEXT) | instid1(VALU_DEP_1)
	v_maxmin_f32 v3, v3, v7, v9
	v_and_b32_e32 v23, 0x7fffffff, v3
	s_delay_alu instid0(VALU_DEP_1)
	v_cmpx_gt_u32_e32 0x43f00000, v23
	s_cbranch_execz .LBB28_105
; %bb.149:                              ;   in Loop: Header=BB28_106 Depth=1
	s_mov_b32 s3, exec_lo
                                        ; implicit-def: $vgpr21
	v_cmpx_lt_u32_e32 0x3c7fffff, v23
	s_xor_b32 s3, exec_lo, s3
; %bb.150:                              ;   in Loop: Header=BB28_106 Depth=1
	v_bfe_u32 v21, v3, 20, 1
	s_delay_alu instid0(VALU_DEP_1) | instskip(NEXT) | instid1(VALU_DEP_1)
	v_add3_u32 v21, v3, v21, 0x407ffff
	v_lshrrev_b32_e32 v21, 20, v21
; %bb.151:                              ;   in Loop: Header=BB28_106 Depth=1
	s_and_not1_saveexec_b32 s3, s3
	s_cbranch_execz .LBB28_104
; %bb.152:                              ;   in Loop: Header=BB28_106 Depth=1
	v_add_f32_e64 v21, 0x46800000, |v3|
	s_branch .LBB28_104
.LBB28_153:
	s_nop 0
	s_sendmsg sendmsg(MSG_DEALLOC_VGPRS)
	s_endpgm
	.section	.rodata,"a",@progbits
	.p2align	6, 0x0
	.amdhsa_kernel _Z33per_token_group_quant_8bit_kernelIN3c108BFloat16ENS0_13Float8_e4m3fnELb1ELb1EfEvPKT_PvPT3_iiifffii
		.amdhsa_group_segment_fixed_size 0
		.amdhsa_private_segment_fixed_size 0
		.amdhsa_kernarg_size 56
		.amdhsa_user_sgpr_count 15
		.amdhsa_user_sgpr_dispatch_ptr 0
		.amdhsa_user_sgpr_queue_ptr 0
		.amdhsa_user_sgpr_kernarg_segment_ptr 1
		.amdhsa_user_sgpr_dispatch_id 0
		.amdhsa_user_sgpr_private_segment_size 0
		.amdhsa_wavefront_size32 1
		.amdhsa_uses_dynamic_stack 0
		.amdhsa_enable_private_segment 0
		.amdhsa_system_sgpr_workgroup_id_x 1
		.amdhsa_system_sgpr_workgroup_id_y 0
		.amdhsa_system_sgpr_workgroup_id_z 0
		.amdhsa_system_sgpr_workgroup_info 0
		.amdhsa_system_vgpr_workitem_id 0
		.amdhsa_next_free_vgpr 39
		.amdhsa_next_free_sgpr 17
		.amdhsa_reserve_vcc 1
		.amdhsa_float_round_mode_32 0
		.amdhsa_float_round_mode_16_64 0
		.amdhsa_float_denorm_mode_32 3
		.amdhsa_float_denorm_mode_16_64 3
		.amdhsa_dx10_clamp 1
		.amdhsa_ieee_mode 1
		.amdhsa_fp16_overflow 0
		.amdhsa_workgroup_processor_mode 1
		.amdhsa_memory_ordered 1
		.amdhsa_forward_progress 0
		.amdhsa_shared_vgpr_count 0
		.amdhsa_exception_fp_ieee_invalid_op 0
		.amdhsa_exception_fp_denorm_src 0
		.amdhsa_exception_fp_ieee_div_zero 0
		.amdhsa_exception_fp_ieee_overflow 0
		.amdhsa_exception_fp_ieee_underflow 0
		.amdhsa_exception_fp_ieee_inexact 0
		.amdhsa_exception_int_div_zero 0
	.end_amdhsa_kernel
	.section	.text._Z33per_token_group_quant_8bit_kernelIN3c108BFloat16ENS0_13Float8_e4m3fnELb1ELb1EfEvPKT_PvPT3_iiifffii,"axG",@progbits,_Z33per_token_group_quant_8bit_kernelIN3c108BFloat16ENS0_13Float8_e4m3fnELb1ELb1EfEvPKT_PvPT3_iiifffii,comdat
.Lfunc_end28:
	.size	_Z33per_token_group_quant_8bit_kernelIN3c108BFloat16ENS0_13Float8_e4m3fnELb1ELb1EfEvPKT_PvPT3_iiifffii, .Lfunc_end28-_Z33per_token_group_quant_8bit_kernelIN3c108BFloat16ENS0_13Float8_e4m3fnELb1ELb1EfEvPKT_PvPT3_iiifffii
                                        ; -- End function
	.section	.AMDGPU.csdata,"",@progbits
; Kernel info:
; codeLenInByte = 8632
; NumSgprs: 19
; NumVgprs: 39
; ScratchSize: 0
; MemoryBound: 0
; FloatMode: 240
; IeeeMode: 1
; LDSByteSize: 0 bytes/workgroup (compile time only)
; SGPRBlocks: 2
; VGPRBlocks: 4
; NumSGPRsForWavesPerEU: 19
; NumVGPRsForWavesPerEU: 39
; Occupancy: 16
; WaveLimiterHint : 0
; COMPUTE_PGM_RSRC2:SCRATCH_EN: 0
; COMPUTE_PGM_RSRC2:USER_SGPR: 15
; COMPUTE_PGM_RSRC2:TRAP_HANDLER: 0
; COMPUTE_PGM_RSRC2:TGID_X_EN: 1
; COMPUTE_PGM_RSRC2:TGID_Y_EN: 0
; COMPUTE_PGM_RSRC2:TGID_Z_EN: 0
; COMPUTE_PGM_RSRC2:TIDIG_COMP_CNT: 0
	.section	.text._Z33per_token_group_quant_8bit_kernelIN3c108BFloat16ENS0_13Float8_e4m3fnELb1ELb0EfEvPKT_PvPT3_iiifffii,"axG",@progbits,_Z33per_token_group_quant_8bit_kernelIN3c108BFloat16ENS0_13Float8_e4m3fnELb1ELb0EfEvPKT_PvPT3_iiifffii,comdat
	.protected	_Z33per_token_group_quant_8bit_kernelIN3c108BFloat16ENS0_13Float8_e4m3fnELb1ELb0EfEvPKT_PvPT3_iiifffii ; -- Begin function _Z33per_token_group_quant_8bit_kernelIN3c108BFloat16ENS0_13Float8_e4m3fnELb1ELb0EfEvPKT_PvPT3_iiifffii
	.globl	_Z33per_token_group_quant_8bit_kernelIN3c108BFloat16ENS0_13Float8_e4m3fnELb1ELb0EfEvPKT_PvPT3_iiifffii
	.p2align	8
	.type	_Z33per_token_group_quant_8bit_kernelIN3c108BFloat16ENS0_13Float8_e4m3fnELb1ELb0EfEvPKT_PvPT3_iiifffii,@function
_Z33per_token_group_quant_8bit_kernelIN3c108BFloat16ENS0_13Float8_e4m3fnELb1ELb0EfEvPKT_PvPT3_iiifffii: ; @_Z33per_token_group_quant_8bit_kernelIN3c108BFloat16ENS0_13Float8_e4m3fnELb1ELb0EfEvPKT_PvPT3_iiifffii
; %bb.0:
	s_clause 0x1
	s_load_b128 s[4:7], s[0:1], 0x20
	s_load_b32 s14, s[0:1], 0x18
	v_lshrrev_b32_e32 v3, 4, v0
	s_load_b64 s[8:9], s[0:1], 0x30
	v_and_b32_e32 v10, 15, v0
                                        ; implicit-def: $vgpr14
	s_waitcnt lgkmcnt(0)
	s_mul_i32 s15, s15, s4
	s_ashr_i32 s4, s14, 31
	v_add_co_u32 v12, s2, s15, v3
	s_delay_alu instid0(VALU_DEP_1) | instskip(SKIP_1) | instid1(VALU_DEP_2)
	v_add_co_ci_u32_e64 v13, null, 0, 0, s2
	s_load_b64 s[2:3], s[0:1], 0x0
	v_mul_lo_u32 v2, v12, s4
	v_mad_u64_u32 v[4:5], null, v12, s14, 0
	s_delay_alu instid0(VALU_DEP_3) | instskip(SKIP_2) | instid1(SALU_CYCLE_1)
	v_mul_lo_u32 v1, v13, s14
	v_mul_lo_u32 v11, v3, s14
	s_and_b32 s4, s14, 7
	s_cmp_eq_u32 s4, 0
	s_cselect_b32 s15, -1, 0
	s_cmp_lg_u32 s4, 0
	s_delay_alu instid0(VALU_DEP_2) | instskip(NEXT) | instid1(VALU_DEP_2)
	v_add3_u32 v5, v5, v2, v1
	v_lshl_add_u32 v3, v11, 1, 0
	s_cselect_b32 s4, -1, 0
	s_delay_alu instid0(VALU_DEP_2) | instskip(SKIP_1) | instid1(VALU_DEP_1)
	v_lshlrev_b64 v[1:2], 1, v[4:5]
	s_waitcnt lgkmcnt(0)
	v_add_co_u32 v6, vcc_lo, s2, v1
	v_mov_b32_e32 v9, 0
	s_delay_alu instid0(VALU_DEP_3) | instskip(NEXT) | instid1(VALU_DEP_3)
	v_add_co_ci_u32_e32 v7, vcc_lo, s3, v2, vcc_lo
	v_and_b32_e32 v8, 15, v6
	s_delay_alu instid0(VALU_DEP_1) | instskip(SKIP_1) | instid1(SALU_CYCLE_1)
	v_cmp_ne_u64_e32 vcc_lo, 0, v[8:9]
	s_or_b32 s4, s4, vcc_lo
	s_and_saveexec_b32 s10, s4
	s_delay_alu instid0(SALU_CYCLE_1)
	s_xor_b32 s4, exec_lo, s10
	s_cbranch_execz .LBB29_12
; %bb.1:
	v_sub_nc_u32_e32 v0, 0, v6
	v_mov_b32_e32 v14, s5
	s_mov_b32 s10, exec_lo
	s_delay_alu instid0(VALU_DEP_2) | instskip(NEXT) | instid1(VALU_DEP_1)
	v_bfe_u32 v0, v0, 1, 3
	v_min_i32_e32 v8, s14, v0
	s_delay_alu instid0(VALU_DEP_1)
	v_cmpx_gt_i32_e64 v8, v10
	s_cbranch_execz .LBB29_3
; %bb.2:
	v_lshlrev_b32_e32 v0, 1, v10
	v_max_f32_e64 v9, s5, s5
	s_delay_alu instid0(VALU_DEP_2)
	v_add_co_u32 v6, vcc_lo, v6, v0
	v_add_co_ci_u32_e32 v7, vcc_lo, 0, v7, vcc_lo
	v_add_nc_u32_e32 v0, v3, v0
	global_load_u16 v6, v[6:7], off
	s_waitcnt vmcnt(0)
	v_lshlrev_b32_e32 v7, 16, v6
	ds_store_b16 v0, v6
	v_max_f32_e64 v7, |v7|, |v7|
	s_delay_alu instid0(VALU_DEP_1)
	v_max_f32_e32 v14, v9, v7
.LBB29_3:
	s_or_b32 exec_lo, exec_lo, s10
	v_sub_nc_u32_e32 v15, s14, v8
	v_ashrrev_i32_e32 v9, 31, v8
	s_mov_b32 s10, exec_lo
	s_delay_alu instid0(VALU_DEP_2) | instskip(NEXT) | instid1(VALU_DEP_2)
	v_ashrrev_i32_e32 v0, 31, v15
	v_lshlrev_b64 v[6:7], 1, v[8:9]
	s_delay_alu instid0(VALU_DEP_2) | instskip(NEXT) | instid1(VALU_DEP_1)
	v_lshrrev_b32_e32 v0, 29, v0
	v_add_nc_u32_e32 v0, v15, v0
	s_delay_alu instid0(VALU_DEP_1) | instskip(SKIP_1) | instid1(VALU_DEP_2)
	v_ashrrev_i32_e32 v16, 3, v0
	v_lshlrev_b32_e32 v0, 1, v8
	v_cmpx_gt_i32_e64 v16, v10
	s_cbranch_execz .LBB29_7
; %bb.4:
	v_lshlrev_b32_e32 v8, 4, v10
	s_mov_b32 s11, 0
	s_delay_alu instid0(VALU_DEP_1) | instskip(SKIP_2) | instid1(VALU_DEP_3)
	v_add_co_u32 v9, vcc_lo, v1, v8
	v_add_co_ci_u32_e32 v17, vcc_lo, 0, v2, vcc_lo
	v_lshl_add_u32 v8, v11, 1, v8
	v_add_co_u32 v9, vcc_lo, v9, v6
	s_delay_alu instid0(VALU_DEP_3) | instskip(NEXT) | instid1(VALU_DEP_2)
	v_add_co_ci_u32_e32 v17, vcc_lo, v17, v7, vcc_lo
	v_add_co_u32 v9, vcc_lo, v9, s2
	s_delay_alu instid0(VALU_DEP_2) | instskip(SKIP_1) | instid1(VALU_DEP_3)
	v_add_co_ci_u32_e32 v18, vcc_lo, s3, v17, vcc_lo
	v_add3_u32 v17, v8, v0, 0
	v_add_co_u32 v8, vcc_lo, v9, 8
	s_delay_alu instid0(VALU_DEP_3)
	v_add_co_ci_u32_e32 v9, vcc_lo, 0, v18, vcc_lo
	v_mov_b32_e32 v18, v10
	s_set_inst_prefetch_distance 0x1
	.p2align	6
.LBB29_5:                               ; =>This Inner Loop Header: Depth=1
	global_load_b128 v[19:22], v[8:9], off offset:-8
	v_add_nc_u32_e32 v18, 16, v18
	v_add_co_u32 v8, vcc_lo, 0x100, v8
	v_add_co_ci_u32_e32 v9, vcc_lo, 0, v9, vcc_lo
	s_delay_alu instid0(VALU_DEP_3)
	v_cmp_ge_i32_e32 vcc_lo, v18, v16
	s_or_b32 s11, vcc_lo, s11
	s_waitcnt vmcnt(0)
	v_lshlrev_b32_e32 v23, 16, v19
	v_and_b32_e32 v24, 0xffff0000, v19
	v_lshlrev_b32_e32 v25, 16, v20
	v_and_b32_e32 v26, 0xffff0000, v20
	ds_store_b128 v17, v[19:22]
	v_add_nc_u32_e32 v17, 0x100, v17
	v_max3_f32 v14, v14, |v23|, |v24|
	v_lshlrev_b32_e32 v23, 16, v21
	v_and_b32_e32 v24, 0xffff0000, v21
	s_delay_alu instid0(VALU_DEP_3) | instskip(SKIP_2) | instid1(VALU_DEP_3)
	v_max3_f32 v14, v14, |v25|, |v26|
	v_lshlrev_b32_e32 v25, 16, v22
	v_and_b32_e32 v26, 0xffff0000, v22
	v_max3_f32 v14, v14, |v23|, |v24|
	s_delay_alu instid0(VALU_DEP_1)
	v_max3_f32 v14, v14, |v25|, |v26|
	s_and_not1_b32 exec_lo, exec_lo, s11
	s_cbranch_execnz .LBB29_5
; %bb.6:
	s_set_inst_prefetch_distance 0x2
	s_or_b32 exec_lo, exec_lo, s11
.LBB29_7:
	s_delay_alu instid0(SALU_CYCLE_1) | instskip(SKIP_2) | instid1(VALU_DEP_1)
	s_or_b32 exec_lo, exec_lo, s10
	v_lshl_add_u32 v8, v16, 3, v10
	s_mov_b32 s10, exec_lo
	v_cmpx_lt_i32_e64 v8, v15
	s_cbranch_execz .LBB29_11
; %bb.8:
	v_ashrrev_i32_e32 v9, 31, v8
	v_lshlrev_b32_e32 v19, 4, v16
	v_lshlrev_b32_e32 v18, 1, v11
	v_add_co_u32 v1, vcc_lo, v1, v6
	s_delay_alu instid0(VALU_DEP_4) | instskip(SKIP_4) | instid1(VALU_DEP_4)
	v_lshlrev_b64 v[16:17], 1, v[8:9]
	v_add_co_ci_u32_e32 v2, vcc_lo, v2, v7, vcc_lo
	v_lshlrev_b32_e32 v20, 1, v10
	v_add3_u32 v0, v18, v19, v0
	s_mov_b32 s11, 0
	v_add_co_u32 v1, vcc_lo, v1, v16
	v_add_co_ci_u32_e32 v6, vcc_lo, v2, v17, vcc_lo
	s_delay_alu instid0(VALU_DEP_3) | instskip(NEXT) | instid1(VALU_DEP_3)
	v_add3_u32 v2, v0, v20, 0
	v_add_co_u32 v0, vcc_lo, s2, v1
	s_delay_alu instid0(VALU_DEP_3)
	v_add_co_ci_u32_e32 v1, vcc_lo, s3, v6, vcc_lo
	.p2align	6
.LBB29_9:                               ; =>This Inner Loop Header: Depth=1
	global_load_u16 v6, v[0:1], off
	v_dual_max_f32 v7, v14, v14 :: v_dual_add_nc_u32 v8, 16, v8
	v_add_co_u32 v0, vcc_lo, v0, 32
	v_add_co_ci_u32_e32 v1, vcc_lo, 0, v1, vcc_lo
	s_delay_alu instid0(VALU_DEP_3)
	v_cmp_ge_i32_e32 vcc_lo, v8, v15
	s_or_b32 s11, vcc_lo, s11
	s_waitcnt vmcnt(0)
	v_lshlrev_b32_e32 v9, 16, v6
	ds_store_b16 v2, v6
	v_add_nc_u32_e32 v2, 32, v2
	v_max_f32_e64 v9, |v9|, |v9|
	s_delay_alu instid0(VALU_DEP_1)
	v_max_f32_e32 v14, v7, v9
	s_and_not1_b32 exec_lo, exec_lo, s11
	s_cbranch_execnz .LBB29_9
; %bb.10:
	s_or_b32 exec_lo, exec_lo, s11
.LBB29_11:
	s_delay_alu instid0(SALU_CYCLE_1)
	s_or_b32 exec_lo, exec_lo, s10
                                        ; implicit-def: $vgpr1_vgpr2
.LBB29_12:
	s_and_not1_saveexec_b32 s4, s4
	s_cbranch_execz .LBB29_18
; %bb.13:
	v_mov_b32_e32 v14, s5
	s_ashr_i32 s11, s14, 3
	s_mov_b32 s10, exec_lo
	v_cmpx_gt_i32_e64 s11, v10
	s_cbranch_execz .LBB29_17
; %bb.14:
	v_lshlrev_b32_e32 v0, 4, v10
	v_lshlrev_b32_e32 v6, 1, v11
	v_mov_b32_e32 v14, s5
	s_delay_alu instid0(VALU_DEP_3) | instskip(SKIP_1) | instid1(VALU_DEP_2)
	v_add_co_u32 v1, vcc_lo, v1, v0
	v_add_co_ci_u32_e32 v2, vcc_lo, 0, v2, vcc_lo
	v_add_co_u32 v1, vcc_lo, v1, s2
	s_delay_alu instid0(VALU_DEP_2) | instskip(SKIP_1) | instid1(VALU_DEP_3)
	v_add_co_ci_u32_e32 v7, vcc_lo, s3, v2, vcc_lo
	v_add3_u32 v2, v6, v0, 0
	v_add_co_u32 v0, vcc_lo, v1, 8
	s_delay_alu instid0(VALU_DEP_3)
	v_add_co_ci_u32_e32 v1, vcc_lo, 0, v7, vcc_lo
	v_mov_b32_e32 v6, v10
	s_mov_b32 s2, 0
	s_set_inst_prefetch_distance 0x1
	.p2align	6
.LBB29_15:                              ; =>This Inner Loop Header: Depth=1
	global_load_b128 v[15:18], v[0:1], off offset:-8
	v_add_nc_u32_e32 v6, 16, v6
	v_add_co_u32 v0, vcc_lo, 0x100, v0
	v_add_co_ci_u32_e32 v1, vcc_lo, 0, v1, vcc_lo
	s_delay_alu instid0(VALU_DEP_3)
	v_cmp_le_i32_e32 vcc_lo, s11, v6
	s_or_b32 s2, vcc_lo, s2
	s_waitcnt vmcnt(0)
	v_lshlrev_b32_e32 v7, 16, v15
	v_and_b32_e32 v8, 0xffff0000, v15
	v_lshlrev_b32_e32 v9, 16, v16
	v_and_b32_e32 v19, 0xffff0000, v16
	ds_store_b128 v2, v[15:18]
	v_add_nc_u32_e32 v2, 0x100, v2
	v_max3_f32 v7, v14, |v7|, |v8|
	v_lshlrev_b32_e32 v8, 16, v17
	v_and_b32_e32 v14, 0xffff0000, v17
	s_delay_alu instid0(VALU_DEP_3) | instskip(SKIP_2) | instid1(VALU_DEP_3)
	v_max3_f32 v7, v7, |v9|, |v19|
	v_lshlrev_b32_e32 v9, 16, v18
	v_and_b32_e32 v19, 0xffff0000, v18
	v_max3_f32 v7, v7, |v8|, |v14|
	s_delay_alu instid0(VALU_DEP_1)
	v_max3_f32 v14, v7, |v9|, |v19|
	s_and_not1_b32 exec_lo, exec_lo, s2
	s_cbranch_execnz .LBB29_15
; %bb.16:
	s_set_inst_prefetch_distance 0x2
	s_or_b32 exec_lo, exec_lo, s2
.LBB29_17:
	s_delay_alu instid0(SALU_CYCLE_1)
	s_or_b32 exec_lo, exec_lo, s10
.LBB29_18:
	s_delay_alu instid0(SALU_CYCLE_1) | instskip(SKIP_4) | instid1(VALU_DEP_2)
	s_or_b32 exec_lo, exec_lo, s4
	v_mbcnt_lo_u32_b32 v0, -1, 0
	v_max_f32_e32 v7, v14, v14
	s_load_b64 s[2:3], s[0:1], 0x8
	s_mov_b32 s16, exec_lo
	v_xor_b32_e32 v2, 8, v0
	v_and_b32_e32 v1, 16, v0
	v_xor_b32_e32 v6, 4, v0
	s_delay_alu instid0(VALU_DEP_2) | instskip(NEXT) | instid1(VALU_DEP_1)
	v_add_nc_u32_e32 v1, 16, v1
	v_cmp_lt_i32_e32 vcc_lo, v2, v1
	v_cndmask_b32_e32 v2, v0, v2, vcc_lo
	s_delay_alu instid0(VALU_DEP_4) | instskip(NEXT) | instid1(VALU_DEP_2)
	v_cmp_lt_i32_e32 vcc_lo, v6, v1
	v_lshlrev_b32_e32 v2, 2, v2
	v_cndmask_b32_e32 v6, v0, v6, vcc_lo
	ds_bpermute_b32 v2, v2, v14
	v_lshlrev_b32_e32 v6, 2, v6
	s_waitcnt lgkmcnt(0)
	v_max_f32_e32 v2, v2, v2
	s_delay_alu instid0(VALU_DEP_1)
	v_max_f32_e32 v2, v7, v2
	v_xor_b32_e32 v7, 2, v0
	ds_bpermute_b32 v6, v6, v2
	v_cmp_lt_i32_e32 vcc_lo, v7, v1
	v_cndmask_b32_e32 v7, v0, v7, vcc_lo
	s_waitcnt lgkmcnt(0)
	s_delay_alu instid0(VALU_DEP_1) | instskip(NEXT) | instid1(VALU_DEP_1)
	v_dual_max_f32 v6, v6, v6 :: v_dual_lshlrev_b32 v7, 2, v7
	v_max_f32_e32 v2, v2, v6
	ds_bpermute_b32 v6, v7, v2
	v_xor_b32_e32 v7, 1, v0
	s_delay_alu instid0(VALU_DEP_1) | instskip(SKIP_2) | instid1(VALU_DEP_1)
	v_cmp_lt_i32_e32 vcc_lo, v7, v1
	s_waitcnt lgkmcnt(0)
	v_dual_cndmask_b32 v0, v0, v7 :: v_dual_max_f32 v1, v6, v6
	v_dual_max_f32 v1, v2, v1 :: v_dual_lshlrev_b32 v0, 2, v0
	ds_bpermute_b32 v0, v0, v1
	s_waitcnt lgkmcnt(0)
	v_max_f32_e32 v0, v0, v0
	s_delay_alu instid0(VALU_DEP_1) | instskip(NEXT) | instid1(VALU_DEP_1)
	v_max_f32_e32 v0, v1, v0
	v_div_scale_f32 v1, null, s7, s7, v0
	v_div_scale_f32 v7, vcc_lo, v0, s7, v0
	s_delay_alu instid0(VALU_DEP_2) | instskip(SKIP_2) | instid1(VALU_DEP_1)
	v_rcp_f32_e32 v2, v1
	s_waitcnt_depctr 0xfff
	v_fma_f32 v6, -v1, v2, 1.0
	v_fmac_f32_e32 v2, v6, v2
	s_delay_alu instid0(VALU_DEP_1) | instskip(NEXT) | instid1(VALU_DEP_1)
	v_mul_f32_e32 v6, v7, v2
	v_fma_f32 v8, -v1, v6, v7
	s_delay_alu instid0(VALU_DEP_1) | instskip(NEXT) | instid1(VALU_DEP_1)
	v_fmac_f32_e32 v6, v8, v2
	v_fma_f32 v1, -v1, v6, v7
	s_delay_alu instid0(VALU_DEP_1) | instskip(NEXT) | instid1(VALU_DEP_1)
	v_div_fmas_f32 v1, v1, v2, v6
	v_div_fixup_f32 v8, v1, s7, v0
	v_cmpx_eq_u32_e32 0, v10
	s_cbranch_execz .LBB29_24
; %bb.19:
	s_load_b64 s[4:5], s[0:1], 0x10
	s_ashr_i32 s0, s8, 31
	v_mov_b32_e32 v0, 0
	v_or_b32_e32 v1, s0, v13
	s_mov_b32 s1, s8
	s_delay_alu instid0(VALU_DEP_1) | instskip(SKIP_1) | instid1(SALU_CYCLE_1)
	v_cmp_ne_u64_e32 vcc_lo, 0, v[0:1]
                                        ; implicit-def: $vgpr0_vgpr1
	s_and_saveexec_b32 s8, vcc_lo
	s_xor_b32 s8, exec_lo, s8
	s_cbranch_execz .LBB29_21
; %bb.20:
	s_add_u32 s12, s1, s0
	s_mov_b32 s10, s0
	s_mov_b32 s11, s0
	s_addc_u32 s13, s0, s0
	s_delay_alu instid0(SALU_CYCLE_1) | instskip(NEXT) | instid1(SALU_CYCLE_1)
	s_xor_b64 s[12:13], s[12:13], s[10:11]
	v_cvt_f32_u32_e32 v0, s12
	v_cvt_f32_u32_e32 v1, s13
	s_sub_u32 s0, 0, s12
	s_subb_u32 s11, 0, s13
	s_delay_alu instid0(VALU_DEP_1) | instskip(NEXT) | instid1(VALU_DEP_1)
	v_fmamk_f32 v0, v1, 0x4f800000, v0
	v_rcp_f32_e32 v0, v0
	s_waitcnt_depctr 0xfff
	v_mul_f32_e32 v0, 0x5f7ffffc, v0
	s_delay_alu instid0(VALU_DEP_1) | instskip(NEXT) | instid1(VALU_DEP_1)
	v_mul_f32_e32 v1, 0x2f800000, v0
	v_trunc_f32_e32 v1, v1
	s_delay_alu instid0(VALU_DEP_1) | instskip(SKIP_1) | instid1(VALU_DEP_2)
	v_fmamk_f32 v0, v1, 0xcf800000, v0
	v_cvt_u32_f32_e32 v1, v1
	v_cvt_u32_f32_e32 v0, v0
	s_delay_alu instid0(VALU_DEP_2) | instskip(NEXT) | instid1(VALU_DEP_2)
	v_mul_lo_u32 v2, s0, v1
	v_mul_hi_u32 v6, s0, v0
	v_mul_lo_u32 v7, s11, v0
	s_delay_alu instid0(VALU_DEP_2) | instskip(SKIP_1) | instid1(VALU_DEP_2)
	v_add_nc_u32_e32 v2, v6, v2
	v_mul_lo_u32 v6, s0, v0
	v_add_nc_u32_e32 v2, v2, v7
	s_delay_alu instid0(VALU_DEP_2) | instskip(NEXT) | instid1(VALU_DEP_2)
	v_mul_hi_u32 v7, v0, v6
	v_mul_lo_u32 v9, v0, v2
	v_mul_hi_u32 v14, v0, v2
	v_mul_hi_u32 v15, v1, v6
	v_mul_lo_u32 v6, v1, v6
	v_mul_hi_u32 v16, v1, v2
	v_mul_lo_u32 v2, v1, v2
	v_add_co_u32 v7, vcc_lo, v7, v9
	v_add_co_ci_u32_e32 v9, vcc_lo, 0, v14, vcc_lo
	s_delay_alu instid0(VALU_DEP_2) | instskip(NEXT) | instid1(VALU_DEP_2)
	v_add_co_u32 v6, vcc_lo, v7, v6
	v_add_co_ci_u32_e32 v6, vcc_lo, v9, v15, vcc_lo
	v_add_co_ci_u32_e32 v7, vcc_lo, 0, v16, vcc_lo
	s_delay_alu instid0(VALU_DEP_2) | instskip(NEXT) | instid1(VALU_DEP_2)
	v_add_co_u32 v2, vcc_lo, v6, v2
	v_add_co_ci_u32_e32 v6, vcc_lo, 0, v7, vcc_lo
	s_delay_alu instid0(VALU_DEP_2) | instskip(NEXT) | instid1(VALU_DEP_2)
	v_add_co_u32 v0, vcc_lo, v0, v2
	v_add_co_ci_u32_e32 v1, vcc_lo, v1, v6, vcc_lo
	s_delay_alu instid0(VALU_DEP_2) | instskip(SKIP_1) | instid1(VALU_DEP_3)
	v_mul_hi_u32 v2, s0, v0
	v_mul_lo_u32 v7, s11, v0
	v_mul_lo_u32 v6, s0, v1
	s_delay_alu instid0(VALU_DEP_1) | instskip(SKIP_1) | instid1(VALU_DEP_2)
	v_add_nc_u32_e32 v2, v2, v6
	v_mul_lo_u32 v6, s0, v0
	v_add_nc_u32_e32 v2, v2, v7
	s_delay_alu instid0(VALU_DEP_2) | instskip(NEXT) | instid1(VALU_DEP_2)
	v_mul_hi_u32 v7, v0, v6
	v_mul_lo_u32 v9, v0, v2
	v_mul_hi_u32 v14, v0, v2
	v_mul_hi_u32 v15, v1, v6
	v_mul_lo_u32 v6, v1, v6
	v_mul_hi_u32 v16, v1, v2
	v_mul_lo_u32 v2, v1, v2
	v_add_co_u32 v7, vcc_lo, v7, v9
	v_add_co_ci_u32_e32 v9, vcc_lo, 0, v14, vcc_lo
	s_delay_alu instid0(VALU_DEP_2) | instskip(NEXT) | instid1(VALU_DEP_2)
	v_add_co_u32 v6, vcc_lo, v7, v6
	v_add_co_ci_u32_e32 v6, vcc_lo, v9, v15, vcc_lo
	v_add_co_ci_u32_e32 v7, vcc_lo, 0, v16, vcc_lo
	s_delay_alu instid0(VALU_DEP_2) | instskip(NEXT) | instid1(VALU_DEP_2)
	v_add_co_u32 v2, vcc_lo, v6, v2
	v_add_co_ci_u32_e32 v6, vcc_lo, 0, v7, vcc_lo
	s_delay_alu instid0(VALU_DEP_2) | instskip(NEXT) | instid1(VALU_DEP_2)
	v_add_co_u32 v2, vcc_lo, v0, v2
	v_add_co_ci_u32_e32 v9, vcc_lo, v1, v6, vcc_lo
	s_delay_alu instid0(VALU_DEP_2) | instskip(SKIP_1) | instid1(VALU_DEP_3)
	v_mul_hi_u32 v16, v12, v2
	v_mad_u64_u32 v[6:7], null, v13, v2, 0
	v_mad_u64_u32 v[0:1], null, v12, v9, 0
	;; [unrolled: 1-line block ×3, first 2 shown]
	s_delay_alu instid0(VALU_DEP_2) | instskip(NEXT) | instid1(VALU_DEP_3)
	v_add_co_u32 v0, vcc_lo, v16, v0
	v_add_co_ci_u32_e32 v1, vcc_lo, 0, v1, vcc_lo
	s_delay_alu instid0(VALU_DEP_2) | instskip(NEXT) | instid1(VALU_DEP_2)
	v_add_co_u32 v0, vcc_lo, v0, v6
	v_add_co_ci_u32_e32 v0, vcc_lo, v1, v7, vcc_lo
	v_add_co_ci_u32_e32 v1, vcc_lo, 0, v15, vcc_lo
	s_delay_alu instid0(VALU_DEP_2) | instskip(NEXT) | instid1(VALU_DEP_2)
	v_add_co_u32 v2, vcc_lo, v0, v14
	v_add_co_ci_u32_e32 v6, vcc_lo, 0, v1, vcc_lo
	s_delay_alu instid0(VALU_DEP_2) | instskip(SKIP_1) | instid1(VALU_DEP_3)
	v_mul_lo_u32 v7, s13, v2
	v_mad_u64_u32 v[0:1], null, s12, v2, 0
	v_mul_lo_u32 v6, s12, v6
	s_delay_alu instid0(VALU_DEP_2) | instskip(NEXT) | instid1(VALU_DEP_2)
	v_sub_co_u32 v0, vcc_lo, v12, v0
	v_add3_u32 v1, v1, v6, v7
	v_add_co_u32 v7, s0, v2, 2
	s_delay_alu instid0(VALU_DEP_2) | instskip(NEXT) | instid1(VALU_DEP_1)
	v_sub_nc_u32_e32 v6, v13, v1
	v_subrev_co_ci_u32_e64 v6, s0, s13, v6, vcc_lo
	v_sub_co_u32 v9, s0, v0, s12
	v_sub_co_ci_u32_e32 v1, vcc_lo, v13, v1, vcc_lo
	s_delay_alu instid0(VALU_DEP_3) | instskip(NEXT) | instid1(VALU_DEP_3)
	v_subrev_co_ci_u32_e64 v6, s0, 0, v6, s0
	v_cmp_le_u32_e32 vcc_lo, s12, v9
	v_cndmask_b32_e64 v9, 0, -1, vcc_lo
	s_delay_alu instid0(VALU_DEP_3)
	v_cmp_le_u32_e32 vcc_lo, s13, v6
	v_cndmask_b32_e64 v13, 0, -1, vcc_lo
	v_cmp_le_u32_e32 vcc_lo, s12, v0
	v_cndmask_b32_e64 v0, 0, -1, vcc_lo
	;; [unrolled: 2-line block ×3, first 2 shown]
	v_cmp_eq_u32_e32 vcc_lo, s13, v6
	v_cndmask_b32_e32 v6, v13, v9, vcc_lo
	v_add_co_u32 v9, vcc_lo, v2, 1
	v_cmp_eq_u32_e32 vcc_lo, s13, v1
	v_cndmask_b32_e32 v0, v14, v0, vcc_lo
	s_delay_alu instid0(VALU_DEP_4) | instskip(NEXT) | instid1(VALU_DEP_4)
	v_cmp_ne_u32_e32 vcc_lo, 0, v6
	v_cndmask_b32_e32 v1, v9, v7, vcc_lo
	s_delay_alu instid0(VALU_DEP_3) | instskip(NEXT) | instid1(VALU_DEP_2)
	v_cmp_ne_u32_e32 vcc_lo, 0, v0
	v_cndmask_b32_e32 v0, v2, v1, vcc_lo
	s_delay_alu instid0(VALU_DEP_1) | instskip(NEXT) | instid1(VALU_DEP_1)
	v_xor_b32_e32 v0, s10, v0
	v_sub_co_u32 v0, vcc_lo, v0, s10
.LBB29_21:
	s_and_not1_saveexec_b32 s0, s8
	s_cbranch_execz .LBB29_23
; %bb.22:
	v_cvt_f32_u32_e32 v0, s1
	s_sub_i32 s8, 0, s1
	s_delay_alu instid0(VALU_DEP_1) | instskip(SKIP_2) | instid1(VALU_DEP_1)
	v_rcp_iflag_f32_e32 v0, v0
	s_waitcnt_depctr 0xfff
	v_mul_f32_e32 v0, 0x4f7ffffe, v0
	v_cvt_u32_f32_e32 v0, v0
	s_delay_alu instid0(VALU_DEP_1) | instskip(NEXT) | instid1(VALU_DEP_1)
	v_mul_lo_u32 v1, s8, v0
	v_mul_hi_u32 v1, v0, v1
	s_delay_alu instid0(VALU_DEP_1) | instskip(NEXT) | instid1(VALU_DEP_1)
	v_add_nc_u32_e32 v0, v0, v1
	v_mul_hi_u32 v0, v12, v0
	s_delay_alu instid0(VALU_DEP_1) | instskip(SKIP_1) | instid1(VALU_DEP_2)
	v_mul_lo_u32 v1, v0, s1
	v_add_nc_u32_e32 v2, 1, v0
	v_sub_nc_u32_e32 v1, v12, v1
	s_delay_alu instid0(VALU_DEP_1) | instskip(SKIP_1) | instid1(VALU_DEP_2)
	v_subrev_nc_u32_e32 v6, s1, v1
	v_cmp_le_u32_e32 vcc_lo, s1, v1
	v_cndmask_b32_e32 v1, v1, v6, vcc_lo
	v_cndmask_b32_e32 v0, v0, v2, vcc_lo
	s_delay_alu instid0(VALU_DEP_2) | instskip(NEXT) | instid1(VALU_DEP_2)
	v_cmp_le_u32_e32 vcc_lo, s1, v1
	v_add_nc_u32_e32 v2, 1, v0
	s_delay_alu instid0(VALU_DEP_1)
	v_cndmask_b32_e32 v0, v0, v2, vcc_lo
.LBB29_23:
	s_or_b32 exec_lo, exec_lo, s0
	s_delay_alu instid0(VALU_DEP_1) | instskip(NEXT) | instid1(VALU_DEP_1)
	v_mul_lo_u32 v1, v0, s1
	v_sub_nc_u32_e32 v6, v12, v1
	s_delay_alu instid0(VALU_DEP_1) | instskip(NEXT) | instid1(VALU_DEP_1)
	v_mad_u64_u32 v[1:2], null, v6, s9, v[0:1]
	v_ashrrev_i32_e32 v2, 31, v1
	s_delay_alu instid0(VALU_DEP_1) | instskip(SKIP_1) | instid1(VALU_DEP_1)
	v_lshlrev_b64 v[0:1], 2, v[1:2]
	s_waitcnt lgkmcnt(0)
	v_add_co_u32 v0, vcc_lo, s4, v0
	s_delay_alu instid0(VALU_DEP_2)
	v_add_co_ci_u32_e32 v1, vcc_lo, s5, v1, vcc_lo
	global_store_b32 v[0:1], v8, off
.LBB29_24:
	s_or_b32 exec_lo, exec_lo, s16
	v_dual_mov_b32 v1, 0 :: v_dual_and_b32 v0, 15, v3
	s_xor_b32 s0, s15, -1
	s_waitcnt_vscnt null, 0x0
	s_barrier
	buffer_gl0_inv
	v_cmp_ne_u64_e32 vcc_lo, 0, v[0:1]
	s_or_b32 s0, s0, vcc_lo
	s_delay_alu instid0(SALU_CYCLE_1) | instskip(NEXT) | instid1(SALU_CYCLE_1)
	s_and_saveexec_b32 s1, s0
	s_xor_b32 s4, exec_lo, s1
	s_cbranch_execz .LBB29_101
; %bb.25:
	v_sub_nc_u32_e32 v0, 0, v3
	v_add_co_u32 v15, vcc_lo, s2, v4
	v_add_co_ci_u32_e32 v16, vcc_lo, s3, v5, vcc_lo
	s_delay_alu instid0(VALU_DEP_3) | instskip(SKIP_1) | instid1(VALU_DEP_1)
	v_bfe_u32 v0, v0, 1, 3
	s_mov_b32 s0, exec_lo
	v_min_i32_e32 v12, s14, v0
	s_delay_alu instid0(VALU_DEP_1)
	v_cmpx_gt_i32_e64 v12, v10
	s_cbranch_execz .LBB29_33
; %bb.26:
	v_lshl_add_u32 v0, v10, 1, v3
	s_mov_b32 s1, exec_lo
	ds_load_u16 v0, v0
	s_waitcnt lgkmcnt(0)
	v_lshlrev_b32_e32 v0, 16, v0
	s_delay_alu instid0(VALU_DEP_1) | instskip(SKIP_1) | instid1(VALU_DEP_2)
	v_div_scale_f32 v1, null, v8, v8, v0
	v_div_scale_f32 v6, vcc_lo, v0, v8, v0
	v_rcp_f32_e32 v2, v1
	s_waitcnt_depctr 0xfff
	v_fma_f32 v3, -v1, v2, 1.0
	s_delay_alu instid0(VALU_DEP_1) | instskip(NEXT) | instid1(VALU_DEP_1)
	v_fmac_f32_e32 v2, v3, v2
	v_mul_f32_e32 v3, v6, v2
	s_delay_alu instid0(VALU_DEP_1) | instskip(NEXT) | instid1(VALU_DEP_1)
	v_fma_f32 v7, -v1, v3, v6
	v_fmac_f32_e32 v3, v7, v2
	s_delay_alu instid0(VALU_DEP_1) | instskip(NEXT) | instid1(VALU_DEP_1)
	v_fma_f32 v1, -v1, v3, v6
	v_div_fmas_f32 v1, v1, v2, v3
	v_max_f32_e64 v2, s6, s6
	v_max_f32_e64 v3, s7, s7
	s_delay_alu instid0(VALU_DEP_3) | instskip(SKIP_1) | instid1(VALU_DEP_2)
	v_div_fixup_f32 v0, v1, v8, v0
	v_mov_b32_e32 v1, 0x7f
	v_maxmin_f32 v0, v0, v2, v3
	s_delay_alu instid0(VALU_DEP_1) | instskip(NEXT) | instid1(VALU_DEP_1)
	v_and_b32_e32 v2, 0x7fffffff, v0
	v_cmpx_gt_u32_e32 0x43f00000, v2
	s_cbranch_execz .LBB29_32
; %bb.27:
	s_mov_b32 s5, exec_lo
                                        ; implicit-def: $vgpr1
	v_cmpx_lt_u32_e32 0x3c7fffff, v2
	s_xor_b32 s5, exec_lo, s5
; %bb.28:
	v_bfe_u32 v1, v0, 20, 1
	s_delay_alu instid0(VALU_DEP_1) | instskip(NEXT) | instid1(VALU_DEP_1)
	v_add3_u32 v1, v0, v1, 0x407ffff
	v_lshrrev_b32_e32 v1, 20, v1
; %bb.29:
	s_and_not1_saveexec_b32 s5, s5
; %bb.30:
	v_add_f32_e64 v1, 0x46800000, |v0|
; %bb.31:
	s_or_b32 exec_lo, exec_lo, s5
.LBB29_32:
	s_delay_alu instid0(SALU_CYCLE_1) | instskip(SKIP_3) | instid1(VALU_DEP_3)
	s_or_b32 exec_lo, exec_lo, s1
	v_lshrrev_b32_e32 v0, 24, v0
	v_add_co_u32 v2, vcc_lo, v15, v10
	v_add_co_ci_u32_e32 v3, vcc_lo, 0, v16, vcc_lo
	v_and_or_b32 v0, 0x80, v0, v1
	global_store_b8 v[2:3], v0, off
.LBB29_33:
	s_or_b32 exec_lo, exec_lo, s0
	v_sub_nc_u32_e32 v9, s14, v12
	v_ashrrev_i32_e32 v13, 31, v12
	v_lshlrev_b32_e32 v14, 1, v12
	s_mov_b32 s1, exec_lo
	s_delay_alu instid0(VALU_DEP_3) | instskip(NEXT) | instid1(VALU_DEP_1)
	v_ashrrev_i32_e32 v0, 31, v9
	v_lshrrev_b32_e32 v0, 29, v0
	s_delay_alu instid0(VALU_DEP_1) | instskip(NEXT) | instid1(VALU_DEP_1)
	v_add_nc_u32_e32 v0, v9, v0
	v_ashrrev_i32_e32 v17, 3, v0
	s_delay_alu instid0(VALU_DEP_1)
	v_cmpx_gt_i32_e64 v17, v10
	s_cbranch_execz .LBB29_84
; %bb.34:
	v_dual_mov_b32 v21, v10 :: v_dual_lshlrev_b32 v0, 4, v10
	v_lshlrev_b32_e32 v1, 3, v10
	v_add_co_u32 v2, vcc_lo, v12, v4
	v_add_co_ci_u32_e32 v3, vcc_lo, v13, v5, vcc_lo
	s_delay_alu instid0(VALU_DEP_4) | instskip(SKIP_1) | instid1(VALU_DEP_4)
	v_lshl_add_u32 v0, v11, 1, v0
	v_lshlrev_b32_e32 v6, 1, v12
	v_add_co_u32 v1, vcc_lo, v2, v1
	s_delay_alu instid0(VALU_DEP_4) | instskip(NEXT) | instid1(VALU_DEP_3)
	v_add_co_ci_u32_e32 v2, vcc_lo, 0, v3, vcc_lo
	v_add3_u32 v18, v0, v6, 0
	s_delay_alu instid0(VALU_DEP_3) | instskip(NEXT) | instid1(VALU_DEP_3)
	v_add_co_u32 v6, vcc_lo, s2, v1
	v_add_co_ci_u32_e32 v7, vcc_lo, s3, v2, vcc_lo
	v_max_f32_e64 v19, s6, s6
	v_max_f32_e64 v20, s7, s7
	s_mov_b32 s5, 0
	s_branch .LBB29_37
.LBB29_35:                              ;   in Loop: Header=BB29_37 Depth=1
	s_or_b32 exec_lo, exec_lo, s8
.LBB29_36:                              ;   in Loop: Header=BB29_37 Depth=1
	s_delay_alu instid0(SALU_CYCLE_1)
	s_or_b32 exec_lo, exec_lo, s0
	v_lshrrev_b32_e32 v33, 24, v33
	v_lshrrev_b32_e32 v27, 24, v27
	;; [unrolled: 1-line block ×5, first 2 shown]
	v_and_b32_e32 v33, 0x80, v33
	v_and_b32_e32 v27, 0x80, v27
	v_lshrrev_b32_e32 v30, 24, v30
	v_and_b32_e32 v2, 0x80, v2
	v_lshrrev_b32_e32 v24, 24, v24
	v_and_or_b32 v3, 0x80, v3, v32
	v_and_or_b32 v31, 0xff, v31, v33
	v_and_b32_e32 v0, 0x80, v0
	v_and_or_b32 v26, 0xff, v26, v27
	v_and_b32_e32 v30, 0x80, v30
	v_and_b32_e32 v24, 0x80, v24
	v_lshlrev_b32_e32 v3, 24, v3
	v_lshlrev_b32_e32 v31, 16, v31
	v_and_or_b32 v2, 0xff, v29, v2
	v_lshlrev_b32_e32 v25, 24, v25
	v_and_b32_e32 v1, 0x80000000, v1
	v_and_or_b32 v0, 0xff, v23, v0
	v_lshlrev_b32_e32 v23, 16, v26
	v_or_b32_e32 v3, v3, v31
	v_lshlrev_b32_e32 v2, 8, v2
	v_and_or_b32 v26, 0xff, v28, v30
	v_lshlrev_b32_e32 v0, 8, v0
	v_or3_b32 v23, v25, v1, v23
	v_and_or_b32 v22, 0xff, v22, v24
	v_add_nc_u32_e32 v21, 16, v21
	v_or3_b32 v1, v3, v2, v26
	v_add_nc_u32_e32 v18, 0x100, v18
	s_delay_alu instid0(VALU_DEP_4) | instskip(NEXT) | instid1(VALU_DEP_4)
	v_or3_b32 v0, v23, v0, v22
	v_cmp_ge_i32_e32 vcc_lo, v21, v17
	global_store_b64 v[6:7], v[0:1], off
	v_add_co_u32 v6, s0, 0x80, v6
	s_delay_alu instid0(VALU_DEP_1) | instskip(SKIP_1) | instid1(SALU_CYCLE_1)
	v_add_co_ci_u32_e64 v7, s0, 0, v7, s0
	s_or_b32 s5, vcc_lo, s5
	s_and_not1_b32 exec_lo, exec_lo, s5
	s_cbranch_execz .LBB29_84
.LBB29_37:                              ; =>This Inner Loop Header: Depth=1
	ds_load_b128 v[0:3], v18
	s_mov_b32 s0, exec_lo
	s_waitcnt lgkmcnt(0)
	v_lshlrev_b32_e32 v22, 16, v0
	s_delay_alu instid0(VALU_DEP_1) | instskip(SKIP_1) | instid1(VALU_DEP_2)
	v_div_scale_f32 v23, null, v8, v8, v22
	v_div_scale_f32 v26, vcc_lo, v22, v8, v22
	v_rcp_f32_e32 v24, v23
	s_waitcnt_depctr 0xfff
	v_fma_f32 v25, -v23, v24, 1.0
	s_delay_alu instid0(VALU_DEP_1) | instskip(NEXT) | instid1(VALU_DEP_1)
	v_fmac_f32_e32 v24, v25, v24
	v_mul_f32_e32 v25, v26, v24
	s_delay_alu instid0(VALU_DEP_1) | instskip(NEXT) | instid1(VALU_DEP_1)
	v_fma_f32 v27, -v23, v25, v26
	v_fmac_f32_e32 v25, v27, v24
	s_delay_alu instid0(VALU_DEP_1) | instskip(NEXT) | instid1(VALU_DEP_1)
	v_fma_f32 v23, -v23, v25, v26
	v_div_fmas_f32 v23, v23, v24, v25
	s_delay_alu instid0(VALU_DEP_1) | instskip(SKIP_1) | instid1(VALU_DEP_2)
	v_div_fixup_f32 v22, v23, v8, v22
	v_mov_b32_e32 v23, 0x7f
	v_maxmin_f32 v24, v22, v19, v20
	v_mov_b32_e32 v22, 0x7f
	s_delay_alu instid0(VALU_DEP_2) | instskip(NEXT) | instid1(VALU_DEP_1)
	v_and_b32_e32 v25, 0x7fffffff, v24
	v_cmpx_gt_u32_e32 0x43f00000, v25
	s_cbranch_execz .LBB29_43
; %bb.38:                               ;   in Loop: Header=BB29_37 Depth=1
	s_mov_b32 s8, exec_lo
                                        ; implicit-def: $vgpr22
	v_cmpx_lt_u32_e32 0x3c7fffff, v25
	s_xor_b32 s8, exec_lo, s8
; %bb.39:                               ;   in Loop: Header=BB29_37 Depth=1
	v_bfe_u32 v22, v24, 20, 1
	s_delay_alu instid0(VALU_DEP_1) | instskip(NEXT) | instid1(VALU_DEP_1)
	v_add3_u32 v22, v24, v22, 0x407ffff
	v_lshrrev_b32_e32 v22, 20, v22
; %bb.40:                               ;   in Loop: Header=BB29_37 Depth=1
	s_and_not1_saveexec_b32 s8, s8
; %bb.41:                               ;   in Loop: Header=BB29_37 Depth=1
	v_add_f32_e64 v22, 0x46800000, |v24|
; %bb.42:                               ;   in Loop: Header=BB29_37 Depth=1
	s_or_b32 exec_lo, exec_lo, s8
.LBB29_43:                              ;   in Loop: Header=BB29_37 Depth=1
	s_delay_alu instid0(SALU_CYCLE_1) | instskip(SKIP_2) | instid1(VALU_DEP_1)
	s_or_b32 exec_lo, exec_lo, s0
	v_and_b32_e32 v0, 0xffff0000, v0
	s_mov_b32 s0, exec_lo
	v_div_scale_f32 v25, null, v8, v8, v0
	s_delay_alu instid0(VALU_DEP_1) | instskip(SKIP_2) | instid1(VALU_DEP_1)
	v_rcp_f32_e32 v26, v25
	s_waitcnt_depctr 0xfff
	v_fma_f32 v27, -v25, v26, 1.0
	v_fmac_f32_e32 v26, v27, v26
	v_div_scale_f32 v27, vcc_lo, v0, v8, v0
	s_delay_alu instid0(VALU_DEP_1) | instskip(NEXT) | instid1(VALU_DEP_1)
	v_mul_f32_e32 v28, v27, v26
	v_fma_f32 v29, -v25, v28, v27
	s_delay_alu instid0(VALU_DEP_1) | instskip(NEXT) | instid1(VALU_DEP_1)
	v_fmac_f32_e32 v28, v29, v26
	v_fma_f32 v25, -v25, v28, v27
	s_delay_alu instid0(VALU_DEP_1) | instskip(NEXT) | instid1(VALU_DEP_1)
	v_div_fmas_f32 v25, v25, v26, v28
	v_div_fixup_f32 v0, v25, v8, v0
	s_delay_alu instid0(VALU_DEP_1) | instskip(NEXT) | instid1(VALU_DEP_1)
	v_maxmin_f32 v0, v0, v19, v20
	v_and_b32_e32 v25, 0x7fffffff, v0
	s_delay_alu instid0(VALU_DEP_1)
	v_cmpx_gt_u32_e32 0x43f00000, v25
	s_cbranch_execz .LBB29_49
; %bb.44:                               ;   in Loop: Header=BB29_37 Depth=1
	s_mov_b32 s8, exec_lo
                                        ; implicit-def: $vgpr23
	v_cmpx_lt_u32_e32 0x3c7fffff, v25
	s_xor_b32 s8, exec_lo, s8
; %bb.45:                               ;   in Loop: Header=BB29_37 Depth=1
	v_bfe_u32 v23, v0, 20, 1
	s_delay_alu instid0(VALU_DEP_1) | instskip(NEXT) | instid1(VALU_DEP_1)
	v_add3_u32 v23, v0, v23, 0x407ffff
	v_lshrrev_b32_e32 v23, 20, v23
; %bb.46:                               ;   in Loop: Header=BB29_37 Depth=1
	s_and_not1_saveexec_b32 s8, s8
; %bb.47:                               ;   in Loop: Header=BB29_37 Depth=1
	v_add_f32_e64 v23, 0x46800000, |v0|
; %bb.48:                               ;   in Loop: Header=BB29_37 Depth=1
	s_or_b32 exec_lo, exec_lo, s8
.LBB29_49:                              ;   in Loop: Header=BB29_37 Depth=1
	s_delay_alu instid0(SALU_CYCLE_1) | instskip(SKIP_2) | instid1(VALU_DEP_1)
	s_or_b32 exec_lo, exec_lo, s0
	v_lshlrev_b32_e32 v25, 16, v1
	s_mov_b32 s0, exec_lo
	v_div_scale_f32 v26, null, v8, v8, v25
	v_div_scale_f32 v29, vcc_lo, v25, v8, v25
	s_delay_alu instid0(VALU_DEP_2) | instskip(SKIP_2) | instid1(VALU_DEP_1)
	v_rcp_f32_e32 v27, v26
	s_waitcnt_depctr 0xfff
	v_fma_f32 v28, -v26, v27, 1.0
	v_fmac_f32_e32 v27, v28, v27
	s_delay_alu instid0(VALU_DEP_1) | instskip(NEXT) | instid1(VALU_DEP_1)
	v_mul_f32_e32 v28, v29, v27
	v_fma_f32 v30, -v26, v28, v29
	s_delay_alu instid0(VALU_DEP_1) | instskip(NEXT) | instid1(VALU_DEP_1)
	v_fmac_f32_e32 v28, v30, v27
	v_fma_f32 v26, -v26, v28, v29
	s_delay_alu instid0(VALU_DEP_1) | instskip(NEXT) | instid1(VALU_DEP_1)
	v_div_fmas_f32 v26, v26, v27, v28
	v_div_fixup_f32 v25, v26, v8, v25
	v_mov_b32_e32 v26, 0x7f
	s_delay_alu instid0(VALU_DEP_2) | instskip(SKIP_1) | instid1(VALU_DEP_2)
	v_maxmin_f32 v27, v25, v19, v20
	v_mov_b32_e32 v25, 0x7f
	v_and_b32_e32 v28, 0x7fffffff, v27
	s_delay_alu instid0(VALU_DEP_1)
	v_cmpx_gt_u32_e32 0x43f00000, v28
	s_cbranch_execz .LBB29_55
; %bb.50:                               ;   in Loop: Header=BB29_37 Depth=1
	s_mov_b32 s8, exec_lo
                                        ; implicit-def: $vgpr26
	v_cmpx_lt_u32_e32 0x3c7fffff, v28
	s_xor_b32 s8, exec_lo, s8
; %bb.51:                               ;   in Loop: Header=BB29_37 Depth=1
	v_bfe_u32 v26, v27, 20, 1
	s_delay_alu instid0(VALU_DEP_1) | instskip(NEXT) | instid1(VALU_DEP_1)
	v_add3_u32 v26, v27, v26, 0x407ffff
	v_lshrrev_b32_e32 v26, 20, v26
; %bb.52:                               ;   in Loop: Header=BB29_37 Depth=1
	s_and_not1_saveexec_b32 s8, s8
; %bb.53:                               ;   in Loop: Header=BB29_37 Depth=1
	v_add_f32_e64 v26, 0x46800000, |v27|
; %bb.54:                               ;   in Loop: Header=BB29_37 Depth=1
	s_or_b32 exec_lo, exec_lo, s8
.LBB29_55:                              ;   in Loop: Header=BB29_37 Depth=1
	s_delay_alu instid0(SALU_CYCLE_1) | instskip(SKIP_2) | instid1(VALU_DEP_1)
	s_or_b32 exec_lo, exec_lo, s0
	v_and_b32_e32 v1, 0xffff0000, v1
	s_mov_b32 s0, exec_lo
	v_div_scale_f32 v28, null, v8, v8, v1
	s_delay_alu instid0(VALU_DEP_1) | instskip(SKIP_2) | instid1(VALU_DEP_1)
	v_rcp_f32_e32 v29, v28
	s_waitcnt_depctr 0xfff
	v_fma_f32 v30, -v28, v29, 1.0
	v_fmac_f32_e32 v29, v30, v29
	v_div_scale_f32 v30, vcc_lo, v1, v8, v1
	s_delay_alu instid0(VALU_DEP_1) | instskip(NEXT) | instid1(VALU_DEP_1)
	v_mul_f32_e32 v31, v30, v29
	v_fma_f32 v32, -v28, v31, v30
	s_delay_alu instid0(VALU_DEP_1) | instskip(NEXT) | instid1(VALU_DEP_1)
	v_fmac_f32_e32 v31, v32, v29
	v_fma_f32 v28, -v28, v31, v30
	s_delay_alu instid0(VALU_DEP_1) | instskip(NEXT) | instid1(VALU_DEP_1)
	v_div_fmas_f32 v28, v28, v29, v31
	v_div_fixup_f32 v1, v28, v8, v1
	s_delay_alu instid0(VALU_DEP_1) | instskip(NEXT) | instid1(VALU_DEP_1)
	v_maxmin_f32 v1, v1, v19, v20
	v_and_b32_e32 v28, 0x7fffffff, v1
	s_delay_alu instid0(VALU_DEP_1)
	v_cmpx_gt_u32_e32 0x43f00000, v28
	s_cbranch_execz .LBB29_61
; %bb.56:                               ;   in Loop: Header=BB29_37 Depth=1
	s_mov_b32 s8, exec_lo
                                        ; implicit-def: $vgpr25
	v_cmpx_lt_u32_e32 0x3c7fffff, v28
	s_xor_b32 s8, exec_lo, s8
; %bb.57:                               ;   in Loop: Header=BB29_37 Depth=1
	v_bfe_u32 v25, v1, 20, 1
	s_delay_alu instid0(VALU_DEP_1) | instskip(NEXT) | instid1(VALU_DEP_1)
	v_add3_u32 v25, v1, v25, 0x407ffff
	v_lshrrev_b32_e32 v25, 20, v25
; %bb.58:                               ;   in Loop: Header=BB29_37 Depth=1
	s_and_not1_saveexec_b32 s8, s8
; %bb.59:                               ;   in Loop: Header=BB29_37 Depth=1
	v_add_f32_e64 v25, 0x46800000, |v1|
; %bb.60:                               ;   in Loop: Header=BB29_37 Depth=1
	s_or_b32 exec_lo, exec_lo, s8
.LBB29_61:                              ;   in Loop: Header=BB29_37 Depth=1
	s_delay_alu instid0(SALU_CYCLE_1) | instskip(SKIP_2) | instid1(VALU_DEP_1)
	s_or_b32 exec_lo, exec_lo, s0
	v_lshlrev_b32_e32 v28, 16, v2
	s_mov_b32 s0, exec_lo
	v_div_scale_f32 v29, null, v8, v8, v28
	v_div_scale_f32 v32, vcc_lo, v28, v8, v28
	s_delay_alu instid0(VALU_DEP_2) | instskip(SKIP_2) | instid1(VALU_DEP_1)
	v_rcp_f32_e32 v30, v29
	s_waitcnt_depctr 0xfff
	v_fma_f32 v31, -v29, v30, 1.0
	v_fmac_f32_e32 v30, v31, v30
	s_delay_alu instid0(VALU_DEP_1) | instskip(NEXT) | instid1(VALU_DEP_1)
	v_mul_f32_e32 v31, v32, v30
	v_fma_f32 v33, -v29, v31, v32
	s_delay_alu instid0(VALU_DEP_1) | instskip(NEXT) | instid1(VALU_DEP_1)
	v_fmac_f32_e32 v31, v33, v30
	v_fma_f32 v29, -v29, v31, v32
	s_delay_alu instid0(VALU_DEP_1) | instskip(NEXT) | instid1(VALU_DEP_1)
	v_div_fmas_f32 v29, v29, v30, v31
	v_div_fixup_f32 v28, v29, v8, v28
	v_mov_b32_e32 v29, 0x7f
	s_delay_alu instid0(VALU_DEP_2) | instskip(SKIP_1) | instid1(VALU_DEP_2)
	v_maxmin_f32 v30, v28, v19, v20
	v_mov_b32_e32 v28, 0x7f
	v_and_b32_e32 v31, 0x7fffffff, v30
	s_delay_alu instid0(VALU_DEP_1)
	v_cmpx_gt_u32_e32 0x43f00000, v31
	s_cbranch_execz .LBB29_67
; %bb.62:                               ;   in Loop: Header=BB29_37 Depth=1
	s_mov_b32 s8, exec_lo
                                        ; implicit-def: $vgpr28
	v_cmpx_lt_u32_e32 0x3c7fffff, v31
	s_xor_b32 s8, exec_lo, s8
; %bb.63:                               ;   in Loop: Header=BB29_37 Depth=1
	v_bfe_u32 v28, v30, 20, 1
	s_delay_alu instid0(VALU_DEP_1) | instskip(NEXT) | instid1(VALU_DEP_1)
	v_add3_u32 v28, v30, v28, 0x407ffff
	v_lshrrev_b32_e32 v28, 20, v28
; %bb.64:                               ;   in Loop: Header=BB29_37 Depth=1
	s_and_not1_saveexec_b32 s8, s8
; %bb.65:                               ;   in Loop: Header=BB29_37 Depth=1
	v_add_f32_e64 v28, 0x46800000, |v30|
; %bb.66:                               ;   in Loop: Header=BB29_37 Depth=1
	s_or_b32 exec_lo, exec_lo, s8
.LBB29_67:                              ;   in Loop: Header=BB29_37 Depth=1
	s_delay_alu instid0(SALU_CYCLE_1) | instskip(SKIP_2) | instid1(VALU_DEP_1)
	s_or_b32 exec_lo, exec_lo, s0
	v_and_b32_e32 v2, 0xffff0000, v2
	s_mov_b32 s0, exec_lo
	v_div_scale_f32 v31, null, v8, v8, v2
	s_delay_alu instid0(VALU_DEP_1) | instskip(SKIP_2) | instid1(VALU_DEP_1)
	v_rcp_f32_e32 v32, v31
	s_waitcnt_depctr 0xfff
	v_fma_f32 v33, -v31, v32, 1.0
	v_fmac_f32_e32 v32, v33, v32
	v_div_scale_f32 v33, vcc_lo, v2, v8, v2
	s_delay_alu instid0(VALU_DEP_1) | instskip(NEXT) | instid1(VALU_DEP_1)
	v_mul_f32_e32 v34, v33, v32
	v_fma_f32 v35, -v31, v34, v33
	s_delay_alu instid0(VALU_DEP_1) | instskip(NEXT) | instid1(VALU_DEP_1)
	v_fmac_f32_e32 v34, v35, v32
	v_fma_f32 v31, -v31, v34, v33
	s_delay_alu instid0(VALU_DEP_1) | instskip(NEXT) | instid1(VALU_DEP_1)
	v_div_fmas_f32 v31, v31, v32, v34
	v_div_fixup_f32 v2, v31, v8, v2
	s_delay_alu instid0(VALU_DEP_1) | instskip(NEXT) | instid1(VALU_DEP_1)
	v_maxmin_f32 v2, v2, v19, v20
	v_and_b32_e32 v31, 0x7fffffff, v2
	s_delay_alu instid0(VALU_DEP_1)
	v_cmpx_gt_u32_e32 0x43f00000, v31
	s_cbranch_execz .LBB29_73
; %bb.68:                               ;   in Loop: Header=BB29_37 Depth=1
	s_mov_b32 s8, exec_lo
                                        ; implicit-def: $vgpr29
	v_cmpx_lt_u32_e32 0x3c7fffff, v31
	s_xor_b32 s8, exec_lo, s8
; %bb.69:                               ;   in Loop: Header=BB29_37 Depth=1
	v_bfe_u32 v29, v2, 20, 1
	s_delay_alu instid0(VALU_DEP_1) | instskip(NEXT) | instid1(VALU_DEP_1)
	v_add3_u32 v29, v2, v29, 0x407ffff
	v_lshrrev_b32_e32 v29, 20, v29
; %bb.70:                               ;   in Loop: Header=BB29_37 Depth=1
	s_and_not1_saveexec_b32 s8, s8
; %bb.71:                               ;   in Loop: Header=BB29_37 Depth=1
	v_add_f32_e64 v29, 0x46800000, |v2|
; %bb.72:                               ;   in Loop: Header=BB29_37 Depth=1
	s_or_b32 exec_lo, exec_lo, s8
.LBB29_73:                              ;   in Loop: Header=BB29_37 Depth=1
	s_delay_alu instid0(SALU_CYCLE_1) | instskip(SKIP_2) | instid1(VALU_DEP_1)
	s_or_b32 exec_lo, exec_lo, s0
	v_lshlrev_b32_e32 v31, 16, v3
	s_mov_b32 s0, exec_lo
	v_div_scale_f32 v32, null, v8, v8, v31
	v_div_scale_f32 v35, vcc_lo, v31, v8, v31
	s_delay_alu instid0(VALU_DEP_2) | instskip(SKIP_2) | instid1(VALU_DEP_1)
	v_rcp_f32_e32 v33, v32
	s_waitcnt_depctr 0xfff
	v_fma_f32 v34, -v32, v33, 1.0
	v_fmac_f32_e32 v33, v34, v33
	s_delay_alu instid0(VALU_DEP_1) | instskip(NEXT) | instid1(VALU_DEP_1)
	v_mul_f32_e32 v34, v35, v33
	v_fma_f32 v36, -v32, v34, v35
	s_delay_alu instid0(VALU_DEP_1) | instskip(NEXT) | instid1(VALU_DEP_1)
	v_fmac_f32_e32 v34, v36, v33
	v_fma_f32 v32, -v32, v34, v35
	s_delay_alu instid0(VALU_DEP_1) | instskip(NEXT) | instid1(VALU_DEP_1)
	v_div_fmas_f32 v32, v32, v33, v34
	v_div_fixup_f32 v31, v32, v8, v31
	v_mov_b32_e32 v32, 0x7f
	s_delay_alu instid0(VALU_DEP_2) | instskip(SKIP_1) | instid1(VALU_DEP_2)
	v_maxmin_f32 v33, v31, v19, v20
	v_mov_b32_e32 v31, 0x7f
	v_and_b32_e32 v34, 0x7fffffff, v33
	s_delay_alu instid0(VALU_DEP_1)
	v_cmpx_gt_u32_e32 0x43f00000, v34
	s_cbranch_execz .LBB29_79
; %bb.74:                               ;   in Loop: Header=BB29_37 Depth=1
	s_mov_b32 s8, exec_lo
                                        ; implicit-def: $vgpr31
	v_cmpx_lt_u32_e32 0x3c7fffff, v34
	s_xor_b32 s8, exec_lo, s8
; %bb.75:                               ;   in Loop: Header=BB29_37 Depth=1
	v_bfe_u32 v31, v33, 20, 1
	s_delay_alu instid0(VALU_DEP_1) | instskip(NEXT) | instid1(VALU_DEP_1)
	v_add3_u32 v31, v33, v31, 0x407ffff
	v_lshrrev_b32_e32 v31, 20, v31
; %bb.76:                               ;   in Loop: Header=BB29_37 Depth=1
	s_and_not1_saveexec_b32 s8, s8
; %bb.77:                               ;   in Loop: Header=BB29_37 Depth=1
	v_add_f32_e64 v31, 0x46800000, |v33|
; %bb.78:                               ;   in Loop: Header=BB29_37 Depth=1
	s_or_b32 exec_lo, exec_lo, s8
.LBB29_79:                              ;   in Loop: Header=BB29_37 Depth=1
	s_delay_alu instid0(SALU_CYCLE_1) | instskip(SKIP_2) | instid1(VALU_DEP_1)
	s_or_b32 exec_lo, exec_lo, s0
	v_and_b32_e32 v3, 0xffff0000, v3
	s_mov_b32 s0, exec_lo
	v_div_scale_f32 v34, null, v8, v8, v3
	s_delay_alu instid0(VALU_DEP_1) | instskip(SKIP_2) | instid1(VALU_DEP_1)
	v_rcp_f32_e32 v35, v34
	s_waitcnt_depctr 0xfff
	v_fma_f32 v36, -v34, v35, 1.0
	v_fmac_f32_e32 v35, v36, v35
	v_div_scale_f32 v36, vcc_lo, v3, v8, v3
	s_delay_alu instid0(VALU_DEP_1) | instskip(NEXT) | instid1(VALU_DEP_1)
	v_mul_f32_e32 v37, v36, v35
	v_fma_f32 v38, -v34, v37, v36
	s_delay_alu instid0(VALU_DEP_1) | instskip(NEXT) | instid1(VALU_DEP_1)
	v_fmac_f32_e32 v37, v38, v35
	v_fma_f32 v34, -v34, v37, v36
	s_delay_alu instid0(VALU_DEP_1) | instskip(NEXT) | instid1(VALU_DEP_1)
	v_div_fmas_f32 v34, v34, v35, v37
	v_div_fixup_f32 v3, v34, v8, v3
	s_delay_alu instid0(VALU_DEP_1) | instskip(NEXT) | instid1(VALU_DEP_1)
	v_maxmin_f32 v3, v3, v19, v20
	v_and_b32_e32 v34, 0x7fffffff, v3
	s_delay_alu instid0(VALU_DEP_1)
	v_cmpx_gt_u32_e32 0x43f00000, v34
	s_cbranch_execz .LBB29_36
; %bb.80:                               ;   in Loop: Header=BB29_37 Depth=1
	s_mov_b32 s8, exec_lo
                                        ; implicit-def: $vgpr32
	v_cmpx_lt_u32_e32 0x3c7fffff, v34
	s_xor_b32 s8, exec_lo, s8
; %bb.81:                               ;   in Loop: Header=BB29_37 Depth=1
	v_bfe_u32 v32, v3, 20, 1
	s_delay_alu instid0(VALU_DEP_1) | instskip(NEXT) | instid1(VALU_DEP_1)
	v_add3_u32 v32, v3, v32, 0x407ffff
	v_lshrrev_b32_e32 v32, 20, v32
; %bb.82:                               ;   in Loop: Header=BB29_37 Depth=1
	s_and_not1_saveexec_b32 s8, s8
	s_cbranch_execz .LBB29_35
; %bb.83:                               ;   in Loop: Header=BB29_37 Depth=1
	v_add_f32_e64 v32, 0x46800000, |v3|
	s_branch .LBB29_35
.LBB29_84:
	s_or_b32 exec_lo, exec_lo, s1
	v_lshlrev_b32_e32 v2, 3, v17
	s_mov_b32 s5, exec_lo
	s_delay_alu instid0(VALU_DEP_1) | instskip(NEXT) | instid1(VALU_DEP_1)
	v_add_nc_u32_e32 v0, v2, v10
	v_cmpx_lt_i32_e64 v0, v9
	s_cbranch_execz .LBB29_100
; %bb.85:
	v_add_nc_u32_e32 v1, 16, v0
	s_mov_b32 s0, 0
	s_mov_b32 s1, exec_lo
	s_delay_alu instid0(VALU_DEP_1) | instskip(NEXT) | instid1(VALU_DEP_1)
	v_max_i32_e32 v3, v1, v9
	v_xad_u32 v3, v10, -1, v3
	s_delay_alu instid0(VALU_DEP_1) | instskip(NEXT) | instid1(VALU_DEP_1)
	v_sub_nc_u32_e32 v2, v3, v2
                                        ; implicit-def: $vgpr3
	v_cmpx_lt_u32_e32 15, v2
	s_xor_b32 s8, exec_lo, s1
	s_cbranch_execnz .LBB29_88
; %bb.86:
	s_and_not1_saveexec_b32 s1, s8
	s_cbranch_execnz .LBB29_91
.LBB29_87:
	s_or_b32 exec_lo, exec_lo, s1
	s_delay_alu instid0(SALU_CYCLE_1)
	s_and_b32 exec_lo, exec_lo, s0
	s_cbranch_execnz .LBB29_92
	s_branch .LBB29_100
.LBB29_88:
	v_lshrrev_b32_e32 v2, 4, v2
	v_lshlrev_b32_e32 v3, 1, v11
	v_lshlrev_b32_e32 v17, 4, v17
	v_add_co_u32 v11, vcc_lo, v15, v12
	s_delay_alu instid0(VALU_DEP_4) | instskip(SKIP_3) | instid1(VALU_DEP_4)
	v_add_nc_u32_e32 v6, 1, v2
	v_add_co_ci_u32_e32 v15, vcc_lo, v16, v13, vcc_lo
	v_mov_b32_e32 v16, v8
	v_lshlrev_b32_e32 v10, 1, v10
	v_and_b32_e32 v7, 0x1ffffffe, v6
	v_lshlrev_b32_e32 v14, 1, v12
	s_mov_b32 s0, s6
	s_mov_b32 s1, s6
	;; [unrolled: 1-line block ×3, first 2 shown]
	v_mov_b32_e32 v21, v7
	v_add3_u32 v2, v3, v17, v14
	s_mov_b32 s10, s7
	v_max_f32_e64 v17, s0, s0
	v_max_f32_e64 v18, s1, s1
	;; [unrolled: 1-line block ×3, first 2 shown]
	v_add3_u32 v10, v2, v10, 0
	v_mov_b32_e32 v2, v1
	v_max_f32_e64 v20, s9, s9
	v_mov_b32_e32 v1, v0
	s_mov_b32 s9, 0
.LBB29_89:                              ; =>This Inner Loop Header: Depth=1
	ds_load_u16 v22, v10
	ds_load_u16 v23, v10 offset:32
	v_mov_b32_e32 v24, v2
	v_ashrrev_i32_e32 v25, 31, v2
	v_ashrrev_i32_e32 v26, 31, v1
	v_add_nc_u32_e32 v21, -2, v21
	v_add_nc_u32_e32 v10, 64, v10
	s_waitcnt lgkmcnt(1)
	v_lshlrev_b32_e32 v27, 16, v22
	s_waitcnt lgkmcnt(0)
	v_lshlrev_b32_e32 v23, 16, v23
	s_delay_alu instid0(VALU_DEP_2) | instskip(NEXT) | instid1(VALU_DEP_2)
	v_div_scale_f32 v22, null, v8, v8, v27
	v_div_scale_f32 v28, null, v16, v16, v23
	v_div_scale_f32 v31, vcc_lo, v27, v8, v27
	s_delay_alu instid0(VALU_DEP_3) | instskip(NEXT) | instid1(VALU_DEP_2)
	v_rcp_f32_e32 v29, v22
	v_rcp_f32_e32 v30, v28
	s_waitcnt_depctr 0xfff
	v_fma_f32 v33, -v22, v29, 1.0
	v_fma_f32 v34, -v28, v30, 1.0
	s_delay_alu instid0(VALU_DEP_2) | instskip(NEXT) | instid1(VALU_DEP_2)
	v_dual_fmac_f32 v29, v33, v29 :: v_dual_add_nc_u32 v2, 32, v2
	v_fmac_f32_e32 v30, v34, v30
	v_div_scale_f32 v32, s0, v23, v16, v23
	s_delay_alu instid0(VALU_DEP_1) | instskip(NEXT) | instid1(VALU_DEP_1)
	v_dual_mul_f32 v33, v31, v29 :: v_dual_mul_f32 v34, v32, v30
	v_fma_f32 v35, -v22, v33, v31
	s_delay_alu instid0(VALU_DEP_2) | instskip(NEXT) | instid1(VALU_DEP_1)
	v_fma_f32 v36, -v28, v34, v32
	v_dual_fmac_f32 v33, v35, v29 :: v_dual_fmac_f32 v34, v36, v30
	s_delay_alu instid0(VALU_DEP_1) | instskip(NEXT) | instid1(VALU_DEP_2)
	v_fma_f32 v22, -v22, v33, v31
	v_fma_f32 v28, -v28, v34, v32
	s_delay_alu instid0(VALU_DEP_2) | instskip(SKIP_1) | instid1(VALU_DEP_2)
	v_div_fmas_f32 v29, v22, v29, v33
	s_mov_b32 vcc_lo, s0
	v_div_fmas_f32 v28, v28, v30, v34
	v_add_co_u32 v22, vcc_lo, v11, v1
	s_delay_alu instid0(VALU_DEP_3) | instskip(SKIP_1) | instid1(VALU_DEP_4)
	v_div_fixup_f32 v27, v29, v8, v27
	v_add_nc_u32_e32 v1, 32, v1
	v_div_fixup_f32 v23, v28, v16, v23
	s_delay_alu instid0(VALU_DEP_3) | instskip(NEXT) | instid1(VALU_DEP_2)
	v_maxmin_f32 v27, v27, v17, v20
	v_maxmin_f32 v28, v23, v18, v19
	v_add_co_ci_u32_e32 v23, vcc_lo, v15, v26, vcc_lo
	s_delay_alu instid0(VALU_DEP_3) | instskip(SKIP_1) | instid1(VALU_DEP_4)
	v_bfe_u32 v26, v27, 20, 1
	v_and_b32_e32 v30, 0x7fffffff, v27
	v_bfe_u32 v29, v28, 20, 1
	v_and_b32_e32 v32, 0x7fffffff, v28
	v_add_f32_e64 v31, 0x46800000, |v27|
	v_add3_u32 v26, v27, v26, 0x407ffff
	v_add_nc_u32_e32 v34, 0xc3800000, v30
	v_add3_u32 v29, v28, v29, 0x407ffff
	v_add_nc_u32_e32 v35, 0xc3800000, v32
	v_add_f32_e64 v33, 0x46800000, |v28|
	v_lshrrev_b32_e32 v26, 20, v26
	v_cmp_gt_u32_e64 s0, 0x7700000, v34
	v_lshrrev_b32_e32 v29, 20, v29
	v_cmp_gt_u32_e64 s1, 0x7700000, v35
	v_add_co_u32 v24, vcc_lo, v11, v24
	s_delay_alu instid0(VALU_DEP_4) | instskip(SKIP_1) | instid1(VALU_DEP_4)
	v_cndmask_b32_e64 v26, v31, v26, s0
	v_cmp_gt_u32_e64 s0, 0x43f00000, v30
	v_cndmask_b32_e64 v29, v33, v29, s1
	v_cmp_gt_u32_e64 s1, 0x43f00000, v32
	v_lshrrev_b32_e32 v27, 24, v27
	v_lshrrev_b32_e32 v28, 24, v28
	v_cndmask_b32_e64 v26, 0x7f, v26, s0
	v_add_co_ci_u32_e32 v25, vcc_lo, v15, v25, vcc_lo
	v_cndmask_b32_e64 v29, 0x7f, v29, s1
	v_cmp_eq_u32_e32 vcc_lo, 0, v21
	s_delay_alu instid0(VALU_DEP_4) | instskip(NEXT) | instid1(VALU_DEP_3)
	v_and_or_b32 v26, 0x80, v27, v26
	v_and_or_b32 v27, 0x80, v28, v29
	s_or_b32 s9, vcc_lo, s9
	s_clause 0x1
	global_store_b8 v[22:23], v26, off
	global_store_b8 v[24:25], v27, off
	s_and_not1_b32 exec_lo, exec_lo, s9
	s_cbranch_execnz .LBB29_89
; %bb.90:
	s_or_b32 exec_lo, exec_lo, s9
	v_cmp_ne_u32_e32 vcc_lo, v6, v7
	v_lshl_add_u32 v0, v7, 4, v0
                                        ; implicit-def: $vgpr11
	s_and_b32 s0, vcc_lo, exec_lo
	s_and_not1_saveexec_b32 s1, s8
	s_cbranch_execz .LBB29_87
.LBB29_91:
	v_lshlrev_b32_e32 v3, 1, v11
	s_or_b32 s0, s0, exec_lo
	s_or_b32 exec_lo, exec_lo, s1
	s_delay_alu instid0(SALU_CYCLE_1)
	s_and_b32 exec_lo, exec_lo, s0
	s_cbranch_execz .LBB29_100
.LBB29_92:
	v_add_co_u32 v1, vcc_lo, v12, v4
	v_add_co_ci_u32_e32 v2, vcc_lo, v13, v5, vcc_lo
	v_ashrrev_i32_e32 v4, 31, v0
	s_delay_alu instid0(VALU_DEP_3) | instskip(SKIP_2) | instid1(VALU_DEP_4)
	v_add_co_u32 v1, vcc_lo, v1, v0
	v_lshl_add_u32 v3, v0, 1, v3
	v_max_f32_e64 v5, s7, s7
	v_add_co_ci_u32_e32 v2, vcc_lo, v2, v4, vcc_lo
	s_delay_alu instid0(VALU_DEP_4) | instskip(NEXT) | instid1(VALU_DEP_4)
	v_add_co_u32 v1, vcc_lo, s2, v1
	v_add3_u32 v3, v3, v14, 0
	s_delay_alu instid0(VALU_DEP_3)
	v_add_co_ci_u32_e32 v2, vcc_lo, s3, v2, vcc_lo
	v_max_f32_e64 v4, s6, s6
	s_mov_b32 s1, 0
	s_branch .LBB29_95
.LBB29_93:                              ;   in Loop: Header=BB29_95 Depth=1
	s_or_b32 exec_lo, exec_lo, s8
.LBB29_94:                              ;   in Loop: Header=BB29_95 Depth=1
	s_delay_alu instid0(SALU_CYCLE_1) | instskip(SKIP_3) | instid1(VALU_DEP_3)
	s_or_b32 exec_lo, exec_lo, s0
	v_lshrrev_b32_e32 v6, 24, v6
	v_add_nc_u32_e32 v0, 16, v0
	v_add_nc_u32_e32 v3, 32, v3
	v_and_or_b32 v6, 0x80, v6, v7
	s_delay_alu instid0(VALU_DEP_3) | instskip(SKIP_2) | instid1(VALU_DEP_1)
	v_cmp_ge_i32_e32 vcc_lo, v0, v9
	global_store_b8 v[1:2], v6, off
	v_add_co_u32 v1, s0, v1, 16
	v_add_co_ci_u32_e64 v2, s0, 0, v2, s0
	s_or_b32 s1, vcc_lo, s1
	s_delay_alu instid0(SALU_CYCLE_1)
	s_and_not1_b32 exec_lo, exec_lo, s1
	s_cbranch_execz .LBB29_100
.LBB29_95:                              ; =>This Inner Loop Header: Depth=1
	ds_load_u16 v6, v3
	s_mov_b32 s0, exec_lo
	s_waitcnt lgkmcnt(0)
	v_lshlrev_b32_e32 v6, 16, v6
	s_delay_alu instid0(VALU_DEP_1) | instskip(SKIP_1) | instid1(VALU_DEP_2)
	v_div_scale_f32 v7, null, v8, v8, v6
	v_div_scale_f32 v12, vcc_lo, v6, v8, v6
	v_rcp_f32_e32 v10, v7
	s_waitcnt_depctr 0xfff
	v_fma_f32 v11, -v7, v10, 1.0
	s_delay_alu instid0(VALU_DEP_1) | instskip(NEXT) | instid1(VALU_DEP_1)
	v_fmac_f32_e32 v10, v11, v10
	v_mul_f32_e32 v11, v12, v10
	s_delay_alu instid0(VALU_DEP_1) | instskip(NEXT) | instid1(VALU_DEP_1)
	v_fma_f32 v13, -v7, v11, v12
	v_fmac_f32_e32 v11, v13, v10
	s_delay_alu instid0(VALU_DEP_1) | instskip(NEXT) | instid1(VALU_DEP_1)
	v_fma_f32 v7, -v7, v11, v12
	v_div_fmas_f32 v7, v7, v10, v11
	s_delay_alu instid0(VALU_DEP_1) | instskip(SKIP_1) | instid1(VALU_DEP_2)
	v_div_fixup_f32 v6, v7, v8, v6
	v_mov_b32_e32 v7, 0x7f
	v_maxmin_f32 v6, v6, v4, v5
	s_delay_alu instid0(VALU_DEP_1) | instskip(NEXT) | instid1(VALU_DEP_1)
	v_and_b32_e32 v10, 0x7fffffff, v6
	v_cmpx_gt_u32_e32 0x43f00000, v10
	s_cbranch_execz .LBB29_94
; %bb.96:                               ;   in Loop: Header=BB29_95 Depth=1
	s_mov_b32 s8, exec_lo
                                        ; implicit-def: $vgpr7
	v_cmpx_lt_u32_e32 0x3c7fffff, v10
	s_xor_b32 s8, exec_lo, s8
; %bb.97:                               ;   in Loop: Header=BB29_95 Depth=1
	v_bfe_u32 v7, v6, 20, 1
	s_delay_alu instid0(VALU_DEP_1) | instskip(NEXT) | instid1(VALU_DEP_1)
	v_add3_u32 v7, v6, v7, 0x407ffff
	v_lshrrev_b32_e32 v7, 20, v7
; %bb.98:                               ;   in Loop: Header=BB29_95 Depth=1
	s_and_not1_saveexec_b32 s8, s8
	s_cbranch_execz .LBB29_93
; %bb.99:                               ;   in Loop: Header=BB29_95 Depth=1
	v_add_f32_e64 v7, 0x46800000, |v6|
	s_branch .LBB29_93
.LBB29_100:
	s_or_b32 exec_lo, exec_lo, s5
                                        ; implicit-def: $vgpr10
                                        ; implicit-def: $vgpr8
                                        ; implicit-def: $vgpr11
                                        ; implicit-def: $vgpr4_vgpr5
.LBB29_101:
	s_and_not1_saveexec_b32 s0, s4
	s_cbranch_execz .LBB29_153
; %bb.102:
	s_ashr_i32 s1, s14, 3
	s_mov_b32 s0, exec_lo
	v_cmpx_gt_i32_e64 s1, v10
	s_cbranch_execz .LBB29_153
; %bb.103:
	v_lshlrev_b32_e32 v0, 3, v10
	v_lshlrev_b32_e32 v1, 1, v11
	;; [unrolled: 1-line block ×3, first 2 shown]
	v_max_f32_e64 v7, s6, s6
	v_max_f32_e64 v9, s7, s7
	v_add_co_u32 v0, vcc_lo, v4, v0
	v_add_co_ci_u32_e32 v3, vcc_lo, 0, v5, vcc_lo
	v_add3_u32 v6, v1, v2, 0
	s_delay_alu instid0(VALU_DEP_3) | instskip(NEXT) | instid1(VALU_DEP_3)
	v_add_co_u32 v4, vcc_lo, s2, v0
	v_add_co_ci_u32_e32 v5, vcc_lo, s3, v3, vcc_lo
	s_mov_b32 s2, 0
	s_branch .LBB29_106
.LBB29_104:                             ;   in Loop: Header=BB29_106 Depth=1
	s_or_b32 exec_lo, exec_lo, s3
.LBB29_105:                             ;   in Loop: Header=BB29_106 Depth=1
	s_delay_alu instid0(SALU_CYCLE_1)
	s_or_b32 exec_lo, exec_lo, s0
	v_lshrrev_b32_e32 v22, 24, v22
	v_lshrrev_b32_e32 v16, 24, v16
	;; [unrolled: 1-line block ×5, first 2 shown]
	v_and_b32_e32 v22, 0x80, v22
	v_and_b32_e32 v16, 0x80, v16
	v_lshrrev_b32_e32 v19, 24, v19
	v_and_b32_e32 v2, 0x80, v2
	v_lshrrev_b32_e32 v13, 24, v13
	v_and_or_b32 v3, 0x80, v3, v21
	v_and_or_b32 v20, 0xff, v20, v22
	v_and_b32_e32 v0, 0x80, v0
	v_and_or_b32 v15, 0xff, v15, v16
	v_and_b32_e32 v19, 0x80, v19
	v_and_b32_e32 v13, 0x80, v13
	v_lshlrev_b32_e32 v3, 24, v3
	v_lshlrev_b32_e32 v20, 16, v20
	v_and_or_b32 v2, 0xff, v18, v2
	v_lshlrev_b32_e32 v14, 24, v14
	v_and_b32_e32 v1, 0x80000000, v1
	v_and_or_b32 v0, 0xff, v12, v0
	v_lshlrev_b32_e32 v12, 16, v15
	v_or_b32_e32 v3, v3, v20
	v_lshlrev_b32_e32 v2, 8, v2
	v_and_or_b32 v15, 0xff, v17, v19
	v_lshlrev_b32_e32 v0, 8, v0
	v_or3_b32 v12, v14, v1, v12
	v_and_or_b32 v11, 0xff, v11, v13
	v_add_nc_u32_e32 v10, 16, v10
	v_or3_b32 v1, v3, v2, v15
	v_add_nc_u32_e32 v6, 0x100, v6
	s_delay_alu instid0(VALU_DEP_4) | instskip(NEXT) | instid1(VALU_DEP_4)
	v_or3_b32 v0, v12, v0, v11
	v_cmp_le_i32_e32 vcc_lo, s1, v10
	global_store_b64 v[4:5], v[0:1], off
	v_add_co_u32 v4, s0, 0x80, v4
	s_delay_alu instid0(VALU_DEP_1) | instskip(SKIP_1) | instid1(SALU_CYCLE_1)
	v_add_co_ci_u32_e64 v5, s0, 0, v5, s0
	s_or_b32 s2, vcc_lo, s2
	s_and_not1_b32 exec_lo, exec_lo, s2
	s_cbranch_execz .LBB29_153
.LBB29_106:                             ; =>This Inner Loop Header: Depth=1
	ds_load_b128 v[0:3], v6
	s_mov_b32 s0, exec_lo
	s_waitcnt lgkmcnt(0)
	v_lshlrev_b32_e32 v11, 16, v0
	s_delay_alu instid0(VALU_DEP_1) | instskip(SKIP_1) | instid1(VALU_DEP_2)
	v_div_scale_f32 v12, null, v8, v8, v11
	v_div_scale_f32 v15, vcc_lo, v11, v8, v11
	v_rcp_f32_e32 v13, v12
	s_waitcnt_depctr 0xfff
	v_fma_f32 v14, -v12, v13, 1.0
	s_delay_alu instid0(VALU_DEP_1) | instskip(NEXT) | instid1(VALU_DEP_1)
	v_fmac_f32_e32 v13, v14, v13
	v_mul_f32_e32 v14, v15, v13
	s_delay_alu instid0(VALU_DEP_1) | instskip(NEXT) | instid1(VALU_DEP_1)
	v_fma_f32 v16, -v12, v14, v15
	v_fmac_f32_e32 v14, v16, v13
	s_delay_alu instid0(VALU_DEP_1) | instskip(NEXT) | instid1(VALU_DEP_1)
	v_fma_f32 v12, -v12, v14, v15
	v_div_fmas_f32 v12, v12, v13, v14
	s_delay_alu instid0(VALU_DEP_1) | instskip(SKIP_1) | instid1(VALU_DEP_2)
	v_div_fixup_f32 v11, v12, v8, v11
	v_mov_b32_e32 v12, 0x7f
	v_maxmin_f32 v13, v11, v7, v9
	v_mov_b32_e32 v11, 0x7f
	s_delay_alu instid0(VALU_DEP_2) | instskip(NEXT) | instid1(VALU_DEP_1)
	v_and_b32_e32 v14, 0x7fffffff, v13
	v_cmpx_gt_u32_e32 0x43f00000, v14
	s_cbranch_execz .LBB29_112
; %bb.107:                              ;   in Loop: Header=BB29_106 Depth=1
	s_mov_b32 s3, exec_lo
                                        ; implicit-def: $vgpr11
	v_cmpx_lt_u32_e32 0x3c7fffff, v14
	s_xor_b32 s3, exec_lo, s3
; %bb.108:                              ;   in Loop: Header=BB29_106 Depth=1
	v_bfe_u32 v11, v13, 20, 1
	s_delay_alu instid0(VALU_DEP_1) | instskip(NEXT) | instid1(VALU_DEP_1)
	v_add3_u32 v11, v13, v11, 0x407ffff
	v_lshrrev_b32_e32 v11, 20, v11
; %bb.109:                              ;   in Loop: Header=BB29_106 Depth=1
	s_and_not1_saveexec_b32 s3, s3
; %bb.110:                              ;   in Loop: Header=BB29_106 Depth=1
	v_add_f32_e64 v11, 0x46800000, |v13|
; %bb.111:                              ;   in Loop: Header=BB29_106 Depth=1
	s_or_b32 exec_lo, exec_lo, s3
.LBB29_112:                             ;   in Loop: Header=BB29_106 Depth=1
	s_delay_alu instid0(SALU_CYCLE_1) | instskip(SKIP_2) | instid1(VALU_DEP_1)
	s_or_b32 exec_lo, exec_lo, s0
	v_and_b32_e32 v0, 0xffff0000, v0
	s_mov_b32 s0, exec_lo
	v_div_scale_f32 v14, null, v8, v8, v0
	s_delay_alu instid0(VALU_DEP_1) | instskip(SKIP_2) | instid1(VALU_DEP_1)
	v_rcp_f32_e32 v15, v14
	s_waitcnt_depctr 0xfff
	v_fma_f32 v16, -v14, v15, 1.0
	v_fmac_f32_e32 v15, v16, v15
	v_div_scale_f32 v16, vcc_lo, v0, v8, v0
	s_delay_alu instid0(VALU_DEP_1) | instskip(NEXT) | instid1(VALU_DEP_1)
	v_mul_f32_e32 v17, v16, v15
	v_fma_f32 v18, -v14, v17, v16
	s_delay_alu instid0(VALU_DEP_1) | instskip(NEXT) | instid1(VALU_DEP_1)
	v_fmac_f32_e32 v17, v18, v15
	v_fma_f32 v14, -v14, v17, v16
	s_delay_alu instid0(VALU_DEP_1) | instskip(NEXT) | instid1(VALU_DEP_1)
	v_div_fmas_f32 v14, v14, v15, v17
	v_div_fixup_f32 v0, v14, v8, v0
	s_delay_alu instid0(VALU_DEP_1) | instskip(NEXT) | instid1(VALU_DEP_1)
	v_maxmin_f32 v0, v0, v7, v9
	v_and_b32_e32 v14, 0x7fffffff, v0
	s_delay_alu instid0(VALU_DEP_1)
	v_cmpx_gt_u32_e32 0x43f00000, v14
	s_cbranch_execz .LBB29_118
; %bb.113:                              ;   in Loop: Header=BB29_106 Depth=1
	s_mov_b32 s3, exec_lo
                                        ; implicit-def: $vgpr12
	v_cmpx_lt_u32_e32 0x3c7fffff, v14
	s_xor_b32 s3, exec_lo, s3
; %bb.114:                              ;   in Loop: Header=BB29_106 Depth=1
	v_bfe_u32 v12, v0, 20, 1
	s_delay_alu instid0(VALU_DEP_1) | instskip(NEXT) | instid1(VALU_DEP_1)
	v_add3_u32 v12, v0, v12, 0x407ffff
	v_lshrrev_b32_e32 v12, 20, v12
; %bb.115:                              ;   in Loop: Header=BB29_106 Depth=1
	s_and_not1_saveexec_b32 s3, s3
; %bb.116:                              ;   in Loop: Header=BB29_106 Depth=1
	v_add_f32_e64 v12, 0x46800000, |v0|
; %bb.117:                              ;   in Loop: Header=BB29_106 Depth=1
	s_or_b32 exec_lo, exec_lo, s3
.LBB29_118:                             ;   in Loop: Header=BB29_106 Depth=1
	s_delay_alu instid0(SALU_CYCLE_1) | instskip(SKIP_2) | instid1(VALU_DEP_1)
	s_or_b32 exec_lo, exec_lo, s0
	v_lshlrev_b32_e32 v14, 16, v1
	s_mov_b32 s0, exec_lo
	v_div_scale_f32 v15, null, v8, v8, v14
	v_div_scale_f32 v18, vcc_lo, v14, v8, v14
	s_delay_alu instid0(VALU_DEP_2) | instskip(SKIP_2) | instid1(VALU_DEP_1)
	v_rcp_f32_e32 v16, v15
	s_waitcnt_depctr 0xfff
	v_fma_f32 v17, -v15, v16, 1.0
	v_fmac_f32_e32 v16, v17, v16
	s_delay_alu instid0(VALU_DEP_1) | instskip(NEXT) | instid1(VALU_DEP_1)
	v_mul_f32_e32 v17, v18, v16
	v_fma_f32 v19, -v15, v17, v18
	s_delay_alu instid0(VALU_DEP_1) | instskip(NEXT) | instid1(VALU_DEP_1)
	v_fmac_f32_e32 v17, v19, v16
	v_fma_f32 v15, -v15, v17, v18
	s_delay_alu instid0(VALU_DEP_1) | instskip(NEXT) | instid1(VALU_DEP_1)
	v_div_fmas_f32 v15, v15, v16, v17
	v_div_fixup_f32 v14, v15, v8, v14
	v_mov_b32_e32 v15, 0x7f
	s_delay_alu instid0(VALU_DEP_2) | instskip(SKIP_1) | instid1(VALU_DEP_2)
	v_maxmin_f32 v16, v14, v7, v9
	v_mov_b32_e32 v14, 0x7f
	v_and_b32_e32 v17, 0x7fffffff, v16
	s_delay_alu instid0(VALU_DEP_1)
	v_cmpx_gt_u32_e32 0x43f00000, v17
	s_cbranch_execz .LBB29_124
; %bb.119:                              ;   in Loop: Header=BB29_106 Depth=1
	s_mov_b32 s3, exec_lo
                                        ; implicit-def: $vgpr15
	v_cmpx_lt_u32_e32 0x3c7fffff, v17
	s_xor_b32 s3, exec_lo, s3
; %bb.120:                              ;   in Loop: Header=BB29_106 Depth=1
	v_bfe_u32 v15, v16, 20, 1
	s_delay_alu instid0(VALU_DEP_1) | instskip(NEXT) | instid1(VALU_DEP_1)
	v_add3_u32 v15, v16, v15, 0x407ffff
	v_lshrrev_b32_e32 v15, 20, v15
; %bb.121:                              ;   in Loop: Header=BB29_106 Depth=1
	s_and_not1_saveexec_b32 s3, s3
; %bb.122:                              ;   in Loop: Header=BB29_106 Depth=1
	v_add_f32_e64 v15, 0x46800000, |v16|
; %bb.123:                              ;   in Loop: Header=BB29_106 Depth=1
	s_or_b32 exec_lo, exec_lo, s3
.LBB29_124:                             ;   in Loop: Header=BB29_106 Depth=1
	s_delay_alu instid0(SALU_CYCLE_1) | instskip(SKIP_2) | instid1(VALU_DEP_1)
	s_or_b32 exec_lo, exec_lo, s0
	v_and_b32_e32 v1, 0xffff0000, v1
	s_mov_b32 s0, exec_lo
	v_div_scale_f32 v17, null, v8, v8, v1
	s_delay_alu instid0(VALU_DEP_1) | instskip(SKIP_2) | instid1(VALU_DEP_1)
	v_rcp_f32_e32 v18, v17
	s_waitcnt_depctr 0xfff
	v_fma_f32 v19, -v17, v18, 1.0
	v_fmac_f32_e32 v18, v19, v18
	v_div_scale_f32 v19, vcc_lo, v1, v8, v1
	s_delay_alu instid0(VALU_DEP_1) | instskip(NEXT) | instid1(VALU_DEP_1)
	v_mul_f32_e32 v20, v19, v18
	v_fma_f32 v21, -v17, v20, v19
	s_delay_alu instid0(VALU_DEP_1) | instskip(NEXT) | instid1(VALU_DEP_1)
	v_fmac_f32_e32 v20, v21, v18
	v_fma_f32 v17, -v17, v20, v19
	s_delay_alu instid0(VALU_DEP_1) | instskip(NEXT) | instid1(VALU_DEP_1)
	v_div_fmas_f32 v17, v17, v18, v20
	v_div_fixup_f32 v1, v17, v8, v1
	s_delay_alu instid0(VALU_DEP_1) | instskip(NEXT) | instid1(VALU_DEP_1)
	v_maxmin_f32 v1, v1, v7, v9
	v_and_b32_e32 v17, 0x7fffffff, v1
	s_delay_alu instid0(VALU_DEP_1)
	v_cmpx_gt_u32_e32 0x43f00000, v17
	s_cbranch_execz .LBB29_130
; %bb.125:                              ;   in Loop: Header=BB29_106 Depth=1
	s_mov_b32 s3, exec_lo
                                        ; implicit-def: $vgpr14
	v_cmpx_lt_u32_e32 0x3c7fffff, v17
	s_xor_b32 s3, exec_lo, s3
; %bb.126:                              ;   in Loop: Header=BB29_106 Depth=1
	v_bfe_u32 v14, v1, 20, 1
	s_delay_alu instid0(VALU_DEP_1) | instskip(NEXT) | instid1(VALU_DEP_1)
	v_add3_u32 v14, v1, v14, 0x407ffff
	v_lshrrev_b32_e32 v14, 20, v14
; %bb.127:                              ;   in Loop: Header=BB29_106 Depth=1
	s_and_not1_saveexec_b32 s3, s3
; %bb.128:                              ;   in Loop: Header=BB29_106 Depth=1
	v_add_f32_e64 v14, 0x46800000, |v1|
; %bb.129:                              ;   in Loop: Header=BB29_106 Depth=1
	s_or_b32 exec_lo, exec_lo, s3
.LBB29_130:                             ;   in Loop: Header=BB29_106 Depth=1
	s_delay_alu instid0(SALU_CYCLE_1) | instskip(SKIP_2) | instid1(VALU_DEP_1)
	s_or_b32 exec_lo, exec_lo, s0
	v_lshlrev_b32_e32 v17, 16, v2
	s_mov_b32 s0, exec_lo
	v_div_scale_f32 v18, null, v8, v8, v17
	v_div_scale_f32 v21, vcc_lo, v17, v8, v17
	s_delay_alu instid0(VALU_DEP_2) | instskip(SKIP_2) | instid1(VALU_DEP_1)
	v_rcp_f32_e32 v19, v18
	s_waitcnt_depctr 0xfff
	v_fma_f32 v20, -v18, v19, 1.0
	v_fmac_f32_e32 v19, v20, v19
	s_delay_alu instid0(VALU_DEP_1) | instskip(NEXT) | instid1(VALU_DEP_1)
	v_mul_f32_e32 v20, v21, v19
	v_fma_f32 v22, -v18, v20, v21
	s_delay_alu instid0(VALU_DEP_1) | instskip(NEXT) | instid1(VALU_DEP_1)
	v_fmac_f32_e32 v20, v22, v19
	v_fma_f32 v18, -v18, v20, v21
	s_delay_alu instid0(VALU_DEP_1) | instskip(NEXT) | instid1(VALU_DEP_1)
	v_div_fmas_f32 v18, v18, v19, v20
	v_div_fixup_f32 v17, v18, v8, v17
	v_mov_b32_e32 v18, 0x7f
	s_delay_alu instid0(VALU_DEP_2) | instskip(SKIP_1) | instid1(VALU_DEP_2)
	v_maxmin_f32 v19, v17, v7, v9
	v_mov_b32_e32 v17, 0x7f
	v_and_b32_e32 v20, 0x7fffffff, v19
	s_delay_alu instid0(VALU_DEP_1)
	v_cmpx_gt_u32_e32 0x43f00000, v20
	s_cbranch_execz .LBB29_136
; %bb.131:                              ;   in Loop: Header=BB29_106 Depth=1
	s_mov_b32 s3, exec_lo
                                        ; implicit-def: $vgpr17
	v_cmpx_lt_u32_e32 0x3c7fffff, v20
	s_xor_b32 s3, exec_lo, s3
; %bb.132:                              ;   in Loop: Header=BB29_106 Depth=1
	v_bfe_u32 v17, v19, 20, 1
	s_delay_alu instid0(VALU_DEP_1) | instskip(NEXT) | instid1(VALU_DEP_1)
	v_add3_u32 v17, v19, v17, 0x407ffff
	v_lshrrev_b32_e32 v17, 20, v17
; %bb.133:                              ;   in Loop: Header=BB29_106 Depth=1
	s_and_not1_saveexec_b32 s3, s3
; %bb.134:                              ;   in Loop: Header=BB29_106 Depth=1
	v_add_f32_e64 v17, 0x46800000, |v19|
; %bb.135:                              ;   in Loop: Header=BB29_106 Depth=1
	s_or_b32 exec_lo, exec_lo, s3
.LBB29_136:                             ;   in Loop: Header=BB29_106 Depth=1
	s_delay_alu instid0(SALU_CYCLE_1) | instskip(SKIP_2) | instid1(VALU_DEP_1)
	s_or_b32 exec_lo, exec_lo, s0
	v_and_b32_e32 v2, 0xffff0000, v2
	s_mov_b32 s0, exec_lo
	v_div_scale_f32 v20, null, v8, v8, v2
	s_delay_alu instid0(VALU_DEP_1) | instskip(SKIP_2) | instid1(VALU_DEP_1)
	v_rcp_f32_e32 v21, v20
	s_waitcnt_depctr 0xfff
	v_fma_f32 v22, -v20, v21, 1.0
	v_fmac_f32_e32 v21, v22, v21
	v_div_scale_f32 v22, vcc_lo, v2, v8, v2
	s_delay_alu instid0(VALU_DEP_1) | instskip(NEXT) | instid1(VALU_DEP_1)
	v_mul_f32_e32 v23, v22, v21
	v_fma_f32 v24, -v20, v23, v22
	s_delay_alu instid0(VALU_DEP_1) | instskip(NEXT) | instid1(VALU_DEP_1)
	v_fmac_f32_e32 v23, v24, v21
	v_fma_f32 v20, -v20, v23, v22
	s_delay_alu instid0(VALU_DEP_1) | instskip(NEXT) | instid1(VALU_DEP_1)
	v_div_fmas_f32 v20, v20, v21, v23
	v_div_fixup_f32 v2, v20, v8, v2
	s_delay_alu instid0(VALU_DEP_1) | instskip(NEXT) | instid1(VALU_DEP_1)
	v_maxmin_f32 v2, v2, v7, v9
	v_and_b32_e32 v20, 0x7fffffff, v2
	s_delay_alu instid0(VALU_DEP_1)
	v_cmpx_gt_u32_e32 0x43f00000, v20
	s_cbranch_execz .LBB29_142
; %bb.137:                              ;   in Loop: Header=BB29_106 Depth=1
	s_mov_b32 s3, exec_lo
                                        ; implicit-def: $vgpr18
	v_cmpx_lt_u32_e32 0x3c7fffff, v20
	s_xor_b32 s3, exec_lo, s3
; %bb.138:                              ;   in Loop: Header=BB29_106 Depth=1
	v_bfe_u32 v18, v2, 20, 1
	s_delay_alu instid0(VALU_DEP_1) | instskip(NEXT) | instid1(VALU_DEP_1)
	v_add3_u32 v18, v2, v18, 0x407ffff
	v_lshrrev_b32_e32 v18, 20, v18
; %bb.139:                              ;   in Loop: Header=BB29_106 Depth=1
	s_and_not1_saveexec_b32 s3, s3
; %bb.140:                              ;   in Loop: Header=BB29_106 Depth=1
	v_add_f32_e64 v18, 0x46800000, |v2|
; %bb.141:                              ;   in Loop: Header=BB29_106 Depth=1
	s_or_b32 exec_lo, exec_lo, s3
.LBB29_142:                             ;   in Loop: Header=BB29_106 Depth=1
	s_delay_alu instid0(SALU_CYCLE_1) | instskip(SKIP_2) | instid1(VALU_DEP_1)
	s_or_b32 exec_lo, exec_lo, s0
	v_lshlrev_b32_e32 v20, 16, v3
	s_mov_b32 s0, exec_lo
	v_div_scale_f32 v21, null, v8, v8, v20
	v_div_scale_f32 v24, vcc_lo, v20, v8, v20
	s_delay_alu instid0(VALU_DEP_2) | instskip(SKIP_2) | instid1(VALU_DEP_1)
	v_rcp_f32_e32 v22, v21
	s_waitcnt_depctr 0xfff
	v_fma_f32 v23, -v21, v22, 1.0
	v_fmac_f32_e32 v22, v23, v22
	s_delay_alu instid0(VALU_DEP_1) | instskip(NEXT) | instid1(VALU_DEP_1)
	v_mul_f32_e32 v23, v24, v22
	v_fma_f32 v25, -v21, v23, v24
	s_delay_alu instid0(VALU_DEP_1) | instskip(NEXT) | instid1(VALU_DEP_1)
	v_fmac_f32_e32 v23, v25, v22
	v_fma_f32 v21, -v21, v23, v24
	s_delay_alu instid0(VALU_DEP_1) | instskip(NEXT) | instid1(VALU_DEP_1)
	v_div_fmas_f32 v21, v21, v22, v23
	v_div_fixup_f32 v20, v21, v8, v20
	v_mov_b32_e32 v21, 0x7f
	s_delay_alu instid0(VALU_DEP_2) | instskip(SKIP_1) | instid1(VALU_DEP_2)
	v_maxmin_f32 v22, v20, v7, v9
	v_mov_b32_e32 v20, 0x7f
	v_and_b32_e32 v23, 0x7fffffff, v22
	s_delay_alu instid0(VALU_DEP_1)
	v_cmpx_gt_u32_e32 0x43f00000, v23
	s_cbranch_execz .LBB29_148
; %bb.143:                              ;   in Loop: Header=BB29_106 Depth=1
	s_mov_b32 s3, exec_lo
                                        ; implicit-def: $vgpr20
	v_cmpx_lt_u32_e32 0x3c7fffff, v23
	s_xor_b32 s3, exec_lo, s3
; %bb.144:                              ;   in Loop: Header=BB29_106 Depth=1
	v_bfe_u32 v20, v22, 20, 1
	s_delay_alu instid0(VALU_DEP_1) | instskip(NEXT) | instid1(VALU_DEP_1)
	v_add3_u32 v20, v22, v20, 0x407ffff
	v_lshrrev_b32_e32 v20, 20, v20
; %bb.145:                              ;   in Loop: Header=BB29_106 Depth=1
	s_and_not1_saveexec_b32 s3, s3
; %bb.146:                              ;   in Loop: Header=BB29_106 Depth=1
	v_add_f32_e64 v20, 0x46800000, |v22|
; %bb.147:                              ;   in Loop: Header=BB29_106 Depth=1
	s_or_b32 exec_lo, exec_lo, s3
.LBB29_148:                             ;   in Loop: Header=BB29_106 Depth=1
	s_delay_alu instid0(SALU_CYCLE_1) | instskip(SKIP_2) | instid1(VALU_DEP_1)
	s_or_b32 exec_lo, exec_lo, s0
	v_and_b32_e32 v3, 0xffff0000, v3
	s_mov_b32 s0, exec_lo
	v_div_scale_f32 v23, null, v8, v8, v3
	s_delay_alu instid0(VALU_DEP_1) | instskip(SKIP_2) | instid1(VALU_DEP_1)
	v_rcp_f32_e32 v24, v23
	s_waitcnt_depctr 0xfff
	v_fma_f32 v25, -v23, v24, 1.0
	v_fmac_f32_e32 v24, v25, v24
	v_div_scale_f32 v25, vcc_lo, v3, v8, v3
	s_delay_alu instid0(VALU_DEP_1) | instskip(NEXT) | instid1(VALU_DEP_1)
	v_mul_f32_e32 v26, v25, v24
	v_fma_f32 v27, -v23, v26, v25
	s_delay_alu instid0(VALU_DEP_1) | instskip(NEXT) | instid1(VALU_DEP_1)
	v_fmac_f32_e32 v26, v27, v24
	v_fma_f32 v23, -v23, v26, v25
	s_delay_alu instid0(VALU_DEP_1) | instskip(NEXT) | instid1(VALU_DEP_1)
	v_div_fmas_f32 v23, v23, v24, v26
	v_div_fixup_f32 v3, v23, v8, v3
	s_delay_alu instid0(VALU_DEP_1) | instskip(NEXT) | instid1(VALU_DEP_1)
	v_maxmin_f32 v3, v3, v7, v9
	v_and_b32_e32 v23, 0x7fffffff, v3
	s_delay_alu instid0(VALU_DEP_1)
	v_cmpx_gt_u32_e32 0x43f00000, v23
	s_cbranch_execz .LBB29_105
; %bb.149:                              ;   in Loop: Header=BB29_106 Depth=1
	s_mov_b32 s3, exec_lo
                                        ; implicit-def: $vgpr21
	v_cmpx_lt_u32_e32 0x3c7fffff, v23
	s_xor_b32 s3, exec_lo, s3
; %bb.150:                              ;   in Loop: Header=BB29_106 Depth=1
	v_bfe_u32 v21, v3, 20, 1
	s_delay_alu instid0(VALU_DEP_1) | instskip(NEXT) | instid1(VALU_DEP_1)
	v_add3_u32 v21, v3, v21, 0x407ffff
	v_lshrrev_b32_e32 v21, 20, v21
; %bb.151:                              ;   in Loop: Header=BB29_106 Depth=1
	s_and_not1_saveexec_b32 s3, s3
	s_cbranch_execz .LBB29_104
; %bb.152:                              ;   in Loop: Header=BB29_106 Depth=1
	v_add_f32_e64 v21, 0x46800000, |v3|
	s_branch .LBB29_104
.LBB29_153:
	s_nop 0
	s_sendmsg sendmsg(MSG_DEALLOC_VGPRS)
	s_endpgm
	.section	.rodata,"a",@progbits
	.p2align	6, 0x0
	.amdhsa_kernel _Z33per_token_group_quant_8bit_kernelIN3c108BFloat16ENS0_13Float8_e4m3fnELb1ELb0EfEvPKT_PvPT3_iiifffii
		.amdhsa_group_segment_fixed_size 0
		.amdhsa_private_segment_fixed_size 0
		.amdhsa_kernarg_size 56
		.amdhsa_user_sgpr_count 15
		.amdhsa_user_sgpr_dispatch_ptr 0
		.amdhsa_user_sgpr_queue_ptr 0
		.amdhsa_user_sgpr_kernarg_segment_ptr 1
		.amdhsa_user_sgpr_dispatch_id 0
		.amdhsa_user_sgpr_private_segment_size 0
		.amdhsa_wavefront_size32 1
		.amdhsa_uses_dynamic_stack 0
		.amdhsa_enable_private_segment 0
		.amdhsa_system_sgpr_workgroup_id_x 1
		.amdhsa_system_sgpr_workgroup_id_y 0
		.amdhsa_system_sgpr_workgroup_id_z 0
		.amdhsa_system_sgpr_workgroup_info 0
		.amdhsa_system_vgpr_workitem_id 0
		.amdhsa_next_free_vgpr 39
		.amdhsa_next_free_sgpr 17
		.amdhsa_reserve_vcc 1
		.amdhsa_float_round_mode_32 0
		.amdhsa_float_round_mode_16_64 0
		.amdhsa_float_denorm_mode_32 3
		.amdhsa_float_denorm_mode_16_64 3
		.amdhsa_dx10_clamp 1
		.amdhsa_ieee_mode 1
		.amdhsa_fp16_overflow 0
		.amdhsa_workgroup_processor_mode 1
		.amdhsa_memory_ordered 1
		.amdhsa_forward_progress 0
		.amdhsa_shared_vgpr_count 0
		.amdhsa_exception_fp_ieee_invalid_op 0
		.amdhsa_exception_fp_denorm_src 0
		.amdhsa_exception_fp_ieee_div_zero 0
		.amdhsa_exception_fp_ieee_overflow 0
		.amdhsa_exception_fp_ieee_underflow 0
		.amdhsa_exception_fp_ieee_inexact 0
		.amdhsa_exception_int_div_zero 0
	.end_amdhsa_kernel
	.section	.text._Z33per_token_group_quant_8bit_kernelIN3c108BFloat16ENS0_13Float8_e4m3fnELb1ELb0EfEvPKT_PvPT3_iiifffii,"axG",@progbits,_Z33per_token_group_quant_8bit_kernelIN3c108BFloat16ENS0_13Float8_e4m3fnELb1ELb0EfEvPKT_PvPT3_iiifffii,comdat
.Lfunc_end29:
	.size	_Z33per_token_group_quant_8bit_kernelIN3c108BFloat16ENS0_13Float8_e4m3fnELb1ELb0EfEvPKT_PvPT3_iiifffii, .Lfunc_end29-_Z33per_token_group_quant_8bit_kernelIN3c108BFloat16ENS0_13Float8_e4m3fnELb1ELb0EfEvPKT_PvPT3_iiifffii
                                        ; -- End function
	.section	.AMDGPU.csdata,"",@progbits
; Kernel info:
; codeLenInByte = 8504
; NumSgprs: 19
; NumVgprs: 39
; ScratchSize: 0
; MemoryBound: 0
; FloatMode: 240
; IeeeMode: 1
; LDSByteSize: 0 bytes/workgroup (compile time only)
; SGPRBlocks: 2
; VGPRBlocks: 4
; NumSGPRsForWavesPerEU: 19
; NumVGPRsForWavesPerEU: 39
; Occupancy: 16
; WaveLimiterHint : 0
; COMPUTE_PGM_RSRC2:SCRATCH_EN: 0
; COMPUTE_PGM_RSRC2:USER_SGPR: 15
; COMPUTE_PGM_RSRC2:TRAP_HANDLER: 0
; COMPUTE_PGM_RSRC2:TGID_X_EN: 1
; COMPUTE_PGM_RSRC2:TGID_Y_EN: 0
; COMPUTE_PGM_RSRC2:TGID_Z_EN: 0
; COMPUTE_PGM_RSRC2:TIDIG_COMP_CNT: 0
	.section	.text._Z33per_token_group_quant_8bit_kernelIN3c108BFloat16ENS0_13Float8_e4m3fnELb0ELb1EfEvPKT_PvPT3_iiifffii,"axG",@progbits,_Z33per_token_group_quant_8bit_kernelIN3c108BFloat16ENS0_13Float8_e4m3fnELb0ELb1EfEvPKT_PvPT3_iiifffii,comdat
	.protected	_Z33per_token_group_quant_8bit_kernelIN3c108BFloat16ENS0_13Float8_e4m3fnELb0ELb1EfEvPKT_PvPT3_iiifffii ; -- Begin function _Z33per_token_group_quant_8bit_kernelIN3c108BFloat16ENS0_13Float8_e4m3fnELb0ELb1EfEvPKT_PvPT3_iiifffii
	.globl	_Z33per_token_group_quant_8bit_kernelIN3c108BFloat16ENS0_13Float8_e4m3fnELb0ELb1EfEvPKT_PvPT3_iiifffii
	.p2align	8
	.type	_Z33per_token_group_quant_8bit_kernelIN3c108BFloat16ENS0_13Float8_e4m3fnELb0ELb1EfEvPKT_PvPT3_iiifffii,@function
_Z33per_token_group_quant_8bit_kernelIN3c108BFloat16ENS0_13Float8_e4m3fnELb0ELb1EfEvPKT_PvPT3_iiifffii: ; @_Z33per_token_group_quant_8bit_kernelIN3c108BFloat16ENS0_13Float8_e4m3fnELb0ELb1EfEvPKT_PvPT3_iiifffii
; %bb.0:
	s_clause 0x1
	s_load_b128 s[4:7], s[0:1], 0x20
	s_load_b32 s8, s[0:1], 0x18
	v_lshrrev_b32_e32 v3, 4, v0
	v_and_b32_e32 v12, 15, v0
	s_waitcnt lgkmcnt(0)
	s_mul_i32 s15, s15, s4
	s_ashr_i32 s4, s8, 31
	v_add_co_u32 v1, s2, s15, v3
	s_delay_alu instid0(VALU_DEP_1) | instskip(SKIP_1) | instid1(VALU_DEP_2)
	v_add_co_ci_u32_e64 v2, null, 0, 0, s2
	s_load_b64 s[2:3], s[0:1], 0x0
	v_mul_lo_u32 v7, v1, s4
	v_mad_u64_u32 v[4:5], null, v1, s8, 0
	s_delay_alu instid0(VALU_DEP_3) | instskip(SKIP_2) | instid1(SALU_CYCLE_1)
	v_mul_lo_u32 v6, v2, s8
	v_mul_lo_u32 v13, v3, s8
	s_and_b32 s9, s8, 7
                                        ; implicit-def: $vgpr3
	s_cmp_eq_u32 s9, 0
	s_cselect_b32 s4, -1, 0
	s_cmp_lg_u32 s9, 0
	s_delay_alu instid0(VALU_DEP_2) | instskip(NEXT) | instid1(VALU_DEP_2)
	v_add3_u32 v5, v5, v7, v6
	v_lshl_add_u32 v0, v13, 1, 0
	s_cselect_b32 s9, -1, 0
	s_delay_alu instid0(VALU_DEP_2) | instskip(SKIP_1) | instid1(VALU_DEP_1)
	v_lshlrev_b64 v[6:7], 1, v[4:5]
	s_waitcnt lgkmcnt(0)
	v_add_co_u32 v8, vcc_lo, s2, v6
	v_mov_b32_e32 v11, 0
	s_delay_alu instid0(VALU_DEP_3) | instskip(NEXT) | instid1(VALU_DEP_3)
	v_add_co_ci_u32_e32 v9, vcc_lo, s3, v7, vcc_lo
	v_and_b32_e32 v10, 15, v8
	s_delay_alu instid0(VALU_DEP_1) | instskip(SKIP_1) | instid1(SALU_CYCLE_1)
	v_cmp_ne_u64_e32 vcc_lo, 0, v[10:11]
	s_or_b32 s9, s9, vcc_lo
	s_and_saveexec_b32 s10, s9
	s_delay_alu instid0(SALU_CYCLE_1)
	s_xor_b32 s9, exec_lo, s10
	s_cbranch_execz .LBB30_12
; %bb.1:
	v_sub_nc_u32_e32 v3, 0, v8
	s_mov_b32 s10, exec_lo
	s_delay_alu instid0(VALU_DEP_1) | instskip(NEXT) | instid1(VALU_DEP_1)
	v_bfe_u32 v3, v3, 1, 3
	v_min_i32_e32 v10, s8, v3
	v_mov_b32_e32 v3, s5
	s_delay_alu instid0(VALU_DEP_2)
	v_cmpx_gt_i32_e64 v10, v12
	s_cbranch_execz .LBB30_3
; %bb.2:
	v_lshlrev_b32_e32 v3, 1, v12
	v_max_f32_e64 v11, s5, s5
	s_delay_alu instid0(VALU_DEP_2) | instskip(SKIP_4) | instid1(VALU_DEP_1)
	v_add_co_u32 v8, vcc_lo, v8, v3
	v_add_co_ci_u32_e32 v9, vcc_lo, 0, v9, vcc_lo
	global_load_u16 v8, v[8:9], off
	s_waitcnt vmcnt(0)
	v_lshlrev_b32_e32 v9, 16, v8
	v_max_f32_e64 v9, |v9|, |v9|
	s_delay_alu instid0(VALU_DEP_1)
	v_dual_max_f32 v3, v11, v9 :: v_dual_add_nc_u32 v14, v0, v3
	ds_store_b16 v14, v8
.LBB30_3:
	s_or_b32 exec_lo, exec_lo, s10
	v_sub_nc_u32_e32 v14, s8, v10
	v_ashrrev_i32_e32 v11, 31, v10
	v_lshlrev_b32_e32 v15, 1, v10
	s_mov_b32 s10, exec_lo
	s_delay_alu instid0(VALU_DEP_3) | instskip(NEXT) | instid1(VALU_DEP_1)
	v_ashrrev_i32_e32 v8, 31, v14
	v_lshrrev_b32_e32 v8, 29, v8
	s_delay_alu instid0(VALU_DEP_1) | instskip(NEXT) | instid1(VALU_DEP_1)
	v_add_nc_u32_e32 v8, v14, v8
	v_ashrrev_i32_e32 v16, 3, v8
	v_lshlrev_b64 v[8:9], 1, v[10:11]
	s_delay_alu instid0(VALU_DEP_2)
	v_cmpx_gt_i32_e64 v16, v12
	s_cbranch_execz .LBB30_7
; %bb.4:
	v_lshlrev_b32_e32 v10, 4, v12
	s_mov_b32 s11, 0
	s_delay_alu instid0(VALU_DEP_1) | instskip(SKIP_2) | instid1(VALU_DEP_3)
	v_add_co_u32 v11, vcc_lo, v6, v10
	v_add_co_ci_u32_e32 v17, vcc_lo, 0, v7, vcc_lo
	v_lshl_add_u32 v10, v13, 1, v10
	v_add_co_u32 v11, vcc_lo, v11, v8
	s_delay_alu instid0(VALU_DEP_3) | instskip(NEXT) | instid1(VALU_DEP_2)
	v_add_co_ci_u32_e32 v17, vcc_lo, v17, v9, vcc_lo
	v_add_co_u32 v11, vcc_lo, v11, s2
	s_delay_alu instid0(VALU_DEP_2) | instskip(SKIP_1) | instid1(VALU_DEP_3)
	v_add_co_ci_u32_e32 v18, vcc_lo, s3, v17, vcc_lo
	v_add3_u32 v17, v10, v15, 0
	v_add_co_u32 v10, vcc_lo, v11, 8
	s_delay_alu instid0(VALU_DEP_3)
	v_add_co_ci_u32_e32 v11, vcc_lo, 0, v18, vcc_lo
	v_mov_b32_e32 v18, v12
	s_set_inst_prefetch_distance 0x1
	.p2align	6
.LBB30_5:                               ; =>This Inner Loop Header: Depth=1
	global_load_b128 v[19:22], v[10:11], off offset:-8
	v_add_nc_u32_e32 v18, 16, v18
	v_add_co_u32 v10, vcc_lo, 0x100, v10
	v_add_co_ci_u32_e32 v11, vcc_lo, 0, v11, vcc_lo
	s_delay_alu instid0(VALU_DEP_3)
	v_cmp_ge_i32_e32 vcc_lo, v18, v16
	s_or_b32 s11, vcc_lo, s11
	s_waitcnt vmcnt(0)
	v_lshlrev_b32_e32 v23, 16, v19
	v_and_b32_e32 v24, 0xffff0000, v19
	v_lshlrev_b32_e32 v25, 16, v20
	v_and_b32_e32 v26, 0xffff0000, v20
	ds_store_b128 v17, v[19:22]
	v_add_nc_u32_e32 v17, 0x100, v17
	v_max3_f32 v3, v3, |v23|, |v24|
	v_lshlrev_b32_e32 v23, 16, v21
	v_and_b32_e32 v24, 0xffff0000, v21
	s_delay_alu instid0(VALU_DEP_3) | instskip(SKIP_2) | instid1(VALU_DEP_3)
	v_max3_f32 v3, v3, |v25|, |v26|
	v_lshlrev_b32_e32 v25, 16, v22
	v_and_b32_e32 v26, 0xffff0000, v22
	v_max3_f32 v3, v3, |v23|, |v24|
	s_delay_alu instid0(VALU_DEP_1)
	v_max3_f32 v3, v3, |v25|, |v26|
	s_and_not1_b32 exec_lo, exec_lo, s11
	s_cbranch_execnz .LBB30_5
; %bb.6:
	s_set_inst_prefetch_distance 0x2
	s_or_b32 exec_lo, exec_lo, s11
.LBB30_7:
	s_delay_alu instid0(SALU_CYCLE_1) | instskip(SKIP_2) | instid1(VALU_DEP_1)
	s_or_b32 exec_lo, exec_lo, s10
	v_lshl_add_u32 v10, v16, 3, v12
	s_mov_b32 s10, exec_lo
	v_cmpx_lt_i32_e64 v10, v14
	s_cbranch_execz .LBB30_11
; %bb.8:
	v_ashrrev_i32_e32 v11, 31, v10
	v_lshlrev_b32_e32 v19, 4, v16
	v_add_co_u32 v6, vcc_lo, v6, v8
	v_lshlrev_b32_e32 v18, 1, v13
	s_delay_alu instid0(VALU_DEP_4) | instskip(SKIP_2) | instid1(VALU_DEP_4)
	v_lshlrev_b64 v[16:17], 1, v[10:11]
	v_add_co_ci_u32_e32 v7, vcc_lo, v7, v9, vcc_lo
	v_lshlrev_b32_e32 v20, 1, v12
	v_add3_u32 v8, v18, v19, v15
	s_mov_b32 s11, 0
	s_delay_alu instid0(VALU_DEP_4) | instskip(SKIP_1) | instid1(VALU_DEP_3)
	v_add_co_u32 v6, vcc_lo, v6, v16
	v_add_co_ci_u32_e32 v7, vcc_lo, v7, v17, vcc_lo
	v_add3_u32 v8, v8, v20, 0
	s_delay_alu instid0(VALU_DEP_3) | instskip(NEXT) | instid1(VALU_DEP_3)
	v_add_co_u32 v6, vcc_lo, s2, v6
	v_add_co_ci_u32_e32 v7, vcc_lo, s3, v7, vcc_lo
	.p2align	6
.LBB30_9:                               ; =>This Inner Loop Header: Depth=1
	global_load_u16 v9, v[6:7], off
	v_dual_max_f32 v3, v3, v3 :: v_dual_add_nc_u32 v10, 16, v10
	v_add_co_u32 v6, vcc_lo, v6, 32
	v_add_co_ci_u32_e32 v7, vcc_lo, 0, v7, vcc_lo
	s_delay_alu instid0(VALU_DEP_3)
	v_cmp_ge_i32_e32 vcc_lo, v10, v14
	s_or_b32 s11, vcc_lo, s11
	s_waitcnt vmcnt(0)
	v_lshlrev_b32_e32 v11, 16, v9
	ds_store_b16 v8, v9
	v_max_f32_e64 v11, |v11|, |v11|
	s_delay_alu instid0(VALU_DEP_1)
	v_dual_max_f32 v3, v3, v11 :: v_dual_add_nc_u32 v8, 32, v8
	s_and_not1_b32 exec_lo, exec_lo, s11
	s_cbranch_execnz .LBB30_9
; %bb.10:
	s_or_b32 exec_lo, exec_lo, s11
.LBB30_11:
	s_delay_alu instid0(SALU_CYCLE_1)
	s_or_b32 exec_lo, exec_lo, s10
                                        ; implicit-def: $vgpr6_vgpr7
.LBB30_12:
	s_and_not1_saveexec_b32 s9, s9
	s_cbranch_execz .LBB30_18
; %bb.13:
	v_mov_b32_e32 v3, s5
	s_ashr_i32 s11, s8, 3
	s_mov_b32 s10, exec_lo
	v_cmpx_gt_i32_e64 s11, v12
	s_cbranch_execz .LBB30_17
; %bb.14:
	v_dual_mov_b32 v3, s5 :: v_dual_lshlrev_b32 v8, 4, v12
	v_lshlrev_b32_e32 v9, 1, v13
	s_delay_alu instid0(VALU_DEP_2) | instskip(SKIP_1) | instid1(VALU_DEP_3)
	v_add_co_u32 v6, vcc_lo, v6, v8
	v_add_co_ci_u32_e32 v7, vcc_lo, 0, v7, vcc_lo
	v_add3_u32 v8, v9, v8, 0
	s_delay_alu instid0(VALU_DEP_3) | instskip(NEXT) | instid1(VALU_DEP_3)
	v_add_co_u32 v6, vcc_lo, v6, s2
	v_add_co_ci_u32_e32 v7, vcc_lo, s3, v7, vcc_lo
	v_mov_b32_e32 v9, v12
	s_delay_alu instid0(VALU_DEP_3) | instskip(NEXT) | instid1(VALU_DEP_3)
	v_add_co_u32 v6, vcc_lo, v6, 8
	v_add_co_ci_u32_e32 v7, vcc_lo, 0, v7, vcc_lo
	s_mov_b32 s2, 0
	s_set_inst_prefetch_distance 0x1
	.p2align	6
.LBB30_15:                              ; =>This Inner Loop Header: Depth=1
	global_load_b128 v[14:17], v[6:7], off offset:-8
	v_add_nc_u32_e32 v9, 16, v9
	v_add_co_u32 v6, vcc_lo, 0x100, v6
	v_add_co_ci_u32_e32 v7, vcc_lo, 0, v7, vcc_lo
	s_delay_alu instid0(VALU_DEP_3)
	v_cmp_le_i32_e32 vcc_lo, s11, v9
	s_or_b32 s2, vcc_lo, s2
	s_waitcnt vmcnt(0)
	v_lshlrev_b32_e32 v10, 16, v14
	v_and_b32_e32 v11, 0xffff0000, v14
	v_lshlrev_b32_e32 v18, 16, v15
	v_and_b32_e32 v19, 0xffff0000, v15
	ds_store_b128 v8, v[14:17]
	v_add_nc_u32_e32 v8, 0x100, v8
	v_max3_f32 v3, v3, |v10|, |v11|
	v_lshlrev_b32_e32 v10, 16, v16
	v_and_b32_e32 v11, 0xffff0000, v16
	s_delay_alu instid0(VALU_DEP_3) | instskip(SKIP_2) | instid1(VALU_DEP_3)
	v_max3_f32 v3, v3, |v18|, |v19|
	v_lshlrev_b32_e32 v18, 16, v17
	v_and_b32_e32 v19, 0xffff0000, v17
	v_max3_f32 v3, v3, |v10|, |v11|
	s_delay_alu instid0(VALU_DEP_1)
	v_max3_f32 v3, v3, |v18|, |v19|
	s_and_not1_b32 exec_lo, exec_lo, s2
	s_cbranch_execnz .LBB30_15
; %bb.16:
	s_set_inst_prefetch_distance 0x2
	s_or_b32 exec_lo, exec_lo, s2
.LBB30_17:
	s_delay_alu instid0(SALU_CYCLE_1)
	s_or_b32 exec_lo, exec_lo, s10
.LBB30_18:
	s_delay_alu instid0(SALU_CYCLE_1) | instskip(SKIP_3) | instid1(VALU_DEP_1)
	s_or_b32 exec_lo, exec_lo, s9
	v_mbcnt_lo_u32_b32 v6, -1, 0
	s_load_b64 s[2:3], s[0:1], 0x8
	s_mov_b32 s5, exec_lo
	v_xor_b32_e32 v8, 8, v6
	v_and_b32_e32 v7, 16, v6
	v_xor_b32_e32 v9, 4, v6
	s_delay_alu instid0(VALU_DEP_2) | instskip(NEXT) | instid1(VALU_DEP_1)
	v_add_nc_u32_e32 v7, 16, v7
	v_cmp_lt_i32_e32 vcc_lo, v8, v7
	v_cndmask_b32_e32 v8, v6, v8, vcc_lo
	s_delay_alu instid0(VALU_DEP_1) | instskip(SKIP_4) | instid1(VALU_DEP_2)
	v_lshlrev_b32_e32 v8, 2, v8
	ds_bpermute_b32 v8, v8, v3
	s_waitcnt lgkmcnt(0)
	v_dual_max_f32 v3, v3, v3 :: v_dual_max_f32 v8, v8, v8
	v_cmp_lt_i32_e32 vcc_lo, v9, v7
	v_max_f32_e32 v3, v3, v8
	v_cndmask_b32_e32 v9, v6, v9, vcc_lo
	s_delay_alu instid0(VALU_DEP_1) | instskip(SKIP_2) | instid1(VALU_DEP_1)
	v_lshlrev_b32_e32 v9, 2, v9
	ds_bpermute_b32 v8, v9, v3
	v_xor_b32_e32 v9, 2, v6
	v_cmp_lt_i32_e32 vcc_lo, v9, v7
	v_cndmask_b32_e32 v9, v6, v9, vcc_lo
	s_waitcnt lgkmcnt(0)
	s_delay_alu instid0(VALU_DEP_1) | instskip(NEXT) | instid1(VALU_DEP_1)
	v_dual_max_f32 v8, v8, v8 :: v_dual_lshlrev_b32 v9, 2, v9
	v_max_f32_e32 v3, v3, v8
	ds_bpermute_b32 v8, v9, v3
	v_xor_b32_e32 v9, 1, v6
	s_delay_alu instid0(VALU_DEP_1) | instskip(SKIP_2) | instid1(VALU_DEP_1)
	v_cmp_lt_i32_e32 vcc_lo, v9, v7
	v_cndmask_b32_e32 v6, v6, v9, vcc_lo
	s_waitcnt lgkmcnt(0)
	v_dual_max_f32 v7, v8, v8 :: v_dual_lshlrev_b32 v6, 2, v6
	s_delay_alu instid0(VALU_DEP_1) | instskip(SKIP_3) | instid1(VALU_DEP_1)
	v_max_f32_e32 v3, v3, v7
	ds_bpermute_b32 v6, v6, v3
	s_waitcnt lgkmcnt(0)
	v_max_f32_e32 v6, v6, v6
	v_max_f32_e32 v3, v3, v6
	s_delay_alu instid0(VALU_DEP_1) | instskip(SKIP_1) | instid1(VALU_DEP_2)
	v_div_scale_f32 v6, null, s7, s7, v3
	v_div_scale_f32 v9, vcc_lo, v3, s7, v3
	v_rcp_f32_e32 v7, v6
	s_waitcnt_depctr 0xfff
	v_fma_f32 v8, -v6, v7, 1.0
	s_delay_alu instid0(VALU_DEP_1) | instskip(NEXT) | instid1(VALU_DEP_1)
	v_fmac_f32_e32 v7, v8, v7
	v_mul_f32_e32 v8, v9, v7
	s_delay_alu instid0(VALU_DEP_1) | instskip(NEXT) | instid1(VALU_DEP_1)
	v_fma_f32 v10, -v6, v8, v9
	v_fmac_f32_e32 v8, v10, v7
	s_delay_alu instid0(VALU_DEP_1) | instskip(NEXT) | instid1(VALU_DEP_1)
	v_fma_f32 v6, -v6, v8, v9
	v_div_fmas_f32 v6, v6, v7, v8
	s_delay_alu instid0(VALU_DEP_1) | instskip(NEXT) | instid1(VALU_DEP_1)
	v_div_fixup_f32 v3, v6, s7, v3
	v_max_f32_e64 v3, 0x2edbe6ff, |v3|
	s_delay_alu instid0(VALU_DEP_1) | instskip(SKIP_1) | instid1(VALU_DEP_1)
	v_cmp_gt_f32_e32 vcc_lo, 0x800000, v3
	v_cndmask_b32_e64 v6, 1.0, 0x4f800000, vcc_lo
	v_mul_f32_e32 v3, v3, v6
	v_cndmask_b32_e64 v6, 0, 0x42000000, vcc_lo
	s_delay_alu instid0(VALU_DEP_2) | instskip(SKIP_2) | instid1(VALU_DEP_1)
	v_log_f32_e32 v3, v3
	s_waitcnt_depctr 0xfff
	v_sub_f32_e32 v3, v3, v6
	v_ceil_f32_e32 v3, v3
	s_delay_alu instid0(VALU_DEP_1) | instskip(SKIP_1) | instid1(VALU_DEP_1)
	v_cmp_gt_f32_e32 vcc_lo, 0xc2fc0000, v3
	v_cndmask_b32_e64 v6, 0, 0x42800000, vcc_lo
	v_add_f32_e32 v3, v3, v6
	v_cndmask_b32_e64 v6, 1.0, 0x1f800000, vcc_lo
	s_delay_alu instid0(VALU_DEP_2)
	v_exp_f32_e32 v3, v3
	s_waitcnt_depctr 0xfff
	v_mul_f32_e32 v8, v3, v6
	v_cmpx_eq_u32_e32 0, v12
	s_cbranch_execz .LBB30_20
; %bb.19:
	s_load_b64 s[0:1], s[0:1], 0x10
	v_lshlrev_b64 v[1:2], 2, v[1:2]
	s_waitcnt lgkmcnt(0)
	s_delay_alu instid0(VALU_DEP_1) | instskip(NEXT) | instid1(VALU_DEP_2)
	v_add_co_u32 v1, vcc_lo, s0, v1
	v_add_co_ci_u32_e32 v2, vcc_lo, s1, v2, vcc_lo
	global_store_b32 v[1:2], v8, off
.LBB30_20:
	s_or_b32 exec_lo, exec_lo, s5
	v_dual_mov_b32 v2, 0 :: v_dual_and_b32 v1, 15, v0
	s_xor_b32 s0, s4, -1
	s_waitcnt_vscnt null, 0x0
	s_barrier
	buffer_gl0_inv
	v_cmp_ne_u64_e32 vcc_lo, 0, v[1:2]
	s_or_b32 s0, s0, vcc_lo
	s_delay_alu instid0(SALU_CYCLE_1) | instskip(NEXT) | instid1(SALU_CYCLE_1)
	s_and_saveexec_b32 s1, s0
	s_xor_b32 s4, exec_lo, s1
	s_cbranch_execz .LBB30_97
; %bb.21:
	v_sub_nc_u32_e32 v1, 0, v0
	v_add_co_u32 v15, vcc_lo, s2, v4
	v_add_co_ci_u32_e32 v16, vcc_lo, s3, v5, vcc_lo
	s_delay_alu instid0(VALU_DEP_3) | instskip(SKIP_1) | instid1(VALU_DEP_1)
	v_bfe_u32 v1, v1, 1, 3
	s_mov_b32 s0, exec_lo
	v_min_i32_e32 v10, s8, v1
	s_delay_alu instid0(VALU_DEP_1)
	v_cmpx_gt_i32_e64 v10, v12
	s_cbranch_execz .LBB30_29
; %bb.22:
	v_lshl_add_u32 v0, v12, 1, v0
	s_mov_b32 s1, exec_lo
	ds_load_u16 v0, v0
	s_waitcnt lgkmcnt(0)
	v_lshlrev_b32_e32 v0, 16, v0
	s_delay_alu instid0(VALU_DEP_1) | instskip(SKIP_1) | instid1(VALU_DEP_2)
	v_div_scale_f32 v1, null, v8, v8, v0
	v_div_scale_f32 v6, vcc_lo, v0, v8, v0
	v_rcp_f32_e32 v2, v1
	s_waitcnt_depctr 0xfff
	v_fma_f32 v3, -v1, v2, 1.0
	s_delay_alu instid0(VALU_DEP_1) | instskip(NEXT) | instid1(VALU_DEP_1)
	v_fmac_f32_e32 v2, v3, v2
	v_mul_f32_e32 v3, v6, v2
	s_delay_alu instid0(VALU_DEP_1) | instskip(NEXT) | instid1(VALU_DEP_1)
	v_fma_f32 v7, -v1, v3, v6
	v_fmac_f32_e32 v3, v7, v2
	s_delay_alu instid0(VALU_DEP_1) | instskip(NEXT) | instid1(VALU_DEP_1)
	v_fma_f32 v1, -v1, v3, v6
	v_div_fmas_f32 v1, v1, v2, v3
	v_max_f32_e64 v2, s6, s6
	v_max_f32_e64 v3, s7, s7
	s_delay_alu instid0(VALU_DEP_3) | instskip(SKIP_1) | instid1(VALU_DEP_2)
	v_div_fixup_f32 v0, v1, v8, v0
	v_mov_b32_e32 v1, 0x7f
	v_maxmin_f32 v0, v0, v2, v3
	s_delay_alu instid0(VALU_DEP_1) | instskip(NEXT) | instid1(VALU_DEP_1)
	v_and_b32_e32 v2, 0x7fffffff, v0
	v_cmpx_gt_u32_e32 0x43f00000, v2
	s_cbranch_execz .LBB30_28
; %bb.23:
	s_mov_b32 s5, exec_lo
                                        ; implicit-def: $vgpr1
	v_cmpx_lt_u32_e32 0x3c7fffff, v2
	s_xor_b32 s5, exec_lo, s5
; %bb.24:
	v_bfe_u32 v1, v0, 20, 1
	s_delay_alu instid0(VALU_DEP_1) | instskip(NEXT) | instid1(VALU_DEP_1)
	v_add3_u32 v1, v0, v1, 0x407ffff
	v_lshrrev_b32_e32 v1, 20, v1
; %bb.25:
	s_and_not1_saveexec_b32 s5, s5
; %bb.26:
	v_add_f32_e64 v1, 0x46800000, |v0|
; %bb.27:
	s_or_b32 exec_lo, exec_lo, s5
.LBB30_28:
	s_delay_alu instid0(SALU_CYCLE_1) | instskip(SKIP_3) | instid1(VALU_DEP_3)
	s_or_b32 exec_lo, exec_lo, s1
	v_lshrrev_b32_e32 v0, 24, v0
	v_add_co_u32 v2, vcc_lo, v15, v12
	v_add_co_ci_u32_e32 v3, vcc_lo, 0, v16, vcc_lo
	v_and_or_b32 v0, 0x80, v0, v1
	global_store_b8 v[2:3], v0, off
.LBB30_29:
	s_or_b32 exec_lo, exec_lo, s0
	v_sub_nc_u32_e32 v9, s8, v10
	v_ashrrev_i32_e32 v11, 31, v10
	v_lshlrev_b32_e32 v14, 1, v10
	s_mov_b32 s1, exec_lo
	s_delay_alu instid0(VALU_DEP_3) | instskip(NEXT) | instid1(VALU_DEP_1)
	v_ashrrev_i32_e32 v0, 31, v9
	v_lshrrev_b32_e32 v0, 29, v0
	s_delay_alu instid0(VALU_DEP_1) | instskip(NEXT) | instid1(VALU_DEP_1)
	v_add_nc_u32_e32 v0, v9, v0
	v_ashrrev_i32_e32 v17, 3, v0
	s_delay_alu instid0(VALU_DEP_1)
	v_cmpx_gt_i32_e64 v17, v12
	s_cbranch_execz .LBB30_80
; %bb.30:
	v_dual_mov_b32 v21, v12 :: v_dual_lshlrev_b32 v0, 4, v12
	v_lshlrev_b32_e32 v1, 3, v12
	v_add_co_u32 v2, vcc_lo, v10, v4
	v_add_co_ci_u32_e32 v3, vcc_lo, v11, v5, vcc_lo
	s_delay_alu instid0(VALU_DEP_4) | instskip(SKIP_1) | instid1(VALU_DEP_4)
	v_lshl_add_u32 v0, v13, 1, v0
	v_lshlrev_b32_e32 v6, 1, v10
	v_add_co_u32 v1, vcc_lo, v2, v1
	s_delay_alu instid0(VALU_DEP_4) | instskip(NEXT) | instid1(VALU_DEP_3)
	v_add_co_ci_u32_e32 v2, vcc_lo, 0, v3, vcc_lo
	v_add3_u32 v18, v0, v6, 0
	s_delay_alu instid0(VALU_DEP_3) | instskip(NEXT) | instid1(VALU_DEP_3)
	v_add_co_u32 v6, vcc_lo, s2, v1
	v_add_co_ci_u32_e32 v7, vcc_lo, s3, v2, vcc_lo
	v_max_f32_e64 v19, s6, s6
	v_max_f32_e64 v20, s7, s7
	s_mov_b32 s5, 0
	s_branch .LBB30_33
.LBB30_31:                              ;   in Loop: Header=BB30_33 Depth=1
	s_or_b32 exec_lo, exec_lo, s9
.LBB30_32:                              ;   in Loop: Header=BB30_33 Depth=1
	s_delay_alu instid0(SALU_CYCLE_1)
	s_or_b32 exec_lo, exec_lo, s0
	v_lshrrev_b32_e32 v33, 24, v33
	v_lshrrev_b32_e32 v27, 24, v27
	;; [unrolled: 1-line block ×5, first 2 shown]
	v_and_b32_e32 v33, 0x80, v33
	v_and_b32_e32 v27, 0x80, v27
	v_lshrrev_b32_e32 v30, 24, v30
	v_and_b32_e32 v2, 0x80, v2
	v_lshrrev_b32_e32 v24, 24, v24
	v_and_or_b32 v3, 0x80, v3, v32
	v_and_or_b32 v31, 0xff, v31, v33
	v_and_b32_e32 v0, 0x80, v0
	v_and_or_b32 v26, 0xff, v26, v27
	v_and_b32_e32 v30, 0x80, v30
	v_and_b32_e32 v24, 0x80, v24
	v_lshlrev_b32_e32 v3, 24, v3
	v_lshlrev_b32_e32 v31, 16, v31
	v_and_or_b32 v2, 0xff, v29, v2
	v_lshlrev_b32_e32 v25, 24, v25
	v_and_b32_e32 v1, 0x80000000, v1
	v_and_or_b32 v0, 0xff, v23, v0
	v_lshlrev_b32_e32 v23, 16, v26
	v_or_b32_e32 v3, v3, v31
	v_lshlrev_b32_e32 v2, 8, v2
	v_and_or_b32 v26, 0xff, v28, v30
	v_lshlrev_b32_e32 v0, 8, v0
	v_or3_b32 v23, v25, v1, v23
	v_and_or_b32 v22, 0xff, v22, v24
	v_add_nc_u32_e32 v21, 16, v21
	v_or3_b32 v1, v3, v2, v26
	v_add_nc_u32_e32 v18, 0x100, v18
	s_delay_alu instid0(VALU_DEP_4) | instskip(NEXT) | instid1(VALU_DEP_4)
	v_or3_b32 v0, v23, v0, v22
	v_cmp_ge_i32_e32 vcc_lo, v21, v17
	global_store_b64 v[6:7], v[0:1], off
	v_add_co_u32 v6, s0, 0x80, v6
	s_delay_alu instid0(VALU_DEP_1) | instskip(SKIP_1) | instid1(SALU_CYCLE_1)
	v_add_co_ci_u32_e64 v7, s0, 0, v7, s0
	s_or_b32 s5, vcc_lo, s5
	s_and_not1_b32 exec_lo, exec_lo, s5
	s_cbranch_execz .LBB30_80
.LBB30_33:                              ; =>This Inner Loop Header: Depth=1
	ds_load_b128 v[0:3], v18
	s_mov_b32 s0, exec_lo
	s_waitcnt lgkmcnt(0)
	v_lshlrev_b32_e32 v22, 16, v0
	s_delay_alu instid0(VALU_DEP_1) | instskip(SKIP_1) | instid1(VALU_DEP_2)
	v_div_scale_f32 v23, null, v8, v8, v22
	v_div_scale_f32 v26, vcc_lo, v22, v8, v22
	v_rcp_f32_e32 v24, v23
	s_waitcnt_depctr 0xfff
	v_fma_f32 v25, -v23, v24, 1.0
	s_delay_alu instid0(VALU_DEP_1) | instskip(NEXT) | instid1(VALU_DEP_1)
	v_fmac_f32_e32 v24, v25, v24
	v_mul_f32_e32 v25, v26, v24
	s_delay_alu instid0(VALU_DEP_1) | instskip(NEXT) | instid1(VALU_DEP_1)
	v_fma_f32 v27, -v23, v25, v26
	v_fmac_f32_e32 v25, v27, v24
	s_delay_alu instid0(VALU_DEP_1) | instskip(NEXT) | instid1(VALU_DEP_1)
	v_fma_f32 v23, -v23, v25, v26
	v_div_fmas_f32 v23, v23, v24, v25
	s_delay_alu instid0(VALU_DEP_1) | instskip(SKIP_1) | instid1(VALU_DEP_2)
	v_div_fixup_f32 v22, v23, v8, v22
	v_mov_b32_e32 v23, 0x7f
	v_maxmin_f32 v24, v22, v19, v20
	v_mov_b32_e32 v22, 0x7f
	s_delay_alu instid0(VALU_DEP_2) | instskip(NEXT) | instid1(VALU_DEP_1)
	v_and_b32_e32 v25, 0x7fffffff, v24
	v_cmpx_gt_u32_e32 0x43f00000, v25
	s_cbranch_execz .LBB30_39
; %bb.34:                               ;   in Loop: Header=BB30_33 Depth=1
	s_mov_b32 s9, exec_lo
                                        ; implicit-def: $vgpr22
	v_cmpx_lt_u32_e32 0x3c7fffff, v25
	s_xor_b32 s9, exec_lo, s9
; %bb.35:                               ;   in Loop: Header=BB30_33 Depth=1
	v_bfe_u32 v22, v24, 20, 1
	s_delay_alu instid0(VALU_DEP_1) | instskip(NEXT) | instid1(VALU_DEP_1)
	v_add3_u32 v22, v24, v22, 0x407ffff
	v_lshrrev_b32_e32 v22, 20, v22
; %bb.36:                               ;   in Loop: Header=BB30_33 Depth=1
	s_and_not1_saveexec_b32 s9, s9
; %bb.37:                               ;   in Loop: Header=BB30_33 Depth=1
	v_add_f32_e64 v22, 0x46800000, |v24|
; %bb.38:                               ;   in Loop: Header=BB30_33 Depth=1
	s_or_b32 exec_lo, exec_lo, s9
.LBB30_39:                              ;   in Loop: Header=BB30_33 Depth=1
	s_delay_alu instid0(SALU_CYCLE_1) | instskip(SKIP_2) | instid1(VALU_DEP_1)
	s_or_b32 exec_lo, exec_lo, s0
	v_and_b32_e32 v0, 0xffff0000, v0
	s_mov_b32 s0, exec_lo
	v_div_scale_f32 v25, null, v8, v8, v0
	s_delay_alu instid0(VALU_DEP_1) | instskip(SKIP_2) | instid1(VALU_DEP_1)
	v_rcp_f32_e32 v26, v25
	s_waitcnt_depctr 0xfff
	v_fma_f32 v27, -v25, v26, 1.0
	v_fmac_f32_e32 v26, v27, v26
	v_div_scale_f32 v27, vcc_lo, v0, v8, v0
	s_delay_alu instid0(VALU_DEP_1) | instskip(NEXT) | instid1(VALU_DEP_1)
	v_mul_f32_e32 v28, v27, v26
	v_fma_f32 v29, -v25, v28, v27
	s_delay_alu instid0(VALU_DEP_1) | instskip(NEXT) | instid1(VALU_DEP_1)
	v_fmac_f32_e32 v28, v29, v26
	v_fma_f32 v25, -v25, v28, v27
	s_delay_alu instid0(VALU_DEP_1) | instskip(NEXT) | instid1(VALU_DEP_1)
	v_div_fmas_f32 v25, v25, v26, v28
	v_div_fixup_f32 v0, v25, v8, v0
	s_delay_alu instid0(VALU_DEP_1) | instskip(NEXT) | instid1(VALU_DEP_1)
	v_maxmin_f32 v0, v0, v19, v20
	v_and_b32_e32 v25, 0x7fffffff, v0
	s_delay_alu instid0(VALU_DEP_1)
	v_cmpx_gt_u32_e32 0x43f00000, v25
	s_cbranch_execz .LBB30_45
; %bb.40:                               ;   in Loop: Header=BB30_33 Depth=1
	s_mov_b32 s9, exec_lo
                                        ; implicit-def: $vgpr23
	v_cmpx_lt_u32_e32 0x3c7fffff, v25
	s_xor_b32 s9, exec_lo, s9
; %bb.41:                               ;   in Loop: Header=BB30_33 Depth=1
	v_bfe_u32 v23, v0, 20, 1
	s_delay_alu instid0(VALU_DEP_1) | instskip(NEXT) | instid1(VALU_DEP_1)
	v_add3_u32 v23, v0, v23, 0x407ffff
	v_lshrrev_b32_e32 v23, 20, v23
; %bb.42:                               ;   in Loop: Header=BB30_33 Depth=1
	s_and_not1_saveexec_b32 s9, s9
; %bb.43:                               ;   in Loop: Header=BB30_33 Depth=1
	v_add_f32_e64 v23, 0x46800000, |v0|
; %bb.44:                               ;   in Loop: Header=BB30_33 Depth=1
	s_or_b32 exec_lo, exec_lo, s9
.LBB30_45:                              ;   in Loop: Header=BB30_33 Depth=1
	s_delay_alu instid0(SALU_CYCLE_1) | instskip(SKIP_2) | instid1(VALU_DEP_1)
	s_or_b32 exec_lo, exec_lo, s0
	v_lshlrev_b32_e32 v25, 16, v1
	s_mov_b32 s0, exec_lo
	v_div_scale_f32 v26, null, v8, v8, v25
	v_div_scale_f32 v29, vcc_lo, v25, v8, v25
	s_delay_alu instid0(VALU_DEP_2) | instskip(SKIP_2) | instid1(VALU_DEP_1)
	v_rcp_f32_e32 v27, v26
	s_waitcnt_depctr 0xfff
	v_fma_f32 v28, -v26, v27, 1.0
	v_fmac_f32_e32 v27, v28, v27
	s_delay_alu instid0(VALU_DEP_1) | instskip(NEXT) | instid1(VALU_DEP_1)
	v_mul_f32_e32 v28, v29, v27
	v_fma_f32 v30, -v26, v28, v29
	s_delay_alu instid0(VALU_DEP_1) | instskip(NEXT) | instid1(VALU_DEP_1)
	v_fmac_f32_e32 v28, v30, v27
	v_fma_f32 v26, -v26, v28, v29
	s_delay_alu instid0(VALU_DEP_1) | instskip(NEXT) | instid1(VALU_DEP_1)
	v_div_fmas_f32 v26, v26, v27, v28
	v_div_fixup_f32 v25, v26, v8, v25
	v_mov_b32_e32 v26, 0x7f
	s_delay_alu instid0(VALU_DEP_2) | instskip(SKIP_1) | instid1(VALU_DEP_2)
	v_maxmin_f32 v27, v25, v19, v20
	v_mov_b32_e32 v25, 0x7f
	v_and_b32_e32 v28, 0x7fffffff, v27
	s_delay_alu instid0(VALU_DEP_1)
	v_cmpx_gt_u32_e32 0x43f00000, v28
	s_cbranch_execz .LBB30_51
; %bb.46:                               ;   in Loop: Header=BB30_33 Depth=1
	s_mov_b32 s9, exec_lo
                                        ; implicit-def: $vgpr26
	v_cmpx_lt_u32_e32 0x3c7fffff, v28
	s_xor_b32 s9, exec_lo, s9
; %bb.47:                               ;   in Loop: Header=BB30_33 Depth=1
	v_bfe_u32 v26, v27, 20, 1
	s_delay_alu instid0(VALU_DEP_1) | instskip(NEXT) | instid1(VALU_DEP_1)
	v_add3_u32 v26, v27, v26, 0x407ffff
	v_lshrrev_b32_e32 v26, 20, v26
; %bb.48:                               ;   in Loop: Header=BB30_33 Depth=1
	s_and_not1_saveexec_b32 s9, s9
; %bb.49:                               ;   in Loop: Header=BB30_33 Depth=1
	v_add_f32_e64 v26, 0x46800000, |v27|
; %bb.50:                               ;   in Loop: Header=BB30_33 Depth=1
	s_or_b32 exec_lo, exec_lo, s9
.LBB30_51:                              ;   in Loop: Header=BB30_33 Depth=1
	s_delay_alu instid0(SALU_CYCLE_1) | instskip(SKIP_2) | instid1(VALU_DEP_1)
	s_or_b32 exec_lo, exec_lo, s0
	v_and_b32_e32 v1, 0xffff0000, v1
	s_mov_b32 s0, exec_lo
	v_div_scale_f32 v28, null, v8, v8, v1
	s_delay_alu instid0(VALU_DEP_1) | instskip(SKIP_2) | instid1(VALU_DEP_1)
	v_rcp_f32_e32 v29, v28
	s_waitcnt_depctr 0xfff
	v_fma_f32 v30, -v28, v29, 1.0
	v_fmac_f32_e32 v29, v30, v29
	v_div_scale_f32 v30, vcc_lo, v1, v8, v1
	s_delay_alu instid0(VALU_DEP_1) | instskip(NEXT) | instid1(VALU_DEP_1)
	v_mul_f32_e32 v31, v30, v29
	v_fma_f32 v32, -v28, v31, v30
	s_delay_alu instid0(VALU_DEP_1) | instskip(NEXT) | instid1(VALU_DEP_1)
	v_fmac_f32_e32 v31, v32, v29
	v_fma_f32 v28, -v28, v31, v30
	s_delay_alu instid0(VALU_DEP_1) | instskip(NEXT) | instid1(VALU_DEP_1)
	v_div_fmas_f32 v28, v28, v29, v31
	v_div_fixup_f32 v1, v28, v8, v1
	s_delay_alu instid0(VALU_DEP_1) | instskip(NEXT) | instid1(VALU_DEP_1)
	v_maxmin_f32 v1, v1, v19, v20
	v_and_b32_e32 v28, 0x7fffffff, v1
	s_delay_alu instid0(VALU_DEP_1)
	v_cmpx_gt_u32_e32 0x43f00000, v28
	s_cbranch_execz .LBB30_57
; %bb.52:                               ;   in Loop: Header=BB30_33 Depth=1
	s_mov_b32 s9, exec_lo
                                        ; implicit-def: $vgpr25
	v_cmpx_lt_u32_e32 0x3c7fffff, v28
	s_xor_b32 s9, exec_lo, s9
; %bb.53:                               ;   in Loop: Header=BB30_33 Depth=1
	v_bfe_u32 v25, v1, 20, 1
	s_delay_alu instid0(VALU_DEP_1) | instskip(NEXT) | instid1(VALU_DEP_1)
	v_add3_u32 v25, v1, v25, 0x407ffff
	v_lshrrev_b32_e32 v25, 20, v25
; %bb.54:                               ;   in Loop: Header=BB30_33 Depth=1
	s_and_not1_saveexec_b32 s9, s9
; %bb.55:                               ;   in Loop: Header=BB30_33 Depth=1
	v_add_f32_e64 v25, 0x46800000, |v1|
; %bb.56:                               ;   in Loop: Header=BB30_33 Depth=1
	s_or_b32 exec_lo, exec_lo, s9
.LBB30_57:                              ;   in Loop: Header=BB30_33 Depth=1
	s_delay_alu instid0(SALU_CYCLE_1) | instskip(SKIP_2) | instid1(VALU_DEP_1)
	s_or_b32 exec_lo, exec_lo, s0
	v_lshlrev_b32_e32 v28, 16, v2
	s_mov_b32 s0, exec_lo
	v_div_scale_f32 v29, null, v8, v8, v28
	v_div_scale_f32 v32, vcc_lo, v28, v8, v28
	s_delay_alu instid0(VALU_DEP_2) | instskip(SKIP_2) | instid1(VALU_DEP_1)
	v_rcp_f32_e32 v30, v29
	s_waitcnt_depctr 0xfff
	v_fma_f32 v31, -v29, v30, 1.0
	v_fmac_f32_e32 v30, v31, v30
	s_delay_alu instid0(VALU_DEP_1) | instskip(NEXT) | instid1(VALU_DEP_1)
	v_mul_f32_e32 v31, v32, v30
	v_fma_f32 v33, -v29, v31, v32
	s_delay_alu instid0(VALU_DEP_1) | instskip(NEXT) | instid1(VALU_DEP_1)
	v_fmac_f32_e32 v31, v33, v30
	v_fma_f32 v29, -v29, v31, v32
	s_delay_alu instid0(VALU_DEP_1) | instskip(NEXT) | instid1(VALU_DEP_1)
	v_div_fmas_f32 v29, v29, v30, v31
	v_div_fixup_f32 v28, v29, v8, v28
	v_mov_b32_e32 v29, 0x7f
	s_delay_alu instid0(VALU_DEP_2) | instskip(SKIP_1) | instid1(VALU_DEP_2)
	v_maxmin_f32 v30, v28, v19, v20
	v_mov_b32_e32 v28, 0x7f
	v_and_b32_e32 v31, 0x7fffffff, v30
	s_delay_alu instid0(VALU_DEP_1)
	v_cmpx_gt_u32_e32 0x43f00000, v31
	s_cbranch_execz .LBB30_63
; %bb.58:                               ;   in Loop: Header=BB30_33 Depth=1
	s_mov_b32 s9, exec_lo
                                        ; implicit-def: $vgpr28
	v_cmpx_lt_u32_e32 0x3c7fffff, v31
	s_xor_b32 s9, exec_lo, s9
; %bb.59:                               ;   in Loop: Header=BB30_33 Depth=1
	v_bfe_u32 v28, v30, 20, 1
	s_delay_alu instid0(VALU_DEP_1) | instskip(NEXT) | instid1(VALU_DEP_1)
	v_add3_u32 v28, v30, v28, 0x407ffff
	v_lshrrev_b32_e32 v28, 20, v28
; %bb.60:                               ;   in Loop: Header=BB30_33 Depth=1
	s_and_not1_saveexec_b32 s9, s9
; %bb.61:                               ;   in Loop: Header=BB30_33 Depth=1
	v_add_f32_e64 v28, 0x46800000, |v30|
; %bb.62:                               ;   in Loop: Header=BB30_33 Depth=1
	s_or_b32 exec_lo, exec_lo, s9
.LBB30_63:                              ;   in Loop: Header=BB30_33 Depth=1
	s_delay_alu instid0(SALU_CYCLE_1) | instskip(SKIP_2) | instid1(VALU_DEP_1)
	s_or_b32 exec_lo, exec_lo, s0
	v_and_b32_e32 v2, 0xffff0000, v2
	s_mov_b32 s0, exec_lo
	v_div_scale_f32 v31, null, v8, v8, v2
	s_delay_alu instid0(VALU_DEP_1) | instskip(SKIP_2) | instid1(VALU_DEP_1)
	v_rcp_f32_e32 v32, v31
	s_waitcnt_depctr 0xfff
	v_fma_f32 v33, -v31, v32, 1.0
	v_fmac_f32_e32 v32, v33, v32
	v_div_scale_f32 v33, vcc_lo, v2, v8, v2
	s_delay_alu instid0(VALU_DEP_1) | instskip(NEXT) | instid1(VALU_DEP_1)
	v_mul_f32_e32 v34, v33, v32
	v_fma_f32 v35, -v31, v34, v33
	s_delay_alu instid0(VALU_DEP_1) | instskip(NEXT) | instid1(VALU_DEP_1)
	v_fmac_f32_e32 v34, v35, v32
	v_fma_f32 v31, -v31, v34, v33
	s_delay_alu instid0(VALU_DEP_1) | instskip(NEXT) | instid1(VALU_DEP_1)
	v_div_fmas_f32 v31, v31, v32, v34
	v_div_fixup_f32 v2, v31, v8, v2
	s_delay_alu instid0(VALU_DEP_1) | instskip(NEXT) | instid1(VALU_DEP_1)
	v_maxmin_f32 v2, v2, v19, v20
	v_and_b32_e32 v31, 0x7fffffff, v2
	s_delay_alu instid0(VALU_DEP_1)
	v_cmpx_gt_u32_e32 0x43f00000, v31
	s_cbranch_execz .LBB30_69
; %bb.64:                               ;   in Loop: Header=BB30_33 Depth=1
	s_mov_b32 s9, exec_lo
                                        ; implicit-def: $vgpr29
	v_cmpx_lt_u32_e32 0x3c7fffff, v31
	s_xor_b32 s9, exec_lo, s9
; %bb.65:                               ;   in Loop: Header=BB30_33 Depth=1
	v_bfe_u32 v29, v2, 20, 1
	s_delay_alu instid0(VALU_DEP_1) | instskip(NEXT) | instid1(VALU_DEP_1)
	v_add3_u32 v29, v2, v29, 0x407ffff
	v_lshrrev_b32_e32 v29, 20, v29
; %bb.66:                               ;   in Loop: Header=BB30_33 Depth=1
	s_and_not1_saveexec_b32 s9, s9
; %bb.67:                               ;   in Loop: Header=BB30_33 Depth=1
	v_add_f32_e64 v29, 0x46800000, |v2|
; %bb.68:                               ;   in Loop: Header=BB30_33 Depth=1
	s_or_b32 exec_lo, exec_lo, s9
.LBB30_69:                              ;   in Loop: Header=BB30_33 Depth=1
	s_delay_alu instid0(SALU_CYCLE_1) | instskip(SKIP_2) | instid1(VALU_DEP_1)
	s_or_b32 exec_lo, exec_lo, s0
	v_lshlrev_b32_e32 v31, 16, v3
	s_mov_b32 s0, exec_lo
	v_div_scale_f32 v32, null, v8, v8, v31
	v_div_scale_f32 v35, vcc_lo, v31, v8, v31
	s_delay_alu instid0(VALU_DEP_2) | instskip(SKIP_2) | instid1(VALU_DEP_1)
	v_rcp_f32_e32 v33, v32
	s_waitcnt_depctr 0xfff
	v_fma_f32 v34, -v32, v33, 1.0
	v_fmac_f32_e32 v33, v34, v33
	s_delay_alu instid0(VALU_DEP_1) | instskip(NEXT) | instid1(VALU_DEP_1)
	v_mul_f32_e32 v34, v35, v33
	v_fma_f32 v36, -v32, v34, v35
	s_delay_alu instid0(VALU_DEP_1) | instskip(NEXT) | instid1(VALU_DEP_1)
	v_fmac_f32_e32 v34, v36, v33
	v_fma_f32 v32, -v32, v34, v35
	s_delay_alu instid0(VALU_DEP_1) | instskip(NEXT) | instid1(VALU_DEP_1)
	v_div_fmas_f32 v32, v32, v33, v34
	v_div_fixup_f32 v31, v32, v8, v31
	v_mov_b32_e32 v32, 0x7f
	s_delay_alu instid0(VALU_DEP_2) | instskip(SKIP_1) | instid1(VALU_DEP_2)
	v_maxmin_f32 v33, v31, v19, v20
	v_mov_b32_e32 v31, 0x7f
	v_and_b32_e32 v34, 0x7fffffff, v33
	s_delay_alu instid0(VALU_DEP_1)
	v_cmpx_gt_u32_e32 0x43f00000, v34
	s_cbranch_execz .LBB30_75
; %bb.70:                               ;   in Loop: Header=BB30_33 Depth=1
	s_mov_b32 s9, exec_lo
                                        ; implicit-def: $vgpr31
	v_cmpx_lt_u32_e32 0x3c7fffff, v34
	s_xor_b32 s9, exec_lo, s9
; %bb.71:                               ;   in Loop: Header=BB30_33 Depth=1
	v_bfe_u32 v31, v33, 20, 1
	s_delay_alu instid0(VALU_DEP_1) | instskip(NEXT) | instid1(VALU_DEP_1)
	v_add3_u32 v31, v33, v31, 0x407ffff
	v_lshrrev_b32_e32 v31, 20, v31
; %bb.72:                               ;   in Loop: Header=BB30_33 Depth=1
	s_and_not1_saveexec_b32 s9, s9
; %bb.73:                               ;   in Loop: Header=BB30_33 Depth=1
	v_add_f32_e64 v31, 0x46800000, |v33|
; %bb.74:                               ;   in Loop: Header=BB30_33 Depth=1
	s_or_b32 exec_lo, exec_lo, s9
.LBB30_75:                              ;   in Loop: Header=BB30_33 Depth=1
	s_delay_alu instid0(SALU_CYCLE_1) | instskip(SKIP_2) | instid1(VALU_DEP_1)
	s_or_b32 exec_lo, exec_lo, s0
	v_and_b32_e32 v3, 0xffff0000, v3
	s_mov_b32 s0, exec_lo
	v_div_scale_f32 v34, null, v8, v8, v3
	s_delay_alu instid0(VALU_DEP_1) | instskip(SKIP_2) | instid1(VALU_DEP_1)
	v_rcp_f32_e32 v35, v34
	s_waitcnt_depctr 0xfff
	v_fma_f32 v36, -v34, v35, 1.0
	v_fmac_f32_e32 v35, v36, v35
	v_div_scale_f32 v36, vcc_lo, v3, v8, v3
	s_delay_alu instid0(VALU_DEP_1) | instskip(NEXT) | instid1(VALU_DEP_1)
	v_mul_f32_e32 v37, v36, v35
	v_fma_f32 v38, -v34, v37, v36
	s_delay_alu instid0(VALU_DEP_1) | instskip(NEXT) | instid1(VALU_DEP_1)
	v_fmac_f32_e32 v37, v38, v35
	v_fma_f32 v34, -v34, v37, v36
	s_delay_alu instid0(VALU_DEP_1) | instskip(NEXT) | instid1(VALU_DEP_1)
	v_div_fmas_f32 v34, v34, v35, v37
	v_div_fixup_f32 v3, v34, v8, v3
	s_delay_alu instid0(VALU_DEP_1) | instskip(NEXT) | instid1(VALU_DEP_1)
	v_maxmin_f32 v3, v3, v19, v20
	v_and_b32_e32 v34, 0x7fffffff, v3
	s_delay_alu instid0(VALU_DEP_1)
	v_cmpx_gt_u32_e32 0x43f00000, v34
	s_cbranch_execz .LBB30_32
; %bb.76:                               ;   in Loop: Header=BB30_33 Depth=1
	s_mov_b32 s9, exec_lo
                                        ; implicit-def: $vgpr32
	v_cmpx_lt_u32_e32 0x3c7fffff, v34
	s_xor_b32 s9, exec_lo, s9
; %bb.77:                               ;   in Loop: Header=BB30_33 Depth=1
	v_bfe_u32 v32, v3, 20, 1
	s_delay_alu instid0(VALU_DEP_1) | instskip(NEXT) | instid1(VALU_DEP_1)
	v_add3_u32 v32, v3, v32, 0x407ffff
	v_lshrrev_b32_e32 v32, 20, v32
; %bb.78:                               ;   in Loop: Header=BB30_33 Depth=1
	s_and_not1_saveexec_b32 s9, s9
	s_cbranch_execz .LBB30_31
; %bb.79:                               ;   in Loop: Header=BB30_33 Depth=1
	v_add_f32_e64 v32, 0x46800000, |v3|
	s_branch .LBB30_31
.LBB30_80:
	s_or_b32 exec_lo, exec_lo, s1
	v_lshlrev_b32_e32 v2, 3, v17
	s_mov_b32 s5, exec_lo
	s_delay_alu instid0(VALU_DEP_1) | instskip(NEXT) | instid1(VALU_DEP_1)
	v_add_nc_u32_e32 v0, v2, v12
	v_cmpx_lt_i32_e64 v0, v9
	s_cbranch_execz .LBB30_96
; %bb.81:
	v_add_nc_u32_e32 v1, 16, v0
	s_mov_b32 s0, 0
	s_mov_b32 s1, exec_lo
	s_delay_alu instid0(VALU_DEP_1) | instskip(NEXT) | instid1(VALU_DEP_1)
	v_max_i32_e32 v3, v1, v9
	v_xad_u32 v3, v12, -1, v3
	s_delay_alu instid0(VALU_DEP_1) | instskip(NEXT) | instid1(VALU_DEP_1)
	v_sub_nc_u32_e32 v2, v3, v2
                                        ; implicit-def: $vgpr3
	v_cmpx_lt_u32_e32 15, v2
	s_xor_b32 s9, exec_lo, s1
	s_cbranch_execnz .LBB30_84
; %bb.82:
	s_and_not1_saveexec_b32 s1, s9
	s_cbranch_execnz .LBB30_87
.LBB30_83:
	s_or_b32 exec_lo, exec_lo, s1
	s_delay_alu instid0(SALU_CYCLE_1)
	s_and_b32 exec_lo, exec_lo, s0
	s_cbranch_execnz .LBB30_88
	s_branch .LBB30_96
.LBB30_84:
	v_lshrrev_b32_e32 v2, 4, v2
	v_lshlrev_b32_e32 v3, 1, v13
	v_lshlrev_b32_e32 v17, 4, v17
	v_add_co_u32 v13, vcc_lo, v15, v10
	s_delay_alu instid0(VALU_DEP_4) | instskip(SKIP_3) | instid1(VALU_DEP_4)
	v_add_nc_u32_e32 v6, 1, v2
	v_add_co_ci_u32_e32 v15, vcc_lo, v16, v11, vcc_lo
	v_mov_b32_e32 v16, v8
	v_lshlrev_b32_e32 v12, 1, v12
	v_and_b32_e32 v7, 0x1ffffffe, v6
	v_lshlrev_b32_e32 v14, 1, v10
	s_mov_b32 s0, s6
	s_mov_b32 s1, s6
	;; [unrolled: 1-line block ×3, first 2 shown]
	v_mov_b32_e32 v21, v7
	v_add3_u32 v2, v3, v17, v14
	s_mov_b32 s11, s7
	v_max_f32_e64 v17, s0, s0
	v_max_f32_e64 v18, s1, s1
	;; [unrolled: 1-line block ×3, first 2 shown]
	v_add3_u32 v12, v2, v12, 0
	v_mov_b32_e32 v2, v1
	v_max_f32_e64 v20, s10, s10
	v_mov_b32_e32 v1, v0
	s_mov_b32 s10, 0
.LBB30_85:                              ; =>This Inner Loop Header: Depth=1
	ds_load_u16 v22, v12
	ds_load_u16 v23, v12 offset:32
	v_mov_b32_e32 v24, v2
	v_ashrrev_i32_e32 v25, 31, v2
	v_ashrrev_i32_e32 v26, 31, v1
	v_add_nc_u32_e32 v21, -2, v21
	v_add_nc_u32_e32 v12, 64, v12
	s_waitcnt lgkmcnt(1)
	v_lshlrev_b32_e32 v27, 16, v22
	s_waitcnt lgkmcnt(0)
	v_lshlrev_b32_e32 v23, 16, v23
	s_delay_alu instid0(VALU_DEP_2) | instskip(NEXT) | instid1(VALU_DEP_2)
	v_div_scale_f32 v22, null, v8, v8, v27
	v_div_scale_f32 v28, null, v16, v16, v23
	v_div_scale_f32 v31, vcc_lo, v27, v8, v27
	s_delay_alu instid0(VALU_DEP_3) | instskip(NEXT) | instid1(VALU_DEP_2)
	v_rcp_f32_e32 v29, v22
	v_rcp_f32_e32 v30, v28
	s_waitcnt_depctr 0xfff
	v_fma_f32 v33, -v22, v29, 1.0
	v_fma_f32 v34, -v28, v30, 1.0
	s_delay_alu instid0(VALU_DEP_2) | instskip(NEXT) | instid1(VALU_DEP_2)
	v_dual_fmac_f32 v29, v33, v29 :: v_dual_add_nc_u32 v2, 32, v2
	v_fmac_f32_e32 v30, v34, v30
	v_div_scale_f32 v32, s0, v23, v16, v23
	s_delay_alu instid0(VALU_DEP_1) | instskip(NEXT) | instid1(VALU_DEP_1)
	v_dual_mul_f32 v33, v31, v29 :: v_dual_mul_f32 v34, v32, v30
	v_fma_f32 v35, -v22, v33, v31
	s_delay_alu instid0(VALU_DEP_2) | instskip(NEXT) | instid1(VALU_DEP_1)
	v_fma_f32 v36, -v28, v34, v32
	v_dual_fmac_f32 v33, v35, v29 :: v_dual_fmac_f32 v34, v36, v30
	s_delay_alu instid0(VALU_DEP_1) | instskip(NEXT) | instid1(VALU_DEP_2)
	v_fma_f32 v22, -v22, v33, v31
	v_fma_f32 v28, -v28, v34, v32
	s_delay_alu instid0(VALU_DEP_2) | instskip(SKIP_1) | instid1(VALU_DEP_2)
	v_div_fmas_f32 v29, v22, v29, v33
	s_mov_b32 vcc_lo, s0
	v_div_fmas_f32 v28, v28, v30, v34
	v_add_co_u32 v22, vcc_lo, v13, v1
	s_delay_alu instid0(VALU_DEP_3) | instskip(SKIP_1) | instid1(VALU_DEP_4)
	v_div_fixup_f32 v27, v29, v8, v27
	v_add_nc_u32_e32 v1, 32, v1
	v_div_fixup_f32 v23, v28, v16, v23
	s_delay_alu instid0(VALU_DEP_3) | instskip(NEXT) | instid1(VALU_DEP_2)
	v_maxmin_f32 v27, v27, v17, v20
	v_maxmin_f32 v28, v23, v18, v19
	v_add_co_ci_u32_e32 v23, vcc_lo, v15, v26, vcc_lo
	s_delay_alu instid0(VALU_DEP_3) | instskip(SKIP_1) | instid1(VALU_DEP_4)
	v_bfe_u32 v26, v27, 20, 1
	v_and_b32_e32 v30, 0x7fffffff, v27
	v_bfe_u32 v29, v28, 20, 1
	v_and_b32_e32 v32, 0x7fffffff, v28
	v_add_f32_e64 v31, 0x46800000, |v27|
	v_add3_u32 v26, v27, v26, 0x407ffff
	v_add_nc_u32_e32 v34, 0xc3800000, v30
	v_add3_u32 v29, v28, v29, 0x407ffff
	v_add_nc_u32_e32 v35, 0xc3800000, v32
	v_add_f32_e64 v33, 0x46800000, |v28|
	v_lshrrev_b32_e32 v26, 20, v26
	v_cmp_gt_u32_e64 s0, 0x7700000, v34
	v_lshrrev_b32_e32 v29, 20, v29
	v_cmp_gt_u32_e64 s1, 0x7700000, v35
	v_add_co_u32 v24, vcc_lo, v13, v24
	s_delay_alu instid0(VALU_DEP_4) | instskip(SKIP_1) | instid1(VALU_DEP_4)
	v_cndmask_b32_e64 v26, v31, v26, s0
	v_cmp_gt_u32_e64 s0, 0x43f00000, v30
	v_cndmask_b32_e64 v29, v33, v29, s1
	v_cmp_gt_u32_e64 s1, 0x43f00000, v32
	v_lshrrev_b32_e32 v27, 24, v27
	v_lshrrev_b32_e32 v28, 24, v28
	v_cndmask_b32_e64 v26, 0x7f, v26, s0
	v_add_co_ci_u32_e32 v25, vcc_lo, v15, v25, vcc_lo
	v_cndmask_b32_e64 v29, 0x7f, v29, s1
	v_cmp_eq_u32_e32 vcc_lo, 0, v21
	s_delay_alu instid0(VALU_DEP_4) | instskip(NEXT) | instid1(VALU_DEP_3)
	v_and_or_b32 v26, 0x80, v27, v26
	v_and_or_b32 v27, 0x80, v28, v29
	s_or_b32 s10, vcc_lo, s10
	s_clause 0x1
	global_store_b8 v[22:23], v26, off
	global_store_b8 v[24:25], v27, off
	s_and_not1_b32 exec_lo, exec_lo, s10
	s_cbranch_execnz .LBB30_85
; %bb.86:
	s_or_b32 exec_lo, exec_lo, s10
	v_cmp_ne_u32_e32 vcc_lo, v6, v7
	v_lshl_add_u32 v0, v7, 4, v0
                                        ; implicit-def: $vgpr13
	s_and_b32 s0, vcc_lo, exec_lo
	s_and_not1_saveexec_b32 s1, s9
	s_cbranch_execz .LBB30_83
.LBB30_87:
	v_lshlrev_b32_e32 v3, 1, v13
	s_or_b32 s0, s0, exec_lo
	s_or_b32 exec_lo, exec_lo, s1
	s_delay_alu instid0(SALU_CYCLE_1)
	s_and_b32 exec_lo, exec_lo, s0
	s_cbranch_execz .LBB30_96
.LBB30_88:
	v_add_co_u32 v1, vcc_lo, v10, v4
	v_add_co_ci_u32_e32 v2, vcc_lo, v11, v5, vcc_lo
	v_ashrrev_i32_e32 v4, 31, v0
	s_delay_alu instid0(VALU_DEP_3) | instskip(SKIP_2) | instid1(VALU_DEP_4)
	v_add_co_u32 v1, vcc_lo, v1, v0
	v_lshl_add_u32 v3, v0, 1, v3
	v_max_f32_e64 v5, s7, s7
	v_add_co_ci_u32_e32 v2, vcc_lo, v2, v4, vcc_lo
	s_delay_alu instid0(VALU_DEP_4) | instskip(NEXT) | instid1(VALU_DEP_4)
	v_add_co_u32 v1, vcc_lo, s2, v1
	v_add3_u32 v3, v3, v14, 0
	s_delay_alu instid0(VALU_DEP_3)
	v_add_co_ci_u32_e32 v2, vcc_lo, s3, v2, vcc_lo
	v_max_f32_e64 v4, s6, s6
	s_mov_b32 s1, 0
	s_branch .LBB30_91
.LBB30_89:                              ;   in Loop: Header=BB30_91 Depth=1
	s_or_b32 exec_lo, exec_lo, s9
.LBB30_90:                              ;   in Loop: Header=BB30_91 Depth=1
	s_delay_alu instid0(SALU_CYCLE_1) | instskip(SKIP_3) | instid1(VALU_DEP_3)
	s_or_b32 exec_lo, exec_lo, s0
	v_lshrrev_b32_e32 v6, 24, v6
	v_add_nc_u32_e32 v0, 16, v0
	v_add_nc_u32_e32 v3, 32, v3
	v_and_or_b32 v6, 0x80, v6, v7
	s_delay_alu instid0(VALU_DEP_3) | instskip(SKIP_2) | instid1(VALU_DEP_1)
	v_cmp_ge_i32_e32 vcc_lo, v0, v9
	global_store_b8 v[1:2], v6, off
	v_add_co_u32 v1, s0, v1, 16
	v_add_co_ci_u32_e64 v2, s0, 0, v2, s0
	s_or_b32 s1, vcc_lo, s1
	s_delay_alu instid0(SALU_CYCLE_1)
	s_and_not1_b32 exec_lo, exec_lo, s1
	s_cbranch_execz .LBB30_96
.LBB30_91:                              ; =>This Inner Loop Header: Depth=1
	ds_load_u16 v6, v3
	s_mov_b32 s0, exec_lo
	s_waitcnt lgkmcnt(0)
	v_lshlrev_b32_e32 v6, 16, v6
	s_delay_alu instid0(VALU_DEP_1) | instskip(SKIP_1) | instid1(VALU_DEP_2)
	v_div_scale_f32 v7, null, v8, v8, v6
	v_div_scale_f32 v12, vcc_lo, v6, v8, v6
	v_rcp_f32_e32 v10, v7
	s_waitcnt_depctr 0xfff
	v_fma_f32 v11, -v7, v10, 1.0
	s_delay_alu instid0(VALU_DEP_1) | instskip(NEXT) | instid1(VALU_DEP_1)
	v_fmac_f32_e32 v10, v11, v10
	v_mul_f32_e32 v11, v12, v10
	s_delay_alu instid0(VALU_DEP_1) | instskip(NEXT) | instid1(VALU_DEP_1)
	v_fma_f32 v13, -v7, v11, v12
	v_fmac_f32_e32 v11, v13, v10
	s_delay_alu instid0(VALU_DEP_1) | instskip(NEXT) | instid1(VALU_DEP_1)
	v_fma_f32 v7, -v7, v11, v12
	v_div_fmas_f32 v7, v7, v10, v11
	s_delay_alu instid0(VALU_DEP_1) | instskip(SKIP_1) | instid1(VALU_DEP_2)
	v_div_fixup_f32 v6, v7, v8, v6
	v_mov_b32_e32 v7, 0x7f
	v_maxmin_f32 v6, v6, v4, v5
	s_delay_alu instid0(VALU_DEP_1) | instskip(NEXT) | instid1(VALU_DEP_1)
	v_and_b32_e32 v10, 0x7fffffff, v6
	v_cmpx_gt_u32_e32 0x43f00000, v10
	s_cbranch_execz .LBB30_90
; %bb.92:                               ;   in Loop: Header=BB30_91 Depth=1
	s_mov_b32 s9, exec_lo
                                        ; implicit-def: $vgpr7
	v_cmpx_lt_u32_e32 0x3c7fffff, v10
	s_xor_b32 s9, exec_lo, s9
; %bb.93:                               ;   in Loop: Header=BB30_91 Depth=1
	v_bfe_u32 v7, v6, 20, 1
	s_delay_alu instid0(VALU_DEP_1) | instskip(NEXT) | instid1(VALU_DEP_1)
	v_add3_u32 v7, v6, v7, 0x407ffff
	v_lshrrev_b32_e32 v7, 20, v7
; %bb.94:                               ;   in Loop: Header=BB30_91 Depth=1
	s_and_not1_saveexec_b32 s9, s9
	s_cbranch_execz .LBB30_89
; %bb.95:                               ;   in Loop: Header=BB30_91 Depth=1
	v_add_f32_e64 v7, 0x46800000, |v6|
	s_branch .LBB30_89
.LBB30_96:
	s_or_b32 exec_lo, exec_lo, s5
                                        ; implicit-def: $vgpr12
                                        ; implicit-def: $vgpr8
                                        ; implicit-def: $vgpr13
                                        ; implicit-def: $vgpr4_vgpr5
.LBB30_97:
	s_and_not1_saveexec_b32 s0, s4
	s_cbranch_execz .LBB30_149
; %bb.98:
	s_ashr_i32 s1, s8, 3
	s_mov_b32 s0, exec_lo
	v_cmpx_gt_i32_e64 s1, v12
	s_cbranch_execz .LBB30_149
; %bb.99:
	v_lshlrev_b32_e32 v0, 3, v12
	v_lshlrev_b32_e32 v1, 1, v13
	;; [unrolled: 1-line block ×3, first 2 shown]
	v_max_f32_e64 v7, s6, s6
	v_max_f32_e64 v9, s7, s7
	v_add_co_u32 v0, vcc_lo, v4, v0
	v_add_co_ci_u32_e32 v3, vcc_lo, 0, v5, vcc_lo
	v_add3_u32 v6, v1, v2, 0
	s_delay_alu instid0(VALU_DEP_3) | instskip(NEXT) | instid1(VALU_DEP_3)
	v_add_co_u32 v4, vcc_lo, s2, v0
	v_add_co_ci_u32_e32 v5, vcc_lo, s3, v3, vcc_lo
	s_mov_b32 s2, 0
	s_branch .LBB30_102
.LBB30_100:                             ;   in Loop: Header=BB30_102 Depth=1
	s_or_b32 exec_lo, exec_lo, s3
.LBB30_101:                             ;   in Loop: Header=BB30_102 Depth=1
	s_delay_alu instid0(SALU_CYCLE_1)
	s_or_b32 exec_lo, exec_lo, s0
	v_lshrrev_b32_e32 v22, 24, v22
	v_lshrrev_b32_e32 v16, 24, v16
	;; [unrolled: 1-line block ×5, first 2 shown]
	v_and_b32_e32 v22, 0x80, v22
	v_and_b32_e32 v16, 0x80, v16
	v_lshrrev_b32_e32 v19, 24, v19
	v_and_b32_e32 v2, 0x80, v2
	v_lshrrev_b32_e32 v13, 24, v13
	v_and_or_b32 v3, 0x80, v3, v21
	v_and_or_b32 v20, 0xff, v20, v22
	v_and_b32_e32 v0, 0x80, v0
	v_and_or_b32 v15, 0xff, v15, v16
	v_and_b32_e32 v19, 0x80, v19
	v_and_b32_e32 v13, 0x80, v13
	v_lshlrev_b32_e32 v3, 24, v3
	v_lshlrev_b32_e32 v20, 16, v20
	v_and_or_b32 v2, 0xff, v18, v2
	v_lshlrev_b32_e32 v14, 24, v14
	v_and_b32_e32 v1, 0x80000000, v1
	v_and_or_b32 v0, 0xff, v11, v0
	v_lshlrev_b32_e32 v11, 16, v15
	v_or_b32_e32 v3, v3, v20
	v_lshlrev_b32_e32 v2, 8, v2
	v_and_or_b32 v15, 0xff, v17, v19
	v_lshlrev_b32_e32 v0, 8, v0
	v_or3_b32 v11, v14, v1, v11
	v_and_or_b32 v10, 0xff, v10, v13
	v_add_nc_u32_e32 v12, 16, v12
	v_or3_b32 v1, v3, v2, v15
	v_add_nc_u32_e32 v6, 0x100, v6
	s_delay_alu instid0(VALU_DEP_4) | instskip(NEXT) | instid1(VALU_DEP_4)
	v_or3_b32 v0, v11, v0, v10
	v_cmp_le_i32_e32 vcc_lo, s1, v12
	global_store_b64 v[4:5], v[0:1], off
	v_add_co_u32 v4, s0, 0x80, v4
	s_delay_alu instid0(VALU_DEP_1) | instskip(SKIP_1) | instid1(SALU_CYCLE_1)
	v_add_co_ci_u32_e64 v5, s0, 0, v5, s0
	s_or_b32 s2, vcc_lo, s2
	s_and_not1_b32 exec_lo, exec_lo, s2
	s_cbranch_execz .LBB30_149
.LBB30_102:                             ; =>This Inner Loop Header: Depth=1
	ds_load_b128 v[0:3], v6
	s_mov_b32 s0, exec_lo
	s_waitcnt lgkmcnt(0)
	v_lshlrev_b32_e32 v10, 16, v0
	s_delay_alu instid0(VALU_DEP_1) | instskip(NEXT) | instid1(VALU_DEP_1)
	v_div_scale_f32 v11, null, v8, v8, v10
	v_rcp_f32_e32 v13, v11
	s_waitcnt_depctr 0xfff
	v_fma_f32 v14, -v11, v13, 1.0
	s_delay_alu instid0(VALU_DEP_1) | instskip(SKIP_1) | instid1(VALU_DEP_1)
	v_fmac_f32_e32 v13, v14, v13
	v_div_scale_f32 v15, vcc_lo, v10, v8, v10
	v_mul_f32_e32 v14, v15, v13
	s_delay_alu instid0(VALU_DEP_1) | instskip(NEXT) | instid1(VALU_DEP_1)
	v_fma_f32 v16, -v11, v14, v15
	v_fmac_f32_e32 v14, v16, v13
	s_delay_alu instid0(VALU_DEP_1) | instskip(NEXT) | instid1(VALU_DEP_1)
	v_fma_f32 v11, -v11, v14, v15
	v_div_fmas_f32 v11, v11, v13, v14
	s_delay_alu instid0(VALU_DEP_1) | instskip(SKIP_1) | instid1(VALU_DEP_2)
	v_div_fixup_f32 v10, v11, v8, v10
	v_mov_b32_e32 v11, 0x7f
	v_maxmin_f32 v13, v10, v7, v9
	v_mov_b32_e32 v10, 0x7f
	s_delay_alu instid0(VALU_DEP_2) | instskip(NEXT) | instid1(VALU_DEP_1)
	v_and_b32_e32 v14, 0x7fffffff, v13
	v_cmpx_gt_u32_e32 0x43f00000, v14
	s_cbranch_execz .LBB30_108
; %bb.103:                              ;   in Loop: Header=BB30_102 Depth=1
	s_mov_b32 s3, exec_lo
                                        ; implicit-def: $vgpr10
	v_cmpx_lt_u32_e32 0x3c7fffff, v14
	s_xor_b32 s3, exec_lo, s3
; %bb.104:                              ;   in Loop: Header=BB30_102 Depth=1
	v_bfe_u32 v10, v13, 20, 1
	s_delay_alu instid0(VALU_DEP_1) | instskip(NEXT) | instid1(VALU_DEP_1)
	v_add3_u32 v10, v13, v10, 0x407ffff
	v_lshrrev_b32_e32 v10, 20, v10
; %bb.105:                              ;   in Loop: Header=BB30_102 Depth=1
	s_and_not1_saveexec_b32 s3, s3
; %bb.106:                              ;   in Loop: Header=BB30_102 Depth=1
	v_add_f32_e64 v10, 0x46800000, |v13|
; %bb.107:                              ;   in Loop: Header=BB30_102 Depth=1
	s_or_b32 exec_lo, exec_lo, s3
.LBB30_108:                             ;   in Loop: Header=BB30_102 Depth=1
	s_delay_alu instid0(SALU_CYCLE_1) | instskip(SKIP_2) | instid1(VALU_DEP_1)
	s_or_b32 exec_lo, exec_lo, s0
	v_and_b32_e32 v0, 0xffff0000, v0
	s_mov_b32 s0, exec_lo
	v_div_scale_f32 v14, null, v8, v8, v0
	s_delay_alu instid0(VALU_DEP_1) | instskip(SKIP_2) | instid1(VALU_DEP_1)
	v_rcp_f32_e32 v15, v14
	s_waitcnt_depctr 0xfff
	v_fma_f32 v16, -v14, v15, 1.0
	v_fmac_f32_e32 v15, v16, v15
	v_div_scale_f32 v16, vcc_lo, v0, v8, v0
	s_delay_alu instid0(VALU_DEP_1) | instskip(NEXT) | instid1(VALU_DEP_1)
	v_mul_f32_e32 v17, v16, v15
	v_fma_f32 v18, -v14, v17, v16
	s_delay_alu instid0(VALU_DEP_1) | instskip(NEXT) | instid1(VALU_DEP_1)
	v_fmac_f32_e32 v17, v18, v15
	v_fma_f32 v14, -v14, v17, v16
	s_delay_alu instid0(VALU_DEP_1) | instskip(NEXT) | instid1(VALU_DEP_1)
	v_div_fmas_f32 v14, v14, v15, v17
	v_div_fixup_f32 v0, v14, v8, v0
	s_delay_alu instid0(VALU_DEP_1) | instskip(NEXT) | instid1(VALU_DEP_1)
	v_maxmin_f32 v0, v0, v7, v9
	v_and_b32_e32 v14, 0x7fffffff, v0
	s_delay_alu instid0(VALU_DEP_1)
	v_cmpx_gt_u32_e32 0x43f00000, v14
	s_cbranch_execz .LBB30_114
; %bb.109:                              ;   in Loop: Header=BB30_102 Depth=1
	s_mov_b32 s3, exec_lo
                                        ; implicit-def: $vgpr11
	v_cmpx_lt_u32_e32 0x3c7fffff, v14
	s_xor_b32 s3, exec_lo, s3
; %bb.110:                              ;   in Loop: Header=BB30_102 Depth=1
	v_bfe_u32 v11, v0, 20, 1
	s_delay_alu instid0(VALU_DEP_1) | instskip(NEXT) | instid1(VALU_DEP_1)
	v_add3_u32 v11, v0, v11, 0x407ffff
	v_lshrrev_b32_e32 v11, 20, v11
; %bb.111:                              ;   in Loop: Header=BB30_102 Depth=1
	s_and_not1_saveexec_b32 s3, s3
; %bb.112:                              ;   in Loop: Header=BB30_102 Depth=1
	v_add_f32_e64 v11, 0x46800000, |v0|
; %bb.113:                              ;   in Loop: Header=BB30_102 Depth=1
	s_or_b32 exec_lo, exec_lo, s3
.LBB30_114:                             ;   in Loop: Header=BB30_102 Depth=1
	s_delay_alu instid0(SALU_CYCLE_1) | instskip(SKIP_2) | instid1(VALU_DEP_1)
	s_or_b32 exec_lo, exec_lo, s0
	v_lshlrev_b32_e32 v14, 16, v1
	s_mov_b32 s0, exec_lo
	v_div_scale_f32 v15, null, v8, v8, v14
	v_div_scale_f32 v18, vcc_lo, v14, v8, v14
	s_delay_alu instid0(VALU_DEP_2) | instskip(SKIP_2) | instid1(VALU_DEP_1)
	v_rcp_f32_e32 v16, v15
	s_waitcnt_depctr 0xfff
	v_fma_f32 v17, -v15, v16, 1.0
	v_fmac_f32_e32 v16, v17, v16
	s_delay_alu instid0(VALU_DEP_1) | instskip(NEXT) | instid1(VALU_DEP_1)
	v_mul_f32_e32 v17, v18, v16
	v_fma_f32 v19, -v15, v17, v18
	s_delay_alu instid0(VALU_DEP_1) | instskip(NEXT) | instid1(VALU_DEP_1)
	v_fmac_f32_e32 v17, v19, v16
	v_fma_f32 v15, -v15, v17, v18
	s_delay_alu instid0(VALU_DEP_1) | instskip(NEXT) | instid1(VALU_DEP_1)
	v_div_fmas_f32 v15, v15, v16, v17
	v_div_fixup_f32 v14, v15, v8, v14
	v_mov_b32_e32 v15, 0x7f
	s_delay_alu instid0(VALU_DEP_2) | instskip(SKIP_1) | instid1(VALU_DEP_2)
	v_maxmin_f32 v16, v14, v7, v9
	v_mov_b32_e32 v14, 0x7f
	v_and_b32_e32 v17, 0x7fffffff, v16
	s_delay_alu instid0(VALU_DEP_1)
	v_cmpx_gt_u32_e32 0x43f00000, v17
	s_cbranch_execz .LBB30_120
; %bb.115:                              ;   in Loop: Header=BB30_102 Depth=1
	s_mov_b32 s3, exec_lo
                                        ; implicit-def: $vgpr15
	v_cmpx_lt_u32_e32 0x3c7fffff, v17
	s_xor_b32 s3, exec_lo, s3
; %bb.116:                              ;   in Loop: Header=BB30_102 Depth=1
	v_bfe_u32 v15, v16, 20, 1
	s_delay_alu instid0(VALU_DEP_1) | instskip(NEXT) | instid1(VALU_DEP_1)
	v_add3_u32 v15, v16, v15, 0x407ffff
	v_lshrrev_b32_e32 v15, 20, v15
; %bb.117:                              ;   in Loop: Header=BB30_102 Depth=1
	s_and_not1_saveexec_b32 s3, s3
; %bb.118:                              ;   in Loop: Header=BB30_102 Depth=1
	v_add_f32_e64 v15, 0x46800000, |v16|
; %bb.119:                              ;   in Loop: Header=BB30_102 Depth=1
	s_or_b32 exec_lo, exec_lo, s3
.LBB30_120:                             ;   in Loop: Header=BB30_102 Depth=1
	s_delay_alu instid0(SALU_CYCLE_1) | instskip(SKIP_2) | instid1(VALU_DEP_1)
	s_or_b32 exec_lo, exec_lo, s0
	v_and_b32_e32 v1, 0xffff0000, v1
	s_mov_b32 s0, exec_lo
	v_div_scale_f32 v17, null, v8, v8, v1
	s_delay_alu instid0(VALU_DEP_1) | instskip(SKIP_2) | instid1(VALU_DEP_1)
	v_rcp_f32_e32 v18, v17
	s_waitcnt_depctr 0xfff
	v_fma_f32 v19, -v17, v18, 1.0
	v_fmac_f32_e32 v18, v19, v18
	v_div_scale_f32 v19, vcc_lo, v1, v8, v1
	s_delay_alu instid0(VALU_DEP_1) | instskip(NEXT) | instid1(VALU_DEP_1)
	v_mul_f32_e32 v20, v19, v18
	v_fma_f32 v21, -v17, v20, v19
	s_delay_alu instid0(VALU_DEP_1) | instskip(NEXT) | instid1(VALU_DEP_1)
	v_fmac_f32_e32 v20, v21, v18
	v_fma_f32 v17, -v17, v20, v19
	s_delay_alu instid0(VALU_DEP_1) | instskip(NEXT) | instid1(VALU_DEP_1)
	v_div_fmas_f32 v17, v17, v18, v20
	v_div_fixup_f32 v1, v17, v8, v1
	s_delay_alu instid0(VALU_DEP_1) | instskip(NEXT) | instid1(VALU_DEP_1)
	v_maxmin_f32 v1, v1, v7, v9
	v_and_b32_e32 v17, 0x7fffffff, v1
	s_delay_alu instid0(VALU_DEP_1)
	v_cmpx_gt_u32_e32 0x43f00000, v17
	s_cbranch_execz .LBB30_126
; %bb.121:                              ;   in Loop: Header=BB30_102 Depth=1
	s_mov_b32 s3, exec_lo
                                        ; implicit-def: $vgpr14
	v_cmpx_lt_u32_e32 0x3c7fffff, v17
	s_xor_b32 s3, exec_lo, s3
; %bb.122:                              ;   in Loop: Header=BB30_102 Depth=1
	v_bfe_u32 v14, v1, 20, 1
	s_delay_alu instid0(VALU_DEP_1) | instskip(NEXT) | instid1(VALU_DEP_1)
	v_add3_u32 v14, v1, v14, 0x407ffff
	v_lshrrev_b32_e32 v14, 20, v14
; %bb.123:                              ;   in Loop: Header=BB30_102 Depth=1
	s_and_not1_saveexec_b32 s3, s3
; %bb.124:                              ;   in Loop: Header=BB30_102 Depth=1
	v_add_f32_e64 v14, 0x46800000, |v1|
; %bb.125:                              ;   in Loop: Header=BB30_102 Depth=1
	s_or_b32 exec_lo, exec_lo, s3
.LBB30_126:                             ;   in Loop: Header=BB30_102 Depth=1
	s_delay_alu instid0(SALU_CYCLE_1) | instskip(SKIP_2) | instid1(VALU_DEP_1)
	s_or_b32 exec_lo, exec_lo, s0
	v_lshlrev_b32_e32 v17, 16, v2
	s_mov_b32 s0, exec_lo
	v_div_scale_f32 v18, null, v8, v8, v17
	v_div_scale_f32 v21, vcc_lo, v17, v8, v17
	s_delay_alu instid0(VALU_DEP_2) | instskip(SKIP_2) | instid1(VALU_DEP_1)
	v_rcp_f32_e32 v19, v18
	s_waitcnt_depctr 0xfff
	v_fma_f32 v20, -v18, v19, 1.0
	v_fmac_f32_e32 v19, v20, v19
	s_delay_alu instid0(VALU_DEP_1) | instskip(NEXT) | instid1(VALU_DEP_1)
	v_mul_f32_e32 v20, v21, v19
	v_fma_f32 v22, -v18, v20, v21
	s_delay_alu instid0(VALU_DEP_1) | instskip(NEXT) | instid1(VALU_DEP_1)
	v_fmac_f32_e32 v20, v22, v19
	v_fma_f32 v18, -v18, v20, v21
	s_delay_alu instid0(VALU_DEP_1) | instskip(NEXT) | instid1(VALU_DEP_1)
	v_div_fmas_f32 v18, v18, v19, v20
	v_div_fixup_f32 v17, v18, v8, v17
	v_mov_b32_e32 v18, 0x7f
	s_delay_alu instid0(VALU_DEP_2) | instskip(SKIP_1) | instid1(VALU_DEP_2)
	v_maxmin_f32 v19, v17, v7, v9
	v_mov_b32_e32 v17, 0x7f
	v_and_b32_e32 v20, 0x7fffffff, v19
	s_delay_alu instid0(VALU_DEP_1)
	v_cmpx_gt_u32_e32 0x43f00000, v20
	s_cbranch_execz .LBB30_132
; %bb.127:                              ;   in Loop: Header=BB30_102 Depth=1
	s_mov_b32 s3, exec_lo
                                        ; implicit-def: $vgpr17
	v_cmpx_lt_u32_e32 0x3c7fffff, v20
	s_xor_b32 s3, exec_lo, s3
; %bb.128:                              ;   in Loop: Header=BB30_102 Depth=1
	v_bfe_u32 v17, v19, 20, 1
	s_delay_alu instid0(VALU_DEP_1) | instskip(NEXT) | instid1(VALU_DEP_1)
	v_add3_u32 v17, v19, v17, 0x407ffff
	v_lshrrev_b32_e32 v17, 20, v17
; %bb.129:                              ;   in Loop: Header=BB30_102 Depth=1
	s_and_not1_saveexec_b32 s3, s3
; %bb.130:                              ;   in Loop: Header=BB30_102 Depth=1
	v_add_f32_e64 v17, 0x46800000, |v19|
; %bb.131:                              ;   in Loop: Header=BB30_102 Depth=1
	s_or_b32 exec_lo, exec_lo, s3
.LBB30_132:                             ;   in Loop: Header=BB30_102 Depth=1
	s_delay_alu instid0(SALU_CYCLE_1) | instskip(SKIP_2) | instid1(VALU_DEP_1)
	s_or_b32 exec_lo, exec_lo, s0
	v_and_b32_e32 v2, 0xffff0000, v2
	s_mov_b32 s0, exec_lo
	v_div_scale_f32 v20, null, v8, v8, v2
	s_delay_alu instid0(VALU_DEP_1) | instskip(SKIP_2) | instid1(VALU_DEP_1)
	v_rcp_f32_e32 v21, v20
	s_waitcnt_depctr 0xfff
	v_fma_f32 v22, -v20, v21, 1.0
	v_fmac_f32_e32 v21, v22, v21
	v_div_scale_f32 v22, vcc_lo, v2, v8, v2
	s_delay_alu instid0(VALU_DEP_1) | instskip(NEXT) | instid1(VALU_DEP_1)
	v_mul_f32_e32 v23, v22, v21
	v_fma_f32 v24, -v20, v23, v22
	s_delay_alu instid0(VALU_DEP_1) | instskip(NEXT) | instid1(VALU_DEP_1)
	v_fmac_f32_e32 v23, v24, v21
	v_fma_f32 v20, -v20, v23, v22
	s_delay_alu instid0(VALU_DEP_1) | instskip(NEXT) | instid1(VALU_DEP_1)
	v_div_fmas_f32 v20, v20, v21, v23
	v_div_fixup_f32 v2, v20, v8, v2
	s_delay_alu instid0(VALU_DEP_1) | instskip(NEXT) | instid1(VALU_DEP_1)
	v_maxmin_f32 v2, v2, v7, v9
	v_and_b32_e32 v20, 0x7fffffff, v2
	s_delay_alu instid0(VALU_DEP_1)
	v_cmpx_gt_u32_e32 0x43f00000, v20
	s_cbranch_execz .LBB30_138
; %bb.133:                              ;   in Loop: Header=BB30_102 Depth=1
	s_mov_b32 s3, exec_lo
                                        ; implicit-def: $vgpr18
	v_cmpx_lt_u32_e32 0x3c7fffff, v20
	s_xor_b32 s3, exec_lo, s3
; %bb.134:                              ;   in Loop: Header=BB30_102 Depth=1
	v_bfe_u32 v18, v2, 20, 1
	s_delay_alu instid0(VALU_DEP_1) | instskip(NEXT) | instid1(VALU_DEP_1)
	v_add3_u32 v18, v2, v18, 0x407ffff
	v_lshrrev_b32_e32 v18, 20, v18
; %bb.135:                              ;   in Loop: Header=BB30_102 Depth=1
	s_and_not1_saveexec_b32 s3, s3
; %bb.136:                              ;   in Loop: Header=BB30_102 Depth=1
	v_add_f32_e64 v18, 0x46800000, |v2|
; %bb.137:                              ;   in Loop: Header=BB30_102 Depth=1
	s_or_b32 exec_lo, exec_lo, s3
.LBB30_138:                             ;   in Loop: Header=BB30_102 Depth=1
	s_delay_alu instid0(SALU_CYCLE_1) | instskip(SKIP_2) | instid1(VALU_DEP_1)
	s_or_b32 exec_lo, exec_lo, s0
	v_lshlrev_b32_e32 v20, 16, v3
	s_mov_b32 s0, exec_lo
	v_div_scale_f32 v21, null, v8, v8, v20
	v_div_scale_f32 v24, vcc_lo, v20, v8, v20
	s_delay_alu instid0(VALU_DEP_2) | instskip(SKIP_2) | instid1(VALU_DEP_1)
	v_rcp_f32_e32 v22, v21
	s_waitcnt_depctr 0xfff
	v_fma_f32 v23, -v21, v22, 1.0
	v_fmac_f32_e32 v22, v23, v22
	s_delay_alu instid0(VALU_DEP_1) | instskip(NEXT) | instid1(VALU_DEP_1)
	v_mul_f32_e32 v23, v24, v22
	v_fma_f32 v25, -v21, v23, v24
	s_delay_alu instid0(VALU_DEP_1) | instskip(NEXT) | instid1(VALU_DEP_1)
	v_fmac_f32_e32 v23, v25, v22
	v_fma_f32 v21, -v21, v23, v24
	s_delay_alu instid0(VALU_DEP_1) | instskip(NEXT) | instid1(VALU_DEP_1)
	v_div_fmas_f32 v21, v21, v22, v23
	v_div_fixup_f32 v20, v21, v8, v20
	v_mov_b32_e32 v21, 0x7f
	s_delay_alu instid0(VALU_DEP_2) | instskip(SKIP_1) | instid1(VALU_DEP_2)
	v_maxmin_f32 v22, v20, v7, v9
	v_mov_b32_e32 v20, 0x7f
	v_and_b32_e32 v23, 0x7fffffff, v22
	s_delay_alu instid0(VALU_DEP_1)
	v_cmpx_gt_u32_e32 0x43f00000, v23
	s_cbranch_execz .LBB30_144
; %bb.139:                              ;   in Loop: Header=BB30_102 Depth=1
	s_mov_b32 s3, exec_lo
                                        ; implicit-def: $vgpr20
	v_cmpx_lt_u32_e32 0x3c7fffff, v23
	s_xor_b32 s3, exec_lo, s3
; %bb.140:                              ;   in Loop: Header=BB30_102 Depth=1
	v_bfe_u32 v20, v22, 20, 1
	s_delay_alu instid0(VALU_DEP_1) | instskip(NEXT) | instid1(VALU_DEP_1)
	v_add3_u32 v20, v22, v20, 0x407ffff
	v_lshrrev_b32_e32 v20, 20, v20
; %bb.141:                              ;   in Loop: Header=BB30_102 Depth=1
	s_and_not1_saveexec_b32 s3, s3
; %bb.142:                              ;   in Loop: Header=BB30_102 Depth=1
	v_add_f32_e64 v20, 0x46800000, |v22|
; %bb.143:                              ;   in Loop: Header=BB30_102 Depth=1
	s_or_b32 exec_lo, exec_lo, s3
.LBB30_144:                             ;   in Loop: Header=BB30_102 Depth=1
	s_delay_alu instid0(SALU_CYCLE_1) | instskip(SKIP_2) | instid1(VALU_DEP_1)
	s_or_b32 exec_lo, exec_lo, s0
	v_and_b32_e32 v3, 0xffff0000, v3
	s_mov_b32 s0, exec_lo
	v_div_scale_f32 v23, null, v8, v8, v3
	s_delay_alu instid0(VALU_DEP_1) | instskip(SKIP_2) | instid1(VALU_DEP_1)
	v_rcp_f32_e32 v24, v23
	s_waitcnt_depctr 0xfff
	v_fma_f32 v25, -v23, v24, 1.0
	v_fmac_f32_e32 v24, v25, v24
	v_div_scale_f32 v25, vcc_lo, v3, v8, v3
	s_delay_alu instid0(VALU_DEP_1) | instskip(NEXT) | instid1(VALU_DEP_1)
	v_mul_f32_e32 v26, v25, v24
	v_fma_f32 v27, -v23, v26, v25
	s_delay_alu instid0(VALU_DEP_1) | instskip(NEXT) | instid1(VALU_DEP_1)
	v_fmac_f32_e32 v26, v27, v24
	v_fma_f32 v23, -v23, v26, v25
	s_delay_alu instid0(VALU_DEP_1) | instskip(NEXT) | instid1(VALU_DEP_1)
	v_div_fmas_f32 v23, v23, v24, v26
	v_div_fixup_f32 v3, v23, v8, v3
	s_delay_alu instid0(VALU_DEP_1) | instskip(NEXT) | instid1(VALU_DEP_1)
	v_maxmin_f32 v3, v3, v7, v9
	v_and_b32_e32 v23, 0x7fffffff, v3
	s_delay_alu instid0(VALU_DEP_1)
	v_cmpx_gt_u32_e32 0x43f00000, v23
	s_cbranch_execz .LBB30_101
; %bb.145:                              ;   in Loop: Header=BB30_102 Depth=1
	s_mov_b32 s3, exec_lo
                                        ; implicit-def: $vgpr21
	v_cmpx_lt_u32_e32 0x3c7fffff, v23
	s_xor_b32 s3, exec_lo, s3
; %bb.146:                              ;   in Loop: Header=BB30_102 Depth=1
	v_bfe_u32 v21, v3, 20, 1
	s_delay_alu instid0(VALU_DEP_1) | instskip(NEXT) | instid1(VALU_DEP_1)
	v_add3_u32 v21, v3, v21, 0x407ffff
	v_lshrrev_b32_e32 v21, 20, v21
; %bb.147:                              ;   in Loop: Header=BB30_102 Depth=1
	s_and_not1_saveexec_b32 s3, s3
	s_cbranch_execz .LBB30_100
; %bb.148:                              ;   in Loop: Header=BB30_102 Depth=1
	v_add_f32_e64 v21, 0x46800000, |v3|
	s_branch .LBB30_100
.LBB30_149:
	s_nop 0
	s_sendmsg sendmsg(MSG_DEALLOC_VGPRS)
	s_endpgm
	.section	.rodata,"a",@progbits
	.p2align	6, 0x0
	.amdhsa_kernel _Z33per_token_group_quant_8bit_kernelIN3c108BFloat16ENS0_13Float8_e4m3fnELb0ELb1EfEvPKT_PvPT3_iiifffii
		.amdhsa_group_segment_fixed_size 0
		.amdhsa_private_segment_fixed_size 0
		.amdhsa_kernarg_size 56
		.amdhsa_user_sgpr_count 15
		.amdhsa_user_sgpr_dispatch_ptr 0
		.amdhsa_user_sgpr_queue_ptr 0
		.amdhsa_user_sgpr_kernarg_segment_ptr 1
		.amdhsa_user_sgpr_dispatch_id 0
		.amdhsa_user_sgpr_private_segment_size 0
		.amdhsa_wavefront_size32 1
		.amdhsa_uses_dynamic_stack 0
		.amdhsa_enable_private_segment 0
		.amdhsa_system_sgpr_workgroup_id_x 1
		.amdhsa_system_sgpr_workgroup_id_y 0
		.amdhsa_system_sgpr_workgroup_id_z 0
		.amdhsa_system_sgpr_workgroup_info 0
		.amdhsa_system_vgpr_workitem_id 0
		.amdhsa_next_free_vgpr 39
		.amdhsa_next_free_sgpr 16
		.amdhsa_reserve_vcc 1
		.amdhsa_float_round_mode_32 0
		.amdhsa_float_round_mode_16_64 0
		.amdhsa_float_denorm_mode_32 3
		.amdhsa_float_denorm_mode_16_64 3
		.amdhsa_dx10_clamp 1
		.amdhsa_ieee_mode 1
		.amdhsa_fp16_overflow 0
		.amdhsa_workgroup_processor_mode 1
		.amdhsa_memory_ordered 1
		.amdhsa_forward_progress 0
		.amdhsa_shared_vgpr_count 0
		.amdhsa_exception_fp_ieee_invalid_op 0
		.amdhsa_exception_fp_denorm_src 0
		.amdhsa_exception_fp_ieee_div_zero 0
		.amdhsa_exception_fp_ieee_overflow 0
		.amdhsa_exception_fp_ieee_underflow 0
		.amdhsa_exception_fp_ieee_inexact 0
		.amdhsa_exception_int_div_zero 0
	.end_amdhsa_kernel
	.section	.text._Z33per_token_group_quant_8bit_kernelIN3c108BFloat16ENS0_13Float8_e4m3fnELb0ELb1EfEvPKT_PvPT3_iiifffii,"axG",@progbits,_Z33per_token_group_quant_8bit_kernelIN3c108BFloat16ENS0_13Float8_e4m3fnELb0ELb1EfEvPKT_PvPT3_iiifffii,comdat
.Lfunc_end30:
	.size	_Z33per_token_group_quant_8bit_kernelIN3c108BFloat16ENS0_13Float8_e4m3fnELb0ELb1EfEvPKT_PvPT3_iiifffii, .Lfunc_end30-_Z33per_token_group_quant_8bit_kernelIN3c108BFloat16ENS0_13Float8_e4m3fnELb0ELb1EfEvPKT_PvPT3_iiifffii
                                        ; -- End function
	.section	.AMDGPU.csdata,"",@progbits
; Kernel info:
; codeLenInByte = 7668
; NumSgprs: 18
; NumVgprs: 39
; ScratchSize: 0
; MemoryBound: 0
; FloatMode: 240
; IeeeMode: 1
; LDSByteSize: 0 bytes/workgroup (compile time only)
; SGPRBlocks: 2
; VGPRBlocks: 4
; NumSGPRsForWavesPerEU: 18
; NumVGPRsForWavesPerEU: 39
; Occupancy: 16
; WaveLimiterHint : 0
; COMPUTE_PGM_RSRC2:SCRATCH_EN: 0
; COMPUTE_PGM_RSRC2:USER_SGPR: 15
; COMPUTE_PGM_RSRC2:TRAP_HANDLER: 0
; COMPUTE_PGM_RSRC2:TGID_X_EN: 1
; COMPUTE_PGM_RSRC2:TGID_Y_EN: 0
; COMPUTE_PGM_RSRC2:TGID_Z_EN: 0
; COMPUTE_PGM_RSRC2:TIDIG_COMP_CNT: 0
	.section	.text._Z33per_token_group_quant_8bit_kernelIN3c108BFloat16ENS0_13Float8_e4m3fnELb0ELb0EfEvPKT_PvPT3_iiifffii,"axG",@progbits,_Z33per_token_group_quant_8bit_kernelIN3c108BFloat16ENS0_13Float8_e4m3fnELb0ELb0EfEvPKT_PvPT3_iiifffii,comdat
	.protected	_Z33per_token_group_quant_8bit_kernelIN3c108BFloat16ENS0_13Float8_e4m3fnELb0ELb0EfEvPKT_PvPT3_iiifffii ; -- Begin function _Z33per_token_group_quant_8bit_kernelIN3c108BFloat16ENS0_13Float8_e4m3fnELb0ELb0EfEvPKT_PvPT3_iiifffii
	.globl	_Z33per_token_group_quant_8bit_kernelIN3c108BFloat16ENS0_13Float8_e4m3fnELb0ELb0EfEvPKT_PvPT3_iiifffii
	.p2align	8
	.type	_Z33per_token_group_quant_8bit_kernelIN3c108BFloat16ENS0_13Float8_e4m3fnELb0ELb0EfEvPKT_PvPT3_iiifffii,@function
_Z33per_token_group_quant_8bit_kernelIN3c108BFloat16ENS0_13Float8_e4m3fnELb0ELb0EfEvPKT_PvPT3_iiifffii: ; @_Z33per_token_group_quant_8bit_kernelIN3c108BFloat16ENS0_13Float8_e4m3fnELb0ELb0EfEvPKT_PvPT3_iiifffii
; %bb.0:
	s_clause 0x1
	s_load_b128 s[4:7], s[0:1], 0x20
	s_load_b32 s8, s[0:1], 0x18
	v_lshrrev_b32_e32 v3, 4, v0
	v_and_b32_e32 v12, 15, v0
	s_waitcnt lgkmcnt(0)
	s_mul_i32 s15, s15, s4
	s_ashr_i32 s4, s8, 31
	v_add_co_u32 v1, s2, s15, v3
	s_delay_alu instid0(VALU_DEP_1) | instskip(SKIP_1) | instid1(VALU_DEP_2)
	v_add_co_ci_u32_e64 v2, null, 0, 0, s2
	s_load_b64 s[2:3], s[0:1], 0x0
	v_mul_lo_u32 v7, v1, s4
	v_mad_u64_u32 v[4:5], null, v1, s8, 0
	s_delay_alu instid0(VALU_DEP_3) | instskip(SKIP_2) | instid1(SALU_CYCLE_1)
	v_mul_lo_u32 v6, v2, s8
	v_mul_lo_u32 v13, v3, s8
	s_and_b32 s9, s8, 7
                                        ; implicit-def: $vgpr3
	s_cmp_eq_u32 s9, 0
	s_cselect_b32 s4, -1, 0
	s_cmp_lg_u32 s9, 0
	s_delay_alu instid0(VALU_DEP_2) | instskip(NEXT) | instid1(VALU_DEP_2)
	v_add3_u32 v5, v5, v7, v6
	v_lshl_add_u32 v0, v13, 1, 0
	s_cselect_b32 s9, -1, 0
	s_delay_alu instid0(VALU_DEP_2) | instskip(SKIP_1) | instid1(VALU_DEP_1)
	v_lshlrev_b64 v[6:7], 1, v[4:5]
	s_waitcnt lgkmcnt(0)
	v_add_co_u32 v8, vcc_lo, s2, v6
	v_mov_b32_e32 v11, 0
	s_delay_alu instid0(VALU_DEP_3) | instskip(NEXT) | instid1(VALU_DEP_3)
	v_add_co_ci_u32_e32 v9, vcc_lo, s3, v7, vcc_lo
	v_and_b32_e32 v10, 15, v8
	s_delay_alu instid0(VALU_DEP_1) | instskip(SKIP_1) | instid1(SALU_CYCLE_1)
	v_cmp_ne_u64_e32 vcc_lo, 0, v[10:11]
	s_or_b32 s9, s9, vcc_lo
	s_and_saveexec_b32 s10, s9
	s_delay_alu instid0(SALU_CYCLE_1)
	s_xor_b32 s9, exec_lo, s10
	s_cbranch_execz .LBB31_12
; %bb.1:
	v_sub_nc_u32_e32 v3, 0, v8
	s_mov_b32 s10, exec_lo
	s_delay_alu instid0(VALU_DEP_1) | instskip(NEXT) | instid1(VALU_DEP_1)
	v_bfe_u32 v3, v3, 1, 3
	v_min_i32_e32 v10, s8, v3
	v_mov_b32_e32 v3, s5
	s_delay_alu instid0(VALU_DEP_2)
	v_cmpx_gt_i32_e64 v10, v12
	s_cbranch_execz .LBB31_3
; %bb.2:
	v_lshlrev_b32_e32 v3, 1, v12
	v_max_f32_e64 v11, s5, s5
	s_delay_alu instid0(VALU_DEP_2) | instskip(SKIP_4) | instid1(VALU_DEP_1)
	v_add_co_u32 v8, vcc_lo, v8, v3
	v_add_co_ci_u32_e32 v9, vcc_lo, 0, v9, vcc_lo
	global_load_u16 v8, v[8:9], off
	s_waitcnt vmcnt(0)
	v_lshlrev_b32_e32 v9, 16, v8
	v_max_f32_e64 v9, |v9|, |v9|
	s_delay_alu instid0(VALU_DEP_1)
	v_dual_max_f32 v3, v11, v9 :: v_dual_add_nc_u32 v14, v0, v3
	ds_store_b16 v14, v8
.LBB31_3:
	s_or_b32 exec_lo, exec_lo, s10
	v_sub_nc_u32_e32 v14, s8, v10
	v_ashrrev_i32_e32 v11, 31, v10
	v_lshlrev_b32_e32 v15, 1, v10
	s_mov_b32 s10, exec_lo
	s_delay_alu instid0(VALU_DEP_3) | instskip(NEXT) | instid1(VALU_DEP_1)
	v_ashrrev_i32_e32 v8, 31, v14
	v_lshrrev_b32_e32 v8, 29, v8
	s_delay_alu instid0(VALU_DEP_1) | instskip(NEXT) | instid1(VALU_DEP_1)
	v_add_nc_u32_e32 v8, v14, v8
	v_ashrrev_i32_e32 v16, 3, v8
	v_lshlrev_b64 v[8:9], 1, v[10:11]
	s_delay_alu instid0(VALU_DEP_2)
	v_cmpx_gt_i32_e64 v16, v12
	s_cbranch_execz .LBB31_7
; %bb.4:
	v_lshlrev_b32_e32 v10, 4, v12
	s_mov_b32 s11, 0
	s_delay_alu instid0(VALU_DEP_1) | instskip(SKIP_2) | instid1(VALU_DEP_3)
	v_add_co_u32 v11, vcc_lo, v6, v10
	v_add_co_ci_u32_e32 v17, vcc_lo, 0, v7, vcc_lo
	v_lshl_add_u32 v10, v13, 1, v10
	v_add_co_u32 v11, vcc_lo, v11, v8
	s_delay_alu instid0(VALU_DEP_3) | instskip(NEXT) | instid1(VALU_DEP_2)
	v_add_co_ci_u32_e32 v17, vcc_lo, v17, v9, vcc_lo
	v_add_co_u32 v11, vcc_lo, v11, s2
	s_delay_alu instid0(VALU_DEP_2) | instskip(SKIP_1) | instid1(VALU_DEP_3)
	v_add_co_ci_u32_e32 v18, vcc_lo, s3, v17, vcc_lo
	v_add3_u32 v17, v10, v15, 0
	v_add_co_u32 v10, vcc_lo, v11, 8
	s_delay_alu instid0(VALU_DEP_3)
	v_add_co_ci_u32_e32 v11, vcc_lo, 0, v18, vcc_lo
	v_mov_b32_e32 v18, v12
	s_set_inst_prefetch_distance 0x1
	.p2align	6
.LBB31_5:                               ; =>This Inner Loop Header: Depth=1
	global_load_b128 v[19:22], v[10:11], off offset:-8
	v_add_nc_u32_e32 v18, 16, v18
	v_add_co_u32 v10, vcc_lo, 0x100, v10
	v_add_co_ci_u32_e32 v11, vcc_lo, 0, v11, vcc_lo
	s_delay_alu instid0(VALU_DEP_3)
	v_cmp_ge_i32_e32 vcc_lo, v18, v16
	s_or_b32 s11, vcc_lo, s11
	s_waitcnt vmcnt(0)
	v_lshlrev_b32_e32 v23, 16, v19
	v_and_b32_e32 v24, 0xffff0000, v19
	v_lshlrev_b32_e32 v25, 16, v20
	v_and_b32_e32 v26, 0xffff0000, v20
	ds_store_b128 v17, v[19:22]
	v_add_nc_u32_e32 v17, 0x100, v17
	v_max3_f32 v3, v3, |v23|, |v24|
	v_lshlrev_b32_e32 v23, 16, v21
	v_and_b32_e32 v24, 0xffff0000, v21
	s_delay_alu instid0(VALU_DEP_3) | instskip(SKIP_2) | instid1(VALU_DEP_3)
	v_max3_f32 v3, v3, |v25|, |v26|
	v_lshlrev_b32_e32 v25, 16, v22
	v_and_b32_e32 v26, 0xffff0000, v22
	v_max3_f32 v3, v3, |v23|, |v24|
	s_delay_alu instid0(VALU_DEP_1)
	v_max3_f32 v3, v3, |v25|, |v26|
	s_and_not1_b32 exec_lo, exec_lo, s11
	s_cbranch_execnz .LBB31_5
; %bb.6:
	s_set_inst_prefetch_distance 0x2
	s_or_b32 exec_lo, exec_lo, s11
.LBB31_7:
	s_delay_alu instid0(SALU_CYCLE_1) | instskip(SKIP_2) | instid1(VALU_DEP_1)
	s_or_b32 exec_lo, exec_lo, s10
	v_lshl_add_u32 v10, v16, 3, v12
	s_mov_b32 s10, exec_lo
	v_cmpx_lt_i32_e64 v10, v14
	s_cbranch_execz .LBB31_11
; %bb.8:
	v_ashrrev_i32_e32 v11, 31, v10
	v_lshlrev_b32_e32 v19, 4, v16
	v_add_co_u32 v6, vcc_lo, v6, v8
	v_lshlrev_b32_e32 v18, 1, v13
	s_delay_alu instid0(VALU_DEP_4) | instskip(SKIP_2) | instid1(VALU_DEP_4)
	v_lshlrev_b64 v[16:17], 1, v[10:11]
	v_add_co_ci_u32_e32 v7, vcc_lo, v7, v9, vcc_lo
	v_lshlrev_b32_e32 v20, 1, v12
	v_add3_u32 v8, v18, v19, v15
	s_mov_b32 s11, 0
	s_delay_alu instid0(VALU_DEP_4) | instskip(SKIP_1) | instid1(VALU_DEP_3)
	v_add_co_u32 v6, vcc_lo, v6, v16
	v_add_co_ci_u32_e32 v7, vcc_lo, v7, v17, vcc_lo
	v_add3_u32 v8, v8, v20, 0
	s_delay_alu instid0(VALU_DEP_3) | instskip(NEXT) | instid1(VALU_DEP_3)
	v_add_co_u32 v6, vcc_lo, s2, v6
	v_add_co_ci_u32_e32 v7, vcc_lo, s3, v7, vcc_lo
	.p2align	6
.LBB31_9:                               ; =>This Inner Loop Header: Depth=1
	global_load_u16 v9, v[6:7], off
	v_dual_max_f32 v3, v3, v3 :: v_dual_add_nc_u32 v10, 16, v10
	v_add_co_u32 v6, vcc_lo, v6, 32
	v_add_co_ci_u32_e32 v7, vcc_lo, 0, v7, vcc_lo
	s_delay_alu instid0(VALU_DEP_3)
	v_cmp_ge_i32_e32 vcc_lo, v10, v14
	s_or_b32 s11, vcc_lo, s11
	s_waitcnt vmcnt(0)
	v_lshlrev_b32_e32 v11, 16, v9
	ds_store_b16 v8, v9
	v_max_f32_e64 v11, |v11|, |v11|
	s_delay_alu instid0(VALU_DEP_1)
	v_dual_max_f32 v3, v3, v11 :: v_dual_add_nc_u32 v8, 32, v8
	s_and_not1_b32 exec_lo, exec_lo, s11
	s_cbranch_execnz .LBB31_9
; %bb.10:
	s_or_b32 exec_lo, exec_lo, s11
.LBB31_11:
	s_delay_alu instid0(SALU_CYCLE_1)
	s_or_b32 exec_lo, exec_lo, s10
                                        ; implicit-def: $vgpr6_vgpr7
.LBB31_12:
	s_and_not1_saveexec_b32 s9, s9
	s_cbranch_execz .LBB31_18
; %bb.13:
	v_mov_b32_e32 v3, s5
	s_ashr_i32 s11, s8, 3
	s_mov_b32 s10, exec_lo
	v_cmpx_gt_i32_e64 s11, v12
	s_cbranch_execz .LBB31_17
; %bb.14:
	v_dual_mov_b32 v3, s5 :: v_dual_lshlrev_b32 v8, 4, v12
	v_lshlrev_b32_e32 v9, 1, v13
	s_delay_alu instid0(VALU_DEP_2) | instskip(SKIP_1) | instid1(VALU_DEP_3)
	v_add_co_u32 v6, vcc_lo, v6, v8
	v_add_co_ci_u32_e32 v7, vcc_lo, 0, v7, vcc_lo
	v_add3_u32 v8, v9, v8, 0
	s_delay_alu instid0(VALU_DEP_3) | instskip(NEXT) | instid1(VALU_DEP_3)
	v_add_co_u32 v6, vcc_lo, v6, s2
	v_add_co_ci_u32_e32 v7, vcc_lo, s3, v7, vcc_lo
	v_mov_b32_e32 v9, v12
	s_delay_alu instid0(VALU_DEP_3) | instskip(NEXT) | instid1(VALU_DEP_3)
	v_add_co_u32 v6, vcc_lo, v6, 8
	v_add_co_ci_u32_e32 v7, vcc_lo, 0, v7, vcc_lo
	s_mov_b32 s2, 0
	s_set_inst_prefetch_distance 0x1
	.p2align	6
.LBB31_15:                              ; =>This Inner Loop Header: Depth=1
	global_load_b128 v[14:17], v[6:7], off offset:-8
	v_add_nc_u32_e32 v9, 16, v9
	v_add_co_u32 v6, vcc_lo, 0x100, v6
	v_add_co_ci_u32_e32 v7, vcc_lo, 0, v7, vcc_lo
	s_delay_alu instid0(VALU_DEP_3)
	v_cmp_le_i32_e32 vcc_lo, s11, v9
	s_or_b32 s2, vcc_lo, s2
	s_waitcnt vmcnt(0)
	v_lshlrev_b32_e32 v10, 16, v14
	v_and_b32_e32 v11, 0xffff0000, v14
	v_lshlrev_b32_e32 v18, 16, v15
	v_and_b32_e32 v19, 0xffff0000, v15
	ds_store_b128 v8, v[14:17]
	v_add_nc_u32_e32 v8, 0x100, v8
	v_max3_f32 v3, v3, |v10|, |v11|
	v_lshlrev_b32_e32 v10, 16, v16
	v_and_b32_e32 v11, 0xffff0000, v16
	s_delay_alu instid0(VALU_DEP_3) | instskip(SKIP_2) | instid1(VALU_DEP_3)
	v_max3_f32 v3, v3, |v18|, |v19|
	v_lshlrev_b32_e32 v18, 16, v17
	v_and_b32_e32 v19, 0xffff0000, v17
	v_max3_f32 v3, v3, |v10|, |v11|
	s_delay_alu instid0(VALU_DEP_1)
	v_max3_f32 v3, v3, |v18|, |v19|
	s_and_not1_b32 exec_lo, exec_lo, s2
	s_cbranch_execnz .LBB31_15
; %bb.16:
	s_set_inst_prefetch_distance 0x2
	s_or_b32 exec_lo, exec_lo, s2
.LBB31_17:
	s_delay_alu instid0(SALU_CYCLE_1)
	s_or_b32 exec_lo, exec_lo, s10
.LBB31_18:
	s_delay_alu instid0(SALU_CYCLE_1) | instskip(SKIP_3) | instid1(VALU_DEP_1)
	s_or_b32 exec_lo, exec_lo, s9
	v_mbcnt_lo_u32_b32 v6, -1, 0
	s_load_b64 s[2:3], s[0:1], 0x8
	s_mov_b32 s5, exec_lo
	v_xor_b32_e32 v8, 8, v6
	v_and_b32_e32 v7, 16, v6
	v_xor_b32_e32 v9, 4, v6
	s_delay_alu instid0(VALU_DEP_2) | instskip(NEXT) | instid1(VALU_DEP_1)
	v_add_nc_u32_e32 v7, 16, v7
	v_cmp_lt_i32_e32 vcc_lo, v8, v7
	v_cndmask_b32_e32 v8, v6, v8, vcc_lo
	s_delay_alu instid0(VALU_DEP_1) | instskip(SKIP_4) | instid1(VALU_DEP_2)
	v_lshlrev_b32_e32 v8, 2, v8
	ds_bpermute_b32 v8, v8, v3
	s_waitcnt lgkmcnt(0)
	v_dual_max_f32 v3, v3, v3 :: v_dual_max_f32 v8, v8, v8
	v_cmp_lt_i32_e32 vcc_lo, v9, v7
	v_max_f32_e32 v3, v3, v8
	v_cndmask_b32_e32 v9, v6, v9, vcc_lo
	s_delay_alu instid0(VALU_DEP_1) | instskip(SKIP_2) | instid1(VALU_DEP_1)
	v_lshlrev_b32_e32 v9, 2, v9
	ds_bpermute_b32 v8, v9, v3
	v_xor_b32_e32 v9, 2, v6
	v_cmp_lt_i32_e32 vcc_lo, v9, v7
	v_cndmask_b32_e32 v9, v6, v9, vcc_lo
	s_waitcnt lgkmcnt(0)
	s_delay_alu instid0(VALU_DEP_1) | instskip(NEXT) | instid1(VALU_DEP_1)
	v_dual_max_f32 v8, v8, v8 :: v_dual_lshlrev_b32 v9, 2, v9
	v_max_f32_e32 v3, v3, v8
	ds_bpermute_b32 v8, v9, v3
	v_xor_b32_e32 v9, 1, v6
	s_delay_alu instid0(VALU_DEP_1) | instskip(SKIP_2) | instid1(VALU_DEP_1)
	v_cmp_lt_i32_e32 vcc_lo, v9, v7
	v_cndmask_b32_e32 v6, v6, v9, vcc_lo
	s_waitcnt lgkmcnt(0)
	v_dual_max_f32 v7, v8, v8 :: v_dual_lshlrev_b32 v6, 2, v6
	s_delay_alu instid0(VALU_DEP_1) | instskip(SKIP_3) | instid1(VALU_DEP_1)
	v_max_f32_e32 v3, v3, v7
	ds_bpermute_b32 v6, v6, v3
	s_waitcnt lgkmcnt(0)
	v_max_f32_e32 v6, v6, v6
	v_max_f32_e32 v3, v3, v6
	s_delay_alu instid0(VALU_DEP_1) | instskip(SKIP_1) | instid1(VALU_DEP_2)
	v_div_scale_f32 v6, null, s7, s7, v3
	v_div_scale_f32 v9, vcc_lo, v3, s7, v3
	v_rcp_f32_e32 v7, v6
	s_waitcnt_depctr 0xfff
	v_fma_f32 v8, -v6, v7, 1.0
	s_delay_alu instid0(VALU_DEP_1) | instskip(NEXT) | instid1(VALU_DEP_1)
	v_fmac_f32_e32 v7, v8, v7
	v_mul_f32_e32 v8, v9, v7
	s_delay_alu instid0(VALU_DEP_1) | instskip(NEXT) | instid1(VALU_DEP_1)
	v_fma_f32 v10, -v6, v8, v9
	v_fmac_f32_e32 v8, v10, v7
	s_delay_alu instid0(VALU_DEP_1) | instskip(NEXT) | instid1(VALU_DEP_1)
	v_fma_f32 v6, -v6, v8, v9
	v_div_fmas_f32 v6, v6, v7, v8
	s_delay_alu instid0(VALU_DEP_1)
	v_div_fixup_f32 v8, v6, s7, v3
	v_cmpx_eq_u32_e32 0, v12
	s_cbranch_execz .LBB31_20
; %bb.19:
	s_load_b64 s[0:1], s[0:1], 0x10
	v_lshlrev_b64 v[1:2], 2, v[1:2]
	s_waitcnt lgkmcnt(0)
	s_delay_alu instid0(VALU_DEP_1) | instskip(NEXT) | instid1(VALU_DEP_2)
	v_add_co_u32 v1, vcc_lo, s0, v1
	v_add_co_ci_u32_e32 v2, vcc_lo, s1, v2, vcc_lo
	global_store_b32 v[1:2], v8, off
.LBB31_20:
	s_or_b32 exec_lo, exec_lo, s5
	v_dual_mov_b32 v2, 0 :: v_dual_and_b32 v1, 15, v0
	s_xor_b32 s0, s4, -1
	s_waitcnt_vscnt null, 0x0
	s_barrier
	buffer_gl0_inv
	v_cmp_ne_u64_e32 vcc_lo, 0, v[1:2]
	s_or_b32 s0, s0, vcc_lo
	s_delay_alu instid0(SALU_CYCLE_1) | instskip(NEXT) | instid1(SALU_CYCLE_1)
	s_and_saveexec_b32 s1, s0
	s_xor_b32 s4, exec_lo, s1
	s_cbranch_execz .LBB31_97
; %bb.21:
	v_sub_nc_u32_e32 v1, 0, v0
	v_add_co_u32 v15, vcc_lo, s2, v4
	v_add_co_ci_u32_e32 v16, vcc_lo, s3, v5, vcc_lo
	s_delay_alu instid0(VALU_DEP_3) | instskip(SKIP_1) | instid1(VALU_DEP_1)
	v_bfe_u32 v1, v1, 1, 3
	s_mov_b32 s0, exec_lo
	v_min_i32_e32 v10, s8, v1
	s_delay_alu instid0(VALU_DEP_1)
	v_cmpx_gt_i32_e64 v10, v12
	s_cbranch_execz .LBB31_29
; %bb.22:
	v_lshl_add_u32 v0, v12, 1, v0
	s_mov_b32 s1, exec_lo
	ds_load_u16 v0, v0
	s_waitcnt lgkmcnt(0)
	v_lshlrev_b32_e32 v0, 16, v0
	s_delay_alu instid0(VALU_DEP_1) | instskip(SKIP_1) | instid1(VALU_DEP_2)
	v_div_scale_f32 v1, null, v8, v8, v0
	v_div_scale_f32 v6, vcc_lo, v0, v8, v0
	v_rcp_f32_e32 v2, v1
	s_waitcnt_depctr 0xfff
	v_fma_f32 v3, -v1, v2, 1.0
	s_delay_alu instid0(VALU_DEP_1) | instskip(NEXT) | instid1(VALU_DEP_1)
	v_fmac_f32_e32 v2, v3, v2
	v_mul_f32_e32 v3, v6, v2
	s_delay_alu instid0(VALU_DEP_1) | instskip(NEXT) | instid1(VALU_DEP_1)
	v_fma_f32 v7, -v1, v3, v6
	v_fmac_f32_e32 v3, v7, v2
	s_delay_alu instid0(VALU_DEP_1) | instskip(NEXT) | instid1(VALU_DEP_1)
	v_fma_f32 v1, -v1, v3, v6
	v_div_fmas_f32 v1, v1, v2, v3
	v_max_f32_e64 v2, s6, s6
	v_max_f32_e64 v3, s7, s7
	s_delay_alu instid0(VALU_DEP_3) | instskip(SKIP_1) | instid1(VALU_DEP_2)
	v_div_fixup_f32 v0, v1, v8, v0
	v_mov_b32_e32 v1, 0x7f
	v_maxmin_f32 v0, v0, v2, v3
	s_delay_alu instid0(VALU_DEP_1) | instskip(NEXT) | instid1(VALU_DEP_1)
	v_and_b32_e32 v2, 0x7fffffff, v0
	v_cmpx_gt_u32_e32 0x43f00000, v2
	s_cbranch_execz .LBB31_28
; %bb.23:
	s_mov_b32 s5, exec_lo
                                        ; implicit-def: $vgpr1
	v_cmpx_lt_u32_e32 0x3c7fffff, v2
	s_xor_b32 s5, exec_lo, s5
; %bb.24:
	v_bfe_u32 v1, v0, 20, 1
	s_delay_alu instid0(VALU_DEP_1) | instskip(NEXT) | instid1(VALU_DEP_1)
	v_add3_u32 v1, v0, v1, 0x407ffff
	v_lshrrev_b32_e32 v1, 20, v1
; %bb.25:
	s_and_not1_saveexec_b32 s5, s5
; %bb.26:
	v_add_f32_e64 v1, 0x46800000, |v0|
; %bb.27:
	s_or_b32 exec_lo, exec_lo, s5
.LBB31_28:
	s_delay_alu instid0(SALU_CYCLE_1) | instskip(SKIP_3) | instid1(VALU_DEP_3)
	s_or_b32 exec_lo, exec_lo, s1
	v_lshrrev_b32_e32 v0, 24, v0
	v_add_co_u32 v2, vcc_lo, v15, v12
	v_add_co_ci_u32_e32 v3, vcc_lo, 0, v16, vcc_lo
	v_and_or_b32 v0, 0x80, v0, v1
	global_store_b8 v[2:3], v0, off
.LBB31_29:
	s_or_b32 exec_lo, exec_lo, s0
	v_sub_nc_u32_e32 v9, s8, v10
	v_ashrrev_i32_e32 v11, 31, v10
	v_lshlrev_b32_e32 v14, 1, v10
	s_mov_b32 s1, exec_lo
	s_delay_alu instid0(VALU_DEP_3) | instskip(NEXT) | instid1(VALU_DEP_1)
	v_ashrrev_i32_e32 v0, 31, v9
	v_lshrrev_b32_e32 v0, 29, v0
	s_delay_alu instid0(VALU_DEP_1) | instskip(NEXT) | instid1(VALU_DEP_1)
	v_add_nc_u32_e32 v0, v9, v0
	v_ashrrev_i32_e32 v17, 3, v0
	s_delay_alu instid0(VALU_DEP_1)
	v_cmpx_gt_i32_e64 v17, v12
	s_cbranch_execz .LBB31_80
; %bb.30:
	v_dual_mov_b32 v21, v12 :: v_dual_lshlrev_b32 v0, 4, v12
	v_lshlrev_b32_e32 v1, 3, v12
	v_add_co_u32 v2, vcc_lo, v10, v4
	v_add_co_ci_u32_e32 v3, vcc_lo, v11, v5, vcc_lo
	s_delay_alu instid0(VALU_DEP_4) | instskip(SKIP_1) | instid1(VALU_DEP_4)
	v_lshl_add_u32 v0, v13, 1, v0
	v_lshlrev_b32_e32 v6, 1, v10
	v_add_co_u32 v1, vcc_lo, v2, v1
	s_delay_alu instid0(VALU_DEP_4) | instskip(NEXT) | instid1(VALU_DEP_3)
	v_add_co_ci_u32_e32 v2, vcc_lo, 0, v3, vcc_lo
	v_add3_u32 v18, v0, v6, 0
	s_delay_alu instid0(VALU_DEP_3) | instskip(NEXT) | instid1(VALU_DEP_3)
	v_add_co_u32 v6, vcc_lo, s2, v1
	v_add_co_ci_u32_e32 v7, vcc_lo, s3, v2, vcc_lo
	v_max_f32_e64 v19, s6, s6
	v_max_f32_e64 v20, s7, s7
	s_mov_b32 s5, 0
	s_branch .LBB31_33
.LBB31_31:                              ;   in Loop: Header=BB31_33 Depth=1
	s_or_b32 exec_lo, exec_lo, s9
.LBB31_32:                              ;   in Loop: Header=BB31_33 Depth=1
	s_delay_alu instid0(SALU_CYCLE_1)
	s_or_b32 exec_lo, exec_lo, s0
	v_lshrrev_b32_e32 v33, 24, v33
	v_lshrrev_b32_e32 v27, 24, v27
	;; [unrolled: 1-line block ×5, first 2 shown]
	v_and_b32_e32 v33, 0x80, v33
	v_and_b32_e32 v27, 0x80, v27
	v_lshrrev_b32_e32 v30, 24, v30
	v_and_b32_e32 v2, 0x80, v2
	v_lshrrev_b32_e32 v24, 24, v24
	v_and_or_b32 v3, 0x80, v3, v32
	v_and_or_b32 v31, 0xff, v31, v33
	v_and_b32_e32 v0, 0x80, v0
	v_and_or_b32 v26, 0xff, v26, v27
	v_and_b32_e32 v30, 0x80, v30
	v_and_b32_e32 v24, 0x80, v24
	v_lshlrev_b32_e32 v3, 24, v3
	v_lshlrev_b32_e32 v31, 16, v31
	v_and_or_b32 v2, 0xff, v29, v2
	v_lshlrev_b32_e32 v25, 24, v25
	v_and_b32_e32 v1, 0x80000000, v1
	v_and_or_b32 v0, 0xff, v23, v0
	v_lshlrev_b32_e32 v23, 16, v26
	v_or_b32_e32 v3, v3, v31
	v_lshlrev_b32_e32 v2, 8, v2
	v_and_or_b32 v26, 0xff, v28, v30
	v_lshlrev_b32_e32 v0, 8, v0
	v_or3_b32 v23, v25, v1, v23
	v_and_or_b32 v22, 0xff, v22, v24
	v_add_nc_u32_e32 v21, 16, v21
	v_or3_b32 v1, v3, v2, v26
	v_add_nc_u32_e32 v18, 0x100, v18
	s_delay_alu instid0(VALU_DEP_4) | instskip(NEXT) | instid1(VALU_DEP_4)
	v_or3_b32 v0, v23, v0, v22
	v_cmp_ge_i32_e32 vcc_lo, v21, v17
	global_store_b64 v[6:7], v[0:1], off
	v_add_co_u32 v6, s0, 0x80, v6
	s_delay_alu instid0(VALU_DEP_1) | instskip(SKIP_1) | instid1(SALU_CYCLE_1)
	v_add_co_ci_u32_e64 v7, s0, 0, v7, s0
	s_or_b32 s5, vcc_lo, s5
	s_and_not1_b32 exec_lo, exec_lo, s5
	s_cbranch_execz .LBB31_80
.LBB31_33:                              ; =>This Inner Loop Header: Depth=1
	ds_load_b128 v[0:3], v18
	s_mov_b32 s0, exec_lo
	s_waitcnt lgkmcnt(0)
	v_lshlrev_b32_e32 v22, 16, v0
	s_delay_alu instid0(VALU_DEP_1) | instskip(SKIP_1) | instid1(VALU_DEP_2)
	v_div_scale_f32 v23, null, v8, v8, v22
	v_div_scale_f32 v26, vcc_lo, v22, v8, v22
	v_rcp_f32_e32 v24, v23
	s_waitcnt_depctr 0xfff
	v_fma_f32 v25, -v23, v24, 1.0
	s_delay_alu instid0(VALU_DEP_1) | instskip(NEXT) | instid1(VALU_DEP_1)
	v_fmac_f32_e32 v24, v25, v24
	v_mul_f32_e32 v25, v26, v24
	s_delay_alu instid0(VALU_DEP_1) | instskip(NEXT) | instid1(VALU_DEP_1)
	v_fma_f32 v27, -v23, v25, v26
	v_fmac_f32_e32 v25, v27, v24
	s_delay_alu instid0(VALU_DEP_1) | instskip(NEXT) | instid1(VALU_DEP_1)
	v_fma_f32 v23, -v23, v25, v26
	v_div_fmas_f32 v23, v23, v24, v25
	s_delay_alu instid0(VALU_DEP_1) | instskip(SKIP_1) | instid1(VALU_DEP_2)
	v_div_fixup_f32 v22, v23, v8, v22
	v_mov_b32_e32 v23, 0x7f
	v_maxmin_f32 v24, v22, v19, v20
	v_mov_b32_e32 v22, 0x7f
	s_delay_alu instid0(VALU_DEP_2) | instskip(NEXT) | instid1(VALU_DEP_1)
	v_and_b32_e32 v25, 0x7fffffff, v24
	v_cmpx_gt_u32_e32 0x43f00000, v25
	s_cbranch_execz .LBB31_39
; %bb.34:                               ;   in Loop: Header=BB31_33 Depth=1
	s_mov_b32 s9, exec_lo
                                        ; implicit-def: $vgpr22
	v_cmpx_lt_u32_e32 0x3c7fffff, v25
	s_xor_b32 s9, exec_lo, s9
; %bb.35:                               ;   in Loop: Header=BB31_33 Depth=1
	v_bfe_u32 v22, v24, 20, 1
	s_delay_alu instid0(VALU_DEP_1) | instskip(NEXT) | instid1(VALU_DEP_1)
	v_add3_u32 v22, v24, v22, 0x407ffff
	v_lshrrev_b32_e32 v22, 20, v22
; %bb.36:                               ;   in Loop: Header=BB31_33 Depth=1
	s_and_not1_saveexec_b32 s9, s9
; %bb.37:                               ;   in Loop: Header=BB31_33 Depth=1
	v_add_f32_e64 v22, 0x46800000, |v24|
; %bb.38:                               ;   in Loop: Header=BB31_33 Depth=1
	s_or_b32 exec_lo, exec_lo, s9
.LBB31_39:                              ;   in Loop: Header=BB31_33 Depth=1
	s_delay_alu instid0(SALU_CYCLE_1) | instskip(SKIP_2) | instid1(VALU_DEP_1)
	s_or_b32 exec_lo, exec_lo, s0
	v_and_b32_e32 v0, 0xffff0000, v0
	s_mov_b32 s0, exec_lo
	v_div_scale_f32 v25, null, v8, v8, v0
	s_delay_alu instid0(VALU_DEP_1) | instskip(SKIP_2) | instid1(VALU_DEP_1)
	v_rcp_f32_e32 v26, v25
	s_waitcnt_depctr 0xfff
	v_fma_f32 v27, -v25, v26, 1.0
	v_fmac_f32_e32 v26, v27, v26
	v_div_scale_f32 v27, vcc_lo, v0, v8, v0
	s_delay_alu instid0(VALU_DEP_1) | instskip(NEXT) | instid1(VALU_DEP_1)
	v_mul_f32_e32 v28, v27, v26
	v_fma_f32 v29, -v25, v28, v27
	s_delay_alu instid0(VALU_DEP_1) | instskip(NEXT) | instid1(VALU_DEP_1)
	v_fmac_f32_e32 v28, v29, v26
	v_fma_f32 v25, -v25, v28, v27
	s_delay_alu instid0(VALU_DEP_1) | instskip(NEXT) | instid1(VALU_DEP_1)
	v_div_fmas_f32 v25, v25, v26, v28
	v_div_fixup_f32 v0, v25, v8, v0
	s_delay_alu instid0(VALU_DEP_1) | instskip(NEXT) | instid1(VALU_DEP_1)
	v_maxmin_f32 v0, v0, v19, v20
	v_and_b32_e32 v25, 0x7fffffff, v0
	s_delay_alu instid0(VALU_DEP_1)
	v_cmpx_gt_u32_e32 0x43f00000, v25
	s_cbranch_execz .LBB31_45
; %bb.40:                               ;   in Loop: Header=BB31_33 Depth=1
	s_mov_b32 s9, exec_lo
                                        ; implicit-def: $vgpr23
	v_cmpx_lt_u32_e32 0x3c7fffff, v25
	s_xor_b32 s9, exec_lo, s9
; %bb.41:                               ;   in Loop: Header=BB31_33 Depth=1
	v_bfe_u32 v23, v0, 20, 1
	s_delay_alu instid0(VALU_DEP_1) | instskip(NEXT) | instid1(VALU_DEP_1)
	v_add3_u32 v23, v0, v23, 0x407ffff
	v_lshrrev_b32_e32 v23, 20, v23
; %bb.42:                               ;   in Loop: Header=BB31_33 Depth=1
	s_and_not1_saveexec_b32 s9, s9
; %bb.43:                               ;   in Loop: Header=BB31_33 Depth=1
	v_add_f32_e64 v23, 0x46800000, |v0|
; %bb.44:                               ;   in Loop: Header=BB31_33 Depth=1
	s_or_b32 exec_lo, exec_lo, s9
.LBB31_45:                              ;   in Loop: Header=BB31_33 Depth=1
	s_delay_alu instid0(SALU_CYCLE_1) | instskip(SKIP_2) | instid1(VALU_DEP_1)
	s_or_b32 exec_lo, exec_lo, s0
	v_lshlrev_b32_e32 v25, 16, v1
	s_mov_b32 s0, exec_lo
	v_div_scale_f32 v26, null, v8, v8, v25
	v_div_scale_f32 v29, vcc_lo, v25, v8, v25
	s_delay_alu instid0(VALU_DEP_2) | instskip(SKIP_2) | instid1(VALU_DEP_1)
	v_rcp_f32_e32 v27, v26
	s_waitcnt_depctr 0xfff
	v_fma_f32 v28, -v26, v27, 1.0
	v_fmac_f32_e32 v27, v28, v27
	s_delay_alu instid0(VALU_DEP_1) | instskip(NEXT) | instid1(VALU_DEP_1)
	v_mul_f32_e32 v28, v29, v27
	v_fma_f32 v30, -v26, v28, v29
	s_delay_alu instid0(VALU_DEP_1) | instskip(NEXT) | instid1(VALU_DEP_1)
	v_fmac_f32_e32 v28, v30, v27
	v_fma_f32 v26, -v26, v28, v29
	s_delay_alu instid0(VALU_DEP_1) | instskip(NEXT) | instid1(VALU_DEP_1)
	v_div_fmas_f32 v26, v26, v27, v28
	v_div_fixup_f32 v25, v26, v8, v25
	v_mov_b32_e32 v26, 0x7f
	s_delay_alu instid0(VALU_DEP_2) | instskip(SKIP_1) | instid1(VALU_DEP_2)
	v_maxmin_f32 v27, v25, v19, v20
	v_mov_b32_e32 v25, 0x7f
	v_and_b32_e32 v28, 0x7fffffff, v27
	s_delay_alu instid0(VALU_DEP_1)
	v_cmpx_gt_u32_e32 0x43f00000, v28
	s_cbranch_execz .LBB31_51
; %bb.46:                               ;   in Loop: Header=BB31_33 Depth=1
	s_mov_b32 s9, exec_lo
                                        ; implicit-def: $vgpr26
	v_cmpx_lt_u32_e32 0x3c7fffff, v28
	s_xor_b32 s9, exec_lo, s9
; %bb.47:                               ;   in Loop: Header=BB31_33 Depth=1
	v_bfe_u32 v26, v27, 20, 1
	s_delay_alu instid0(VALU_DEP_1) | instskip(NEXT) | instid1(VALU_DEP_1)
	v_add3_u32 v26, v27, v26, 0x407ffff
	v_lshrrev_b32_e32 v26, 20, v26
; %bb.48:                               ;   in Loop: Header=BB31_33 Depth=1
	s_and_not1_saveexec_b32 s9, s9
; %bb.49:                               ;   in Loop: Header=BB31_33 Depth=1
	v_add_f32_e64 v26, 0x46800000, |v27|
; %bb.50:                               ;   in Loop: Header=BB31_33 Depth=1
	s_or_b32 exec_lo, exec_lo, s9
.LBB31_51:                              ;   in Loop: Header=BB31_33 Depth=1
	s_delay_alu instid0(SALU_CYCLE_1) | instskip(SKIP_2) | instid1(VALU_DEP_1)
	s_or_b32 exec_lo, exec_lo, s0
	v_and_b32_e32 v1, 0xffff0000, v1
	s_mov_b32 s0, exec_lo
	v_div_scale_f32 v28, null, v8, v8, v1
	s_delay_alu instid0(VALU_DEP_1) | instskip(SKIP_2) | instid1(VALU_DEP_1)
	v_rcp_f32_e32 v29, v28
	s_waitcnt_depctr 0xfff
	v_fma_f32 v30, -v28, v29, 1.0
	v_fmac_f32_e32 v29, v30, v29
	v_div_scale_f32 v30, vcc_lo, v1, v8, v1
	s_delay_alu instid0(VALU_DEP_1) | instskip(NEXT) | instid1(VALU_DEP_1)
	v_mul_f32_e32 v31, v30, v29
	v_fma_f32 v32, -v28, v31, v30
	s_delay_alu instid0(VALU_DEP_1) | instskip(NEXT) | instid1(VALU_DEP_1)
	v_fmac_f32_e32 v31, v32, v29
	v_fma_f32 v28, -v28, v31, v30
	s_delay_alu instid0(VALU_DEP_1) | instskip(NEXT) | instid1(VALU_DEP_1)
	v_div_fmas_f32 v28, v28, v29, v31
	v_div_fixup_f32 v1, v28, v8, v1
	s_delay_alu instid0(VALU_DEP_1) | instskip(NEXT) | instid1(VALU_DEP_1)
	v_maxmin_f32 v1, v1, v19, v20
	v_and_b32_e32 v28, 0x7fffffff, v1
	s_delay_alu instid0(VALU_DEP_1)
	v_cmpx_gt_u32_e32 0x43f00000, v28
	s_cbranch_execz .LBB31_57
; %bb.52:                               ;   in Loop: Header=BB31_33 Depth=1
	s_mov_b32 s9, exec_lo
                                        ; implicit-def: $vgpr25
	v_cmpx_lt_u32_e32 0x3c7fffff, v28
	s_xor_b32 s9, exec_lo, s9
; %bb.53:                               ;   in Loop: Header=BB31_33 Depth=1
	v_bfe_u32 v25, v1, 20, 1
	s_delay_alu instid0(VALU_DEP_1) | instskip(NEXT) | instid1(VALU_DEP_1)
	v_add3_u32 v25, v1, v25, 0x407ffff
	v_lshrrev_b32_e32 v25, 20, v25
; %bb.54:                               ;   in Loop: Header=BB31_33 Depth=1
	s_and_not1_saveexec_b32 s9, s9
; %bb.55:                               ;   in Loop: Header=BB31_33 Depth=1
	v_add_f32_e64 v25, 0x46800000, |v1|
; %bb.56:                               ;   in Loop: Header=BB31_33 Depth=1
	s_or_b32 exec_lo, exec_lo, s9
.LBB31_57:                              ;   in Loop: Header=BB31_33 Depth=1
	s_delay_alu instid0(SALU_CYCLE_1) | instskip(SKIP_2) | instid1(VALU_DEP_1)
	s_or_b32 exec_lo, exec_lo, s0
	v_lshlrev_b32_e32 v28, 16, v2
	s_mov_b32 s0, exec_lo
	v_div_scale_f32 v29, null, v8, v8, v28
	v_div_scale_f32 v32, vcc_lo, v28, v8, v28
	s_delay_alu instid0(VALU_DEP_2) | instskip(SKIP_2) | instid1(VALU_DEP_1)
	v_rcp_f32_e32 v30, v29
	s_waitcnt_depctr 0xfff
	v_fma_f32 v31, -v29, v30, 1.0
	v_fmac_f32_e32 v30, v31, v30
	s_delay_alu instid0(VALU_DEP_1) | instskip(NEXT) | instid1(VALU_DEP_1)
	v_mul_f32_e32 v31, v32, v30
	v_fma_f32 v33, -v29, v31, v32
	s_delay_alu instid0(VALU_DEP_1) | instskip(NEXT) | instid1(VALU_DEP_1)
	v_fmac_f32_e32 v31, v33, v30
	v_fma_f32 v29, -v29, v31, v32
	s_delay_alu instid0(VALU_DEP_1) | instskip(NEXT) | instid1(VALU_DEP_1)
	v_div_fmas_f32 v29, v29, v30, v31
	v_div_fixup_f32 v28, v29, v8, v28
	v_mov_b32_e32 v29, 0x7f
	s_delay_alu instid0(VALU_DEP_2) | instskip(SKIP_1) | instid1(VALU_DEP_2)
	v_maxmin_f32 v30, v28, v19, v20
	v_mov_b32_e32 v28, 0x7f
	v_and_b32_e32 v31, 0x7fffffff, v30
	s_delay_alu instid0(VALU_DEP_1)
	v_cmpx_gt_u32_e32 0x43f00000, v31
	s_cbranch_execz .LBB31_63
; %bb.58:                               ;   in Loop: Header=BB31_33 Depth=1
	s_mov_b32 s9, exec_lo
                                        ; implicit-def: $vgpr28
	v_cmpx_lt_u32_e32 0x3c7fffff, v31
	s_xor_b32 s9, exec_lo, s9
; %bb.59:                               ;   in Loop: Header=BB31_33 Depth=1
	v_bfe_u32 v28, v30, 20, 1
	s_delay_alu instid0(VALU_DEP_1) | instskip(NEXT) | instid1(VALU_DEP_1)
	v_add3_u32 v28, v30, v28, 0x407ffff
	v_lshrrev_b32_e32 v28, 20, v28
; %bb.60:                               ;   in Loop: Header=BB31_33 Depth=1
	s_and_not1_saveexec_b32 s9, s9
; %bb.61:                               ;   in Loop: Header=BB31_33 Depth=1
	v_add_f32_e64 v28, 0x46800000, |v30|
; %bb.62:                               ;   in Loop: Header=BB31_33 Depth=1
	s_or_b32 exec_lo, exec_lo, s9
.LBB31_63:                              ;   in Loop: Header=BB31_33 Depth=1
	s_delay_alu instid0(SALU_CYCLE_1) | instskip(SKIP_2) | instid1(VALU_DEP_1)
	s_or_b32 exec_lo, exec_lo, s0
	v_and_b32_e32 v2, 0xffff0000, v2
	s_mov_b32 s0, exec_lo
	v_div_scale_f32 v31, null, v8, v8, v2
	s_delay_alu instid0(VALU_DEP_1) | instskip(SKIP_2) | instid1(VALU_DEP_1)
	v_rcp_f32_e32 v32, v31
	s_waitcnt_depctr 0xfff
	v_fma_f32 v33, -v31, v32, 1.0
	v_fmac_f32_e32 v32, v33, v32
	v_div_scale_f32 v33, vcc_lo, v2, v8, v2
	s_delay_alu instid0(VALU_DEP_1) | instskip(NEXT) | instid1(VALU_DEP_1)
	v_mul_f32_e32 v34, v33, v32
	v_fma_f32 v35, -v31, v34, v33
	s_delay_alu instid0(VALU_DEP_1) | instskip(NEXT) | instid1(VALU_DEP_1)
	v_fmac_f32_e32 v34, v35, v32
	v_fma_f32 v31, -v31, v34, v33
	s_delay_alu instid0(VALU_DEP_1) | instskip(NEXT) | instid1(VALU_DEP_1)
	v_div_fmas_f32 v31, v31, v32, v34
	v_div_fixup_f32 v2, v31, v8, v2
	s_delay_alu instid0(VALU_DEP_1) | instskip(NEXT) | instid1(VALU_DEP_1)
	v_maxmin_f32 v2, v2, v19, v20
	v_and_b32_e32 v31, 0x7fffffff, v2
	s_delay_alu instid0(VALU_DEP_1)
	v_cmpx_gt_u32_e32 0x43f00000, v31
	s_cbranch_execz .LBB31_69
; %bb.64:                               ;   in Loop: Header=BB31_33 Depth=1
	s_mov_b32 s9, exec_lo
                                        ; implicit-def: $vgpr29
	v_cmpx_lt_u32_e32 0x3c7fffff, v31
	s_xor_b32 s9, exec_lo, s9
; %bb.65:                               ;   in Loop: Header=BB31_33 Depth=1
	v_bfe_u32 v29, v2, 20, 1
	s_delay_alu instid0(VALU_DEP_1) | instskip(NEXT) | instid1(VALU_DEP_1)
	v_add3_u32 v29, v2, v29, 0x407ffff
	v_lshrrev_b32_e32 v29, 20, v29
; %bb.66:                               ;   in Loop: Header=BB31_33 Depth=1
	s_and_not1_saveexec_b32 s9, s9
; %bb.67:                               ;   in Loop: Header=BB31_33 Depth=1
	v_add_f32_e64 v29, 0x46800000, |v2|
; %bb.68:                               ;   in Loop: Header=BB31_33 Depth=1
	s_or_b32 exec_lo, exec_lo, s9
.LBB31_69:                              ;   in Loop: Header=BB31_33 Depth=1
	s_delay_alu instid0(SALU_CYCLE_1) | instskip(SKIP_2) | instid1(VALU_DEP_1)
	s_or_b32 exec_lo, exec_lo, s0
	v_lshlrev_b32_e32 v31, 16, v3
	s_mov_b32 s0, exec_lo
	v_div_scale_f32 v32, null, v8, v8, v31
	v_div_scale_f32 v35, vcc_lo, v31, v8, v31
	s_delay_alu instid0(VALU_DEP_2) | instskip(SKIP_2) | instid1(VALU_DEP_1)
	v_rcp_f32_e32 v33, v32
	s_waitcnt_depctr 0xfff
	v_fma_f32 v34, -v32, v33, 1.0
	v_fmac_f32_e32 v33, v34, v33
	s_delay_alu instid0(VALU_DEP_1) | instskip(NEXT) | instid1(VALU_DEP_1)
	v_mul_f32_e32 v34, v35, v33
	v_fma_f32 v36, -v32, v34, v35
	s_delay_alu instid0(VALU_DEP_1) | instskip(NEXT) | instid1(VALU_DEP_1)
	v_fmac_f32_e32 v34, v36, v33
	v_fma_f32 v32, -v32, v34, v35
	s_delay_alu instid0(VALU_DEP_1) | instskip(NEXT) | instid1(VALU_DEP_1)
	v_div_fmas_f32 v32, v32, v33, v34
	v_div_fixup_f32 v31, v32, v8, v31
	v_mov_b32_e32 v32, 0x7f
	s_delay_alu instid0(VALU_DEP_2) | instskip(SKIP_1) | instid1(VALU_DEP_2)
	v_maxmin_f32 v33, v31, v19, v20
	v_mov_b32_e32 v31, 0x7f
	v_and_b32_e32 v34, 0x7fffffff, v33
	s_delay_alu instid0(VALU_DEP_1)
	v_cmpx_gt_u32_e32 0x43f00000, v34
	s_cbranch_execz .LBB31_75
; %bb.70:                               ;   in Loop: Header=BB31_33 Depth=1
	s_mov_b32 s9, exec_lo
                                        ; implicit-def: $vgpr31
	v_cmpx_lt_u32_e32 0x3c7fffff, v34
	s_xor_b32 s9, exec_lo, s9
; %bb.71:                               ;   in Loop: Header=BB31_33 Depth=1
	v_bfe_u32 v31, v33, 20, 1
	s_delay_alu instid0(VALU_DEP_1) | instskip(NEXT) | instid1(VALU_DEP_1)
	v_add3_u32 v31, v33, v31, 0x407ffff
	v_lshrrev_b32_e32 v31, 20, v31
; %bb.72:                               ;   in Loop: Header=BB31_33 Depth=1
	s_and_not1_saveexec_b32 s9, s9
; %bb.73:                               ;   in Loop: Header=BB31_33 Depth=1
	v_add_f32_e64 v31, 0x46800000, |v33|
; %bb.74:                               ;   in Loop: Header=BB31_33 Depth=1
	s_or_b32 exec_lo, exec_lo, s9
.LBB31_75:                              ;   in Loop: Header=BB31_33 Depth=1
	s_delay_alu instid0(SALU_CYCLE_1) | instskip(SKIP_2) | instid1(VALU_DEP_1)
	s_or_b32 exec_lo, exec_lo, s0
	v_and_b32_e32 v3, 0xffff0000, v3
	s_mov_b32 s0, exec_lo
	v_div_scale_f32 v34, null, v8, v8, v3
	s_delay_alu instid0(VALU_DEP_1) | instskip(SKIP_2) | instid1(VALU_DEP_1)
	v_rcp_f32_e32 v35, v34
	s_waitcnt_depctr 0xfff
	v_fma_f32 v36, -v34, v35, 1.0
	v_fmac_f32_e32 v35, v36, v35
	v_div_scale_f32 v36, vcc_lo, v3, v8, v3
	s_delay_alu instid0(VALU_DEP_1) | instskip(NEXT) | instid1(VALU_DEP_1)
	v_mul_f32_e32 v37, v36, v35
	v_fma_f32 v38, -v34, v37, v36
	s_delay_alu instid0(VALU_DEP_1) | instskip(NEXT) | instid1(VALU_DEP_1)
	v_fmac_f32_e32 v37, v38, v35
	v_fma_f32 v34, -v34, v37, v36
	s_delay_alu instid0(VALU_DEP_1) | instskip(NEXT) | instid1(VALU_DEP_1)
	v_div_fmas_f32 v34, v34, v35, v37
	v_div_fixup_f32 v3, v34, v8, v3
	s_delay_alu instid0(VALU_DEP_1) | instskip(NEXT) | instid1(VALU_DEP_1)
	v_maxmin_f32 v3, v3, v19, v20
	v_and_b32_e32 v34, 0x7fffffff, v3
	s_delay_alu instid0(VALU_DEP_1)
	v_cmpx_gt_u32_e32 0x43f00000, v34
	s_cbranch_execz .LBB31_32
; %bb.76:                               ;   in Loop: Header=BB31_33 Depth=1
	s_mov_b32 s9, exec_lo
                                        ; implicit-def: $vgpr32
	v_cmpx_lt_u32_e32 0x3c7fffff, v34
	s_xor_b32 s9, exec_lo, s9
; %bb.77:                               ;   in Loop: Header=BB31_33 Depth=1
	v_bfe_u32 v32, v3, 20, 1
	s_delay_alu instid0(VALU_DEP_1) | instskip(NEXT) | instid1(VALU_DEP_1)
	v_add3_u32 v32, v3, v32, 0x407ffff
	v_lshrrev_b32_e32 v32, 20, v32
; %bb.78:                               ;   in Loop: Header=BB31_33 Depth=1
	s_and_not1_saveexec_b32 s9, s9
	s_cbranch_execz .LBB31_31
; %bb.79:                               ;   in Loop: Header=BB31_33 Depth=1
	v_add_f32_e64 v32, 0x46800000, |v3|
	s_branch .LBB31_31
.LBB31_80:
	s_or_b32 exec_lo, exec_lo, s1
	v_lshlrev_b32_e32 v2, 3, v17
	s_mov_b32 s5, exec_lo
	s_delay_alu instid0(VALU_DEP_1) | instskip(NEXT) | instid1(VALU_DEP_1)
	v_add_nc_u32_e32 v0, v2, v12
	v_cmpx_lt_i32_e64 v0, v9
	s_cbranch_execz .LBB31_96
; %bb.81:
	v_add_nc_u32_e32 v1, 16, v0
	s_mov_b32 s0, 0
	s_mov_b32 s1, exec_lo
	s_delay_alu instid0(VALU_DEP_1) | instskip(NEXT) | instid1(VALU_DEP_1)
	v_max_i32_e32 v3, v1, v9
	v_xad_u32 v3, v12, -1, v3
	s_delay_alu instid0(VALU_DEP_1) | instskip(NEXT) | instid1(VALU_DEP_1)
	v_sub_nc_u32_e32 v2, v3, v2
                                        ; implicit-def: $vgpr3
	v_cmpx_lt_u32_e32 15, v2
	s_xor_b32 s9, exec_lo, s1
	s_cbranch_execnz .LBB31_84
; %bb.82:
	s_and_not1_saveexec_b32 s1, s9
	s_cbranch_execnz .LBB31_87
.LBB31_83:
	s_or_b32 exec_lo, exec_lo, s1
	s_delay_alu instid0(SALU_CYCLE_1)
	s_and_b32 exec_lo, exec_lo, s0
	s_cbranch_execnz .LBB31_88
	s_branch .LBB31_96
.LBB31_84:
	v_lshrrev_b32_e32 v2, 4, v2
	v_lshlrev_b32_e32 v3, 1, v13
	v_lshlrev_b32_e32 v17, 4, v17
	v_add_co_u32 v13, vcc_lo, v15, v10
	s_delay_alu instid0(VALU_DEP_4) | instskip(SKIP_3) | instid1(VALU_DEP_4)
	v_add_nc_u32_e32 v6, 1, v2
	v_add_co_ci_u32_e32 v15, vcc_lo, v16, v11, vcc_lo
	v_mov_b32_e32 v16, v8
	v_lshlrev_b32_e32 v12, 1, v12
	v_and_b32_e32 v7, 0x1ffffffe, v6
	v_lshlrev_b32_e32 v14, 1, v10
	s_mov_b32 s0, s6
	s_mov_b32 s1, s6
	;; [unrolled: 1-line block ×3, first 2 shown]
	v_mov_b32_e32 v21, v7
	v_add3_u32 v2, v3, v17, v14
	s_mov_b32 s11, s7
	v_max_f32_e64 v17, s0, s0
	v_max_f32_e64 v18, s1, s1
	;; [unrolled: 1-line block ×3, first 2 shown]
	v_add3_u32 v12, v2, v12, 0
	v_mov_b32_e32 v2, v1
	v_max_f32_e64 v20, s10, s10
	v_mov_b32_e32 v1, v0
	s_mov_b32 s10, 0
.LBB31_85:                              ; =>This Inner Loop Header: Depth=1
	ds_load_u16 v22, v12
	ds_load_u16 v23, v12 offset:32
	v_mov_b32_e32 v24, v2
	v_ashrrev_i32_e32 v25, 31, v2
	v_ashrrev_i32_e32 v26, 31, v1
	v_add_nc_u32_e32 v21, -2, v21
	v_add_nc_u32_e32 v12, 64, v12
	s_waitcnt lgkmcnt(1)
	v_lshlrev_b32_e32 v27, 16, v22
	s_waitcnt lgkmcnt(0)
	v_lshlrev_b32_e32 v23, 16, v23
	s_delay_alu instid0(VALU_DEP_2) | instskip(NEXT) | instid1(VALU_DEP_2)
	v_div_scale_f32 v22, null, v8, v8, v27
	v_div_scale_f32 v28, null, v16, v16, v23
	v_div_scale_f32 v31, vcc_lo, v27, v8, v27
	s_delay_alu instid0(VALU_DEP_3) | instskip(NEXT) | instid1(VALU_DEP_2)
	v_rcp_f32_e32 v29, v22
	v_rcp_f32_e32 v30, v28
	s_waitcnt_depctr 0xfff
	v_fma_f32 v33, -v22, v29, 1.0
	v_fma_f32 v34, -v28, v30, 1.0
	s_delay_alu instid0(VALU_DEP_2) | instskip(NEXT) | instid1(VALU_DEP_2)
	v_dual_fmac_f32 v29, v33, v29 :: v_dual_add_nc_u32 v2, 32, v2
	v_fmac_f32_e32 v30, v34, v30
	v_div_scale_f32 v32, s0, v23, v16, v23
	s_delay_alu instid0(VALU_DEP_1) | instskip(NEXT) | instid1(VALU_DEP_1)
	v_dual_mul_f32 v33, v31, v29 :: v_dual_mul_f32 v34, v32, v30
	v_fma_f32 v35, -v22, v33, v31
	s_delay_alu instid0(VALU_DEP_2) | instskip(NEXT) | instid1(VALU_DEP_1)
	v_fma_f32 v36, -v28, v34, v32
	v_dual_fmac_f32 v33, v35, v29 :: v_dual_fmac_f32 v34, v36, v30
	s_delay_alu instid0(VALU_DEP_1) | instskip(NEXT) | instid1(VALU_DEP_2)
	v_fma_f32 v22, -v22, v33, v31
	v_fma_f32 v28, -v28, v34, v32
	s_delay_alu instid0(VALU_DEP_2) | instskip(SKIP_1) | instid1(VALU_DEP_2)
	v_div_fmas_f32 v29, v22, v29, v33
	s_mov_b32 vcc_lo, s0
	v_div_fmas_f32 v28, v28, v30, v34
	v_add_co_u32 v22, vcc_lo, v13, v1
	s_delay_alu instid0(VALU_DEP_3) | instskip(SKIP_1) | instid1(VALU_DEP_4)
	v_div_fixup_f32 v27, v29, v8, v27
	v_add_nc_u32_e32 v1, 32, v1
	v_div_fixup_f32 v23, v28, v16, v23
	s_delay_alu instid0(VALU_DEP_3) | instskip(NEXT) | instid1(VALU_DEP_2)
	v_maxmin_f32 v27, v27, v17, v20
	v_maxmin_f32 v28, v23, v18, v19
	v_add_co_ci_u32_e32 v23, vcc_lo, v15, v26, vcc_lo
	s_delay_alu instid0(VALU_DEP_3) | instskip(SKIP_1) | instid1(VALU_DEP_4)
	v_bfe_u32 v26, v27, 20, 1
	v_and_b32_e32 v30, 0x7fffffff, v27
	v_bfe_u32 v29, v28, 20, 1
	v_and_b32_e32 v32, 0x7fffffff, v28
	v_add_f32_e64 v31, 0x46800000, |v27|
	v_add3_u32 v26, v27, v26, 0x407ffff
	v_add_nc_u32_e32 v34, 0xc3800000, v30
	v_add3_u32 v29, v28, v29, 0x407ffff
	v_add_nc_u32_e32 v35, 0xc3800000, v32
	v_add_f32_e64 v33, 0x46800000, |v28|
	v_lshrrev_b32_e32 v26, 20, v26
	v_cmp_gt_u32_e64 s0, 0x7700000, v34
	v_lshrrev_b32_e32 v29, 20, v29
	v_cmp_gt_u32_e64 s1, 0x7700000, v35
	v_add_co_u32 v24, vcc_lo, v13, v24
	s_delay_alu instid0(VALU_DEP_4) | instskip(SKIP_1) | instid1(VALU_DEP_4)
	v_cndmask_b32_e64 v26, v31, v26, s0
	v_cmp_gt_u32_e64 s0, 0x43f00000, v30
	v_cndmask_b32_e64 v29, v33, v29, s1
	v_cmp_gt_u32_e64 s1, 0x43f00000, v32
	v_lshrrev_b32_e32 v27, 24, v27
	v_lshrrev_b32_e32 v28, 24, v28
	v_cndmask_b32_e64 v26, 0x7f, v26, s0
	v_add_co_ci_u32_e32 v25, vcc_lo, v15, v25, vcc_lo
	v_cndmask_b32_e64 v29, 0x7f, v29, s1
	v_cmp_eq_u32_e32 vcc_lo, 0, v21
	s_delay_alu instid0(VALU_DEP_4) | instskip(NEXT) | instid1(VALU_DEP_3)
	v_and_or_b32 v26, 0x80, v27, v26
	v_and_or_b32 v27, 0x80, v28, v29
	s_or_b32 s10, vcc_lo, s10
	s_clause 0x1
	global_store_b8 v[22:23], v26, off
	global_store_b8 v[24:25], v27, off
	s_and_not1_b32 exec_lo, exec_lo, s10
	s_cbranch_execnz .LBB31_85
; %bb.86:
	s_or_b32 exec_lo, exec_lo, s10
	v_cmp_ne_u32_e32 vcc_lo, v6, v7
	v_lshl_add_u32 v0, v7, 4, v0
                                        ; implicit-def: $vgpr13
	s_and_b32 s0, vcc_lo, exec_lo
	s_and_not1_saveexec_b32 s1, s9
	s_cbranch_execz .LBB31_83
.LBB31_87:
	v_lshlrev_b32_e32 v3, 1, v13
	s_or_b32 s0, s0, exec_lo
	s_or_b32 exec_lo, exec_lo, s1
	s_delay_alu instid0(SALU_CYCLE_1)
	s_and_b32 exec_lo, exec_lo, s0
	s_cbranch_execz .LBB31_96
.LBB31_88:
	v_add_co_u32 v1, vcc_lo, v10, v4
	v_add_co_ci_u32_e32 v2, vcc_lo, v11, v5, vcc_lo
	v_ashrrev_i32_e32 v4, 31, v0
	s_delay_alu instid0(VALU_DEP_3) | instskip(SKIP_2) | instid1(VALU_DEP_4)
	v_add_co_u32 v1, vcc_lo, v1, v0
	v_lshl_add_u32 v3, v0, 1, v3
	v_max_f32_e64 v5, s7, s7
	v_add_co_ci_u32_e32 v2, vcc_lo, v2, v4, vcc_lo
	s_delay_alu instid0(VALU_DEP_4) | instskip(NEXT) | instid1(VALU_DEP_4)
	v_add_co_u32 v1, vcc_lo, s2, v1
	v_add3_u32 v3, v3, v14, 0
	s_delay_alu instid0(VALU_DEP_3)
	v_add_co_ci_u32_e32 v2, vcc_lo, s3, v2, vcc_lo
	v_max_f32_e64 v4, s6, s6
	s_mov_b32 s1, 0
	s_branch .LBB31_91
.LBB31_89:                              ;   in Loop: Header=BB31_91 Depth=1
	s_or_b32 exec_lo, exec_lo, s9
.LBB31_90:                              ;   in Loop: Header=BB31_91 Depth=1
	s_delay_alu instid0(SALU_CYCLE_1) | instskip(SKIP_3) | instid1(VALU_DEP_3)
	s_or_b32 exec_lo, exec_lo, s0
	v_lshrrev_b32_e32 v6, 24, v6
	v_add_nc_u32_e32 v0, 16, v0
	v_add_nc_u32_e32 v3, 32, v3
	v_and_or_b32 v6, 0x80, v6, v7
	s_delay_alu instid0(VALU_DEP_3) | instskip(SKIP_2) | instid1(VALU_DEP_1)
	v_cmp_ge_i32_e32 vcc_lo, v0, v9
	global_store_b8 v[1:2], v6, off
	v_add_co_u32 v1, s0, v1, 16
	v_add_co_ci_u32_e64 v2, s0, 0, v2, s0
	s_or_b32 s1, vcc_lo, s1
	s_delay_alu instid0(SALU_CYCLE_1)
	s_and_not1_b32 exec_lo, exec_lo, s1
	s_cbranch_execz .LBB31_96
.LBB31_91:                              ; =>This Inner Loop Header: Depth=1
	ds_load_u16 v6, v3
	s_mov_b32 s0, exec_lo
	s_waitcnt lgkmcnt(0)
	v_lshlrev_b32_e32 v6, 16, v6
	s_delay_alu instid0(VALU_DEP_1) | instskip(SKIP_1) | instid1(VALU_DEP_2)
	v_div_scale_f32 v7, null, v8, v8, v6
	v_div_scale_f32 v12, vcc_lo, v6, v8, v6
	v_rcp_f32_e32 v10, v7
	s_waitcnt_depctr 0xfff
	v_fma_f32 v11, -v7, v10, 1.0
	s_delay_alu instid0(VALU_DEP_1) | instskip(NEXT) | instid1(VALU_DEP_1)
	v_fmac_f32_e32 v10, v11, v10
	v_mul_f32_e32 v11, v12, v10
	s_delay_alu instid0(VALU_DEP_1) | instskip(NEXT) | instid1(VALU_DEP_1)
	v_fma_f32 v13, -v7, v11, v12
	v_fmac_f32_e32 v11, v13, v10
	s_delay_alu instid0(VALU_DEP_1) | instskip(NEXT) | instid1(VALU_DEP_1)
	v_fma_f32 v7, -v7, v11, v12
	v_div_fmas_f32 v7, v7, v10, v11
	s_delay_alu instid0(VALU_DEP_1) | instskip(SKIP_1) | instid1(VALU_DEP_2)
	v_div_fixup_f32 v6, v7, v8, v6
	v_mov_b32_e32 v7, 0x7f
	v_maxmin_f32 v6, v6, v4, v5
	s_delay_alu instid0(VALU_DEP_1) | instskip(NEXT) | instid1(VALU_DEP_1)
	v_and_b32_e32 v10, 0x7fffffff, v6
	v_cmpx_gt_u32_e32 0x43f00000, v10
	s_cbranch_execz .LBB31_90
; %bb.92:                               ;   in Loop: Header=BB31_91 Depth=1
	s_mov_b32 s9, exec_lo
                                        ; implicit-def: $vgpr7
	v_cmpx_lt_u32_e32 0x3c7fffff, v10
	s_xor_b32 s9, exec_lo, s9
; %bb.93:                               ;   in Loop: Header=BB31_91 Depth=1
	v_bfe_u32 v7, v6, 20, 1
	s_delay_alu instid0(VALU_DEP_1) | instskip(NEXT) | instid1(VALU_DEP_1)
	v_add3_u32 v7, v6, v7, 0x407ffff
	v_lshrrev_b32_e32 v7, 20, v7
; %bb.94:                               ;   in Loop: Header=BB31_91 Depth=1
	s_and_not1_saveexec_b32 s9, s9
	s_cbranch_execz .LBB31_89
; %bb.95:                               ;   in Loop: Header=BB31_91 Depth=1
	v_add_f32_e64 v7, 0x46800000, |v6|
	s_branch .LBB31_89
.LBB31_96:
	s_or_b32 exec_lo, exec_lo, s5
                                        ; implicit-def: $vgpr12
                                        ; implicit-def: $vgpr8
                                        ; implicit-def: $vgpr13
                                        ; implicit-def: $vgpr4_vgpr5
.LBB31_97:
	s_and_not1_saveexec_b32 s0, s4
	s_cbranch_execz .LBB31_149
; %bb.98:
	s_ashr_i32 s1, s8, 3
	s_mov_b32 s0, exec_lo
	v_cmpx_gt_i32_e64 s1, v12
	s_cbranch_execz .LBB31_149
; %bb.99:
	v_lshlrev_b32_e32 v0, 3, v12
	v_lshlrev_b32_e32 v1, 1, v13
	;; [unrolled: 1-line block ×3, first 2 shown]
	v_max_f32_e64 v7, s6, s6
	v_max_f32_e64 v9, s7, s7
	v_add_co_u32 v0, vcc_lo, v4, v0
	v_add_co_ci_u32_e32 v3, vcc_lo, 0, v5, vcc_lo
	v_add3_u32 v6, v1, v2, 0
	s_delay_alu instid0(VALU_DEP_3) | instskip(NEXT) | instid1(VALU_DEP_3)
	v_add_co_u32 v4, vcc_lo, s2, v0
	v_add_co_ci_u32_e32 v5, vcc_lo, s3, v3, vcc_lo
	s_mov_b32 s2, 0
	s_branch .LBB31_102
.LBB31_100:                             ;   in Loop: Header=BB31_102 Depth=1
	s_or_b32 exec_lo, exec_lo, s3
.LBB31_101:                             ;   in Loop: Header=BB31_102 Depth=1
	s_delay_alu instid0(SALU_CYCLE_1)
	s_or_b32 exec_lo, exec_lo, s0
	v_lshrrev_b32_e32 v22, 24, v22
	v_lshrrev_b32_e32 v16, 24, v16
	;; [unrolled: 1-line block ×5, first 2 shown]
	v_and_b32_e32 v22, 0x80, v22
	v_and_b32_e32 v16, 0x80, v16
	v_lshrrev_b32_e32 v19, 24, v19
	v_and_b32_e32 v2, 0x80, v2
	v_lshrrev_b32_e32 v13, 24, v13
	v_and_or_b32 v3, 0x80, v3, v21
	v_and_or_b32 v20, 0xff, v20, v22
	v_and_b32_e32 v0, 0x80, v0
	v_and_or_b32 v15, 0xff, v15, v16
	v_and_b32_e32 v19, 0x80, v19
	v_and_b32_e32 v13, 0x80, v13
	v_lshlrev_b32_e32 v3, 24, v3
	v_lshlrev_b32_e32 v20, 16, v20
	v_and_or_b32 v2, 0xff, v18, v2
	v_lshlrev_b32_e32 v14, 24, v14
	v_and_b32_e32 v1, 0x80000000, v1
	v_and_or_b32 v0, 0xff, v11, v0
	v_lshlrev_b32_e32 v11, 16, v15
	v_or_b32_e32 v3, v3, v20
	v_lshlrev_b32_e32 v2, 8, v2
	v_and_or_b32 v15, 0xff, v17, v19
	v_lshlrev_b32_e32 v0, 8, v0
	v_or3_b32 v11, v14, v1, v11
	v_and_or_b32 v10, 0xff, v10, v13
	v_add_nc_u32_e32 v12, 16, v12
	v_or3_b32 v1, v3, v2, v15
	v_add_nc_u32_e32 v6, 0x100, v6
	s_delay_alu instid0(VALU_DEP_4) | instskip(NEXT) | instid1(VALU_DEP_4)
	v_or3_b32 v0, v11, v0, v10
	v_cmp_le_i32_e32 vcc_lo, s1, v12
	global_store_b64 v[4:5], v[0:1], off
	v_add_co_u32 v4, s0, 0x80, v4
	s_delay_alu instid0(VALU_DEP_1) | instskip(SKIP_1) | instid1(SALU_CYCLE_1)
	v_add_co_ci_u32_e64 v5, s0, 0, v5, s0
	s_or_b32 s2, vcc_lo, s2
	s_and_not1_b32 exec_lo, exec_lo, s2
	s_cbranch_execz .LBB31_149
.LBB31_102:                             ; =>This Inner Loop Header: Depth=1
	ds_load_b128 v[0:3], v6
	s_mov_b32 s0, exec_lo
	s_waitcnt lgkmcnt(0)
	v_lshlrev_b32_e32 v10, 16, v0
	s_delay_alu instid0(VALU_DEP_1) | instskip(NEXT) | instid1(VALU_DEP_1)
	v_div_scale_f32 v11, null, v8, v8, v10
	v_rcp_f32_e32 v13, v11
	s_waitcnt_depctr 0xfff
	v_fma_f32 v14, -v11, v13, 1.0
	s_delay_alu instid0(VALU_DEP_1) | instskip(SKIP_1) | instid1(VALU_DEP_1)
	v_fmac_f32_e32 v13, v14, v13
	v_div_scale_f32 v15, vcc_lo, v10, v8, v10
	v_mul_f32_e32 v14, v15, v13
	s_delay_alu instid0(VALU_DEP_1) | instskip(NEXT) | instid1(VALU_DEP_1)
	v_fma_f32 v16, -v11, v14, v15
	v_fmac_f32_e32 v14, v16, v13
	s_delay_alu instid0(VALU_DEP_1) | instskip(NEXT) | instid1(VALU_DEP_1)
	v_fma_f32 v11, -v11, v14, v15
	v_div_fmas_f32 v11, v11, v13, v14
	s_delay_alu instid0(VALU_DEP_1) | instskip(SKIP_1) | instid1(VALU_DEP_2)
	v_div_fixup_f32 v10, v11, v8, v10
	v_mov_b32_e32 v11, 0x7f
	v_maxmin_f32 v13, v10, v7, v9
	v_mov_b32_e32 v10, 0x7f
	s_delay_alu instid0(VALU_DEP_2) | instskip(NEXT) | instid1(VALU_DEP_1)
	v_and_b32_e32 v14, 0x7fffffff, v13
	v_cmpx_gt_u32_e32 0x43f00000, v14
	s_cbranch_execz .LBB31_108
; %bb.103:                              ;   in Loop: Header=BB31_102 Depth=1
	s_mov_b32 s3, exec_lo
                                        ; implicit-def: $vgpr10
	v_cmpx_lt_u32_e32 0x3c7fffff, v14
	s_xor_b32 s3, exec_lo, s3
; %bb.104:                              ;   in Loop: Header=BB31_102 Depth=1
	v_bfe_u32 v10, v13, 20, 1
	s_delay_alu instid0(VALU_DEP_1) | instskip(NEXT) | instid1(VALU_DEP_1)
	v_add3_u32 v10, v13, v10, 0x407ffff
	v_lshrrev_b32_e32 v10, 20, v10
; %bb.105:                              ;   in Loop: Header=BB31_102 Depth=1
	s_and_not1_saveexec_b32 s3, s3
; %bb.106:                              ;   in Loop: Header=BB31_102 Depth=1
	v_add_f32_e64 v10, 0x46800000, |v13|
; %bb.107:                              ;   in Loop: Header=BB31_102 Depth=1
	s_or_b32 exec_lo, exec_lo, s3
.LBB31_108:                             ;   in Loop: Header=BB31_102 Depth=1
	s_delay_alu instid0(SALU_CYCLE_1) | instskip(SKIP_2) | instid1(VALU_DEP_1)
	s_or_b32 exec_lo, exec_lo, s0
	v_and_b32_e32 v0, 0xffff0000, v0
	s_mov_b32 s0, exec_lo
	v_div_scale_f32 v14, null, v8, v8, v0
	s_delay_alu instid0(VALU_DEP_1) | instskip(SKIP_2) | instid1(VALU_DEP_1)
	v_rcp_f32_e32 v15, v14
	s_waitcnt_depctr 0xfff
	v_fma_f32 v16, -v14, v15, 1.0
	v_fmac_f32_e32 v15, v16, v15
	v_div_scale_f32 v16, vcc_lo, v0, v8, v0
	s_delay_alu instid0(VALU_DEP_1) | instskip(NEXT) | instid1(VALU_DEP_1)
	v_mul_f32_e32 v17, v16, v15
	v_fma_f32 v18, -v14, v17, v16
	s_delay_alu instid0(VALU_DEP_1) | instskip(NEXT) | instid1(VALU_DEP_1)
	v_fmac_f32_e32 v17, v18, v15
	v_fma_f32 v14, -v14, v17, v16
	s_delay_alu instid0(VALU_DEP_1) | instskip(NEXT) | instid1(VALU_DEP_1)
	v_div_fmas_f32 v14, v14, v15, v17
	v_div_fixup_f32 v0, v14, v8, v0
	s_delay_alu instid0(VALU_DEP_1) | instskip(NEXT) | instid1(VALU_DEP_1)
	v_maxmin_f32 v0, v0, v7, v9
	v_and_b32_e32 v14, 0x7fffffff, v0
	s_delay_alu instid0(VALU_DEP_1)
	v_cmpx_gt_u32_e32 0x43f00000, v14
	s_cbranch_execz .LBB31_114
; %bb.109:                              ;   in Loop: Header=BB31_102 Depth=1
	s_mov_b32 s3, exec_lo
                                        ; implicit-def: $vgpr11
	v_cmpx_lt_u32_e32 0x3c7fffff, v14
	s_xor_b32 s3, exec_lo, s3
; %bb.110:                              ;   in Loop: Header=BB31_102 Depth=1
	v_bfe_u32 v11, v0, 20, 1
	s_delay_alu instid0(VALU_DEP_1) | instskip(NEXT) | instid1(VALU_DEP_1)
	v_add3_u32 v11, v0, v11, 0x407ffff
	v_lshrrev_b32_e32 v11, 20, v11
; %bb.111:                              ;   in Loop: Header=BB31_102 Depth=1
	s_and_not1_saveexec_b32 s3, s3
; %bb.112:                              ;   in Loop: Header=BB31_102 Depth=1
	v_add_f32_e64 v11, 0x46800000, |v0|
; %bb.113:                              ;   in Loop: Header=BB31_102 Depth=1
	s_or_b32 exec_lo, exec_lo, s3
.LBB31_114:                             ;   in Loop: Header=BB31_102 Depth=1
	s_delay_alu instid0(SALU_CYCLE_1) | instskip(SKIP_2) | instid1(VALU_DEP_1)
	s_or_b32 exec_lo, exec_lo, s0
	v_lshlrev_b32_e32 v14, 16, v1
	s_mov_b32 s0, exec_lo
	v_div_scale_f32 v15, null, v8, v8, v14
	v_div_scale_f32 v18, vcc_lo, v14, v8, v14
	s_delay_alu instid0(VALU_DEP_2) | instskip(SKIP_2) | instid1(VALU_DEP_1)
	v_rcp_f32_e32 v16, v15
	s_waitcnt_depctr 0xfff
	v_fma_f32 v17, -v15, v16, 1.0
	v_fmac_f32_e32 v16, v17, v16
	s_delay_alu instid0(VALU_DEP_1) | instskip(NEXT) | instid1(VALU_DEP_1)
	v_mul_f32_e32 v17, v18, v16
	v_fma_f32 v19, -v15, v17, v18
	s_delay_alu instid0(VALU_DEP_1) | instskip(NEXT) | instid1(VALU_DEP_1)
	v_fmac_f32_e32 v17, v19, v16
	v_fma_f32 v15, -v15, v17, v18
	s_delay_alu instid0(VALU_DEP_1) | instskip(NEXT) | instid1(VALU_DEP_1)
	v_div_fmas_f32 v15, v15, v16, v17
	v_div_fixup_f32 v14, v15, v8, v14
	v_mov_b32_e32 v15, 0x7f
	s_delay_alu instid0(VALU_DEP_2) | instskip(SKIP_1) | instid1(VALU_DEP_2)
	v_maxmin_f32 v16, v14, v7, v9
	v_mov_b32_e32 v14, 0x7f
	v_and_b32_e32 v17, 0x7fffffff, v16
	s_delay_alu instid0(VALU_DEP_1)
	v_cmpx_gt_u32_e32 0x43f00000, v17
	s_cbranch_execz .LBB31_120
; %bb.115:                              ;   in Loop: Header=BB31_102 Depth=1
	s_mov_b32 s3, exec_lo
                                        ; implicit-def: $vgpr15
	v_cmpx_lt_u32_e32 0x3c7fffff, v17
	s_xor_b32 s3, exec_lo, s3
; %bb.116:                              ;   in Loop: Header=BB31_102 Depth=1
	v_bfe_u32 v15, v16, 20, 1
	s_delay_alu instid0(VALU_DEP_1) | instskip(NEXT) | instid1(VALU_DEP_1)
	v_add3_u32 v15, v16, v15, 0x407ffff
	v_lshrrev_b32_e32 v15, 20, v15
; %bb.117:                              ;   in Loop: Header=BB31_102 Depth=1
	s_and_not1_saveexec_b32 s3, s3
; %bb.118:                              ;   in Loop: Header=BB31_102 Depth=1
	v_add_f32_e64 v15, 0x46800000, |v16|
; %bb.119:                              ;   in Loop: Header=BB31_102 Depth=1
	s_or_b32 exec_lo, exec_lo, s3
.LBB31_120:                             ;   in Loop: Header=BB31_102 Depth=1
	s_delay_alu instid0(SALU_CYCLE_1) | instskip(SKIP_2) | instid1(VALU_DEP_1)
	s_or_b32 exec_lo, exec_lo, s0
	v_and_b32_e32 v1, 0xffff0000, v1
	s_mov_b32 s0, exec_lo
	v_div_scale_f32 v17, null, v8, v8, v1
	s_delay_alu instid0(VALU_DEP_1) | instskip(SKIP_2) | instid1(VALU_DEP_1)
	v_rcp_f32_e32 v18, v17
	s_waitcnt_depctr 0xfff
	v_fma_f32 v19, -v17, v18, 1.0
	v_fmac_f32_e32 v18, v19, v18
	v_div_scale_f32 v19, vcc_lo, v1, v8, v1
	s_delay_alu instid0(VALU_DEP_1) | instskip(NEXT) | instid1(VALU_DEP_1)
	v_mul_f32_e32 v20, v19, v18
	v_fma_f32 v21, -v17, v20, v19
	s_delay_alu instid0(VALU_DEP_1) | instskip(NEXT) | instid1(VALU_DEP_1)
	v_fmac_f32_e32 v20, v21, v18
	v_fma_f32 v17, -v17, v20, v19
	s_delay_alu instid0(VALU_DEP_1) | instskip(NEXT) | instid1(VALU_DEP_1)
	v_div_fmas_f32 v17, v17, v18, v20
	v_div_fixup_f32 v1, v17, v8, v1
	s_delay_alu instid0(VALU_DEP_1) | instskip(NEXT) | instid1(VALU_DEP_1)
	v_maxmin_f32 v1, v1, v7, v9
	v_and_b32_e32 v17, 0x7fffffff, v1
	s_delay_alu instid0(VALU_DEP_1)
	v_cmpx_gt_u32_e32 0x43f00000, v17
	s_cbranch_execz .LBB31_126
; %bb.121:                              ;   in Loop: Header=BB31_102 Depth=1
	s_mov_b32 s3, exec_lo
                                        ; implicit-def: $vgpr14
	v_cmpx_lt_u32_e32 0x3c7fffff, v17
	s_xor_b32 s3, exec_lo, s3
; %bb.122:                              ;   in Loop: Header=BB31_102 Depth=1
	v_bfe_u32 v14, v1, 20, 1
	s_delay_alu instid0(VALU_DEP_1) | instskip(NEXT) | instid1(VALU_DEP_1)
	v_add3_u32 v14, v1, v14, 0x407ffff
	v_lshrrev_b32_e32 v14, 20, v14
; %bb.123:                              ;   in Loop: Header=BB31_102 Depth=1
	s_and_not1_saveexec_b32 s3, s3
; %bb.124:                              ;   in Loop: Header=BB31_102 Depth=1
	v_add_f32_e64 v14, 0x46800000, |v1|
; %bb.125:                              ;   in Loop: Header=BB31_102 Depth=1
	s_or_b32 exec_lo, exec_lo, s3
.LBB31_126:                             ;   in Loop: Header=BB31_102 Depth=1
	s_delay_alu instid0(SALU_CYCLE_1) | instskip(SKIP_2) | instid1(VALU_DEP_1)
	s_or_b32 exec_lo, exec_lo, s0
	v_lshlrev_b32_e32 v17, 16, v2
	s_mov_b32 s0, exec_lo
	v_div_scale_f32 v18, null, v8, v8, v17
	v_div_scale_f32 v21, vcc_lo, v17, v8, v17
	s_delay_alu instid0(VALU_DEP_2) | instskip(SKIP_2) | instid1(VALU_DEP_1)
	v_rcp_f32_e32 v19, v18
	s_waitcnt_depctr 0xfff
	v_fma_f32 v20, -v18, v19, 1.0
	v_fmac_f32_e32 v19, v20, v19
	s_delay_alu instid0(VALU_DEP_1) | instskip(NEXT) | instid1(VALU_DEP_1)
	v_mul_f32_e32 v20, v21, v19
	v_fma_f32 v22, -v18, v20, v21
	s_delay_alu instid0(VALU_DEP_1) | instskip(NEXT) | instid1(VALU_DEP_1)
	v_fmac_f32_e32 v20, v22, v19
	v_fma_f32 v18, -v18, v20, v21
	s_delay_alu instid0(VALU_DEP_1) | instskip(NEXT) | instid1(VALU_DEP_1)
	v_div_fmas_f32 v18, v18, v19, v20
	v_div_fixup_f32 v17, v18, v8, v17
	v_mov_b32_e32 v18, 0x7f
	s_delay_alu instid0(VALU_DEP_2) | instskip(SKIP_1) | instid1(VALU_DEP_2)
	v_maxmin_f32 v19, v17, v7, v9
	v_mov_b32_e32 v17, 0x7f
	v_and_b32_e32 v20, 0x7fffffff, v19
	s_delay_alu instid0(VALU_DEP_1)
	v_cmpx_gt_u32_e32 0x43f00000, v20
	s_cbranch_execz .LBB31_132
; %bb.127:                              ;   in Loop: Header=BB31_102 Depth=1
	s_mov_b32 s3, exec_lo
                                        ; implicit-def: $vgpr17
	v_cmpx_lt_u32_e32 0x3c7fffff, v20
	s_xor_b32 s3, exec_lo, s3
; %bb.128:                              ;   in Loop: Header=BB31_102 Depth=1
	v_bfe_u32 v17, v19, 20, 1
	s_delay_alu instid0(VALU_DEP_1) | instskip(NEXT) | instid1(VALU_DEP_1)
	v_add3_u32 v17, v19, v17, 0x407ffff
	v_lshrrev_b32_e32 v17, 20, v17
; %bb.129:                              ;   in Loop: Header=BB31_102 Depth=1
	s_and_not1_saveexec_b32 s3, s3
; %bb.130:                              ;   in Loop: Header=BB31_102 Depth=1
	v_add_f32_e64 v17, 0x46800000, |v19|
; %bb.131:                              ;   in Loop: Header=BB31_102 Depth=1
	s_or_b32 exec_lo, exec_lo, s3
.LBB31_132:                             ;   in Loop: Header=BB31_102 Depth=1
	s_delay_alu instid0(SALU_CYCLE_1) | instskip(SKIP_2) | instid1(VALU_DEP_1)
	s_or_b32 exec_lo, exec_lo, s0
	v_and_b32_e32 v2, 0xffff0000, v2
	s_mov_b32 s0, exec_lo
	v_div_scale_f32 v20, null, v8, v8, v2
	s_delay_alu instid0(VALU_DEP_1) | instskip(SKIP_2) | instid1(VALU_DEP_1)
	v_rcp_f32_e32 v21, v20
	s_waitcnt_depctr 0xfff
	v_fma_f32 v22, -v20, v21, 1.0
	v_fmac_f32_e32 v21, v22, v21
	v_div_scale_f32 v22, vcc_lo, v2, v8, v2
	s_delay_alu instid0(VALU_DEP_1) | instskip(NEXT) | instid1(VALU_DEP_1)
	v_mul_f32_e32 v23, v22, v21
	v_fma_f32 v24, -v20, v23, v22
	s_delay_alu instid0(VALU_DEP_1) | instskip(NEXT) | instid1(VALU_DEP_1)
	v_fmac_f32_e32 v23, v24, v21
	v_fma_f32 v20, -v20, v23, v22
	s_delay_alu instid0(VALU_DEP_1) | instskip(NEXT) | instid1(VALU_DEP_1)
	v_div_fmas_f32 v20, v20, v21, v23
	v_div_fixup_f32 v2, v20, v8, v2
	s_delay_alu instid0(VALU_DEP_1) | instskip(NEXT) | instid1(VALU_DEP_1)
	v_maxmin_f32 v2, v2, v7, v9
	v_and_b32_e32 v20, 0x7fffffff, v2
	s_delay_alu instid0(VALU_DEP_1)
	v_cmpx_gt_u32_e32 0x43f00000, v20
	s_cbranch_execz .LBB31_138
; %bb.133:                              ;   in Loop: Header=BB31_102 Depth=1
	s_mov_b32 s3, exec_lo
                                        ; implicit-def: $vgpr18
	v_cmpx_lt_u32_e32 0x3c7fffff, v20
	s_xor_b32 s3, exec_lo, s3
; %bb.134:                              ;   in Loop: Header=BB31_102 Depth=1
	v_bfe_u32 v18, v2, 20, 1
	s_delay_alu instid0(VALU_DEP_1) | instskip(NEXT) | instid1(VALU_DEP_1)
	v_add3_u32 v18, v2, v18, 0x407ffff
	v_lshrrev_b32_e32 v18, 20, v18
; %bb.135:                              ;   in Loop: Header=BB31_102 Depth=1
	s_and_not1_saveexec_b32 s3, s3
; %bb.136:                              ;   in Loop: Header=BB31_102 Depth=1
	v_add_f32_e64 v18, 0x46800000, |v2|
; %bb.137:                              ;   in Loop: Header=BB31_102 Depth=1
	s_or_b32 exec_lo, exec_lo, s3
.LBB31_138:                             ;   in Loop: Header=BB31_102 Depth=1
	s_delay_alu instid0(SALU_CYCLE_1) | instskip(SKIP_2) | instid1(VALU_DEP_1)
	s_or_b32 exec_lo, exec_lo, s0
	v_lshlrev_b32_e32 v20, 16, v3
	s_mov_b32 s0, exec_lo
	v_div_scale_f32 v21, null, v8, v8, v20
	v_div_scale_f32 v24, vcc_lo, v20, v8, v20
	s_delay_alu instid0(VALU_DEP_2) | instskip(SKIP_2) | instid1(VALU_DEP_1)
	v_rcp_f32_e32 v22, v21
	s_waitcnt_depctr 0xfff
	v_fma_f32 v23, -v21, v22, 1.0
	v_fmac_f32_e32 v22, v23, v22
	s_delay_alu instid0(VALU_DEP_1) | instskip(NEXT) | instid1(VALU_DEP_1)
	v_mul_f32_e32 v23, v24, v22
	v_fma_f32 v25, -v21, v23, v24
	s_delay_alu instid0(VALU_DEP_1) | instskip(NEXT) | instid1(VALU_DEP_1)
	v_fmac_f32_e32 v23, v25, v22
	v_fma_f32 v21, -v21, v23, v24
	s_delay_alu instid0(VALU_DEP_1) | instskip(NEXT) | instid1(VALU_DEP_1)
	v_div_fmas_f32 v21, v21, v22, v23
	v_div_fixup_f32 v20, v21, v8, v20
	v_mov_b32_e32 v21, 0x7f
	s_delay_alu instid0(VALU_DEP_2) | instskip(SKIP_1) | instid1(VALU_DEP_2)
	v_maxmin_f32 v22, v20, v7, v9
	v_mov_b32_e32 v20, 0x7f
	v_and_b32_e32 v23, 0x7fffffff, v22
	s_delay_alu instid0(VALU_DEP_1)
	v_cmpx_gt_u32_e32 0x43f00000, v23
	s_cbranch_execz .LBB31_144
; %bb.139:                              ;   in Loop: Header=BB31_102 Depth=1
	s_mov_b32 s3, exec_lo
                                        ; implicit-def: $vgpr20
	v_cmpx_lt_u32_e32 0x3c7fffff, v23
	s_xor_b32 s3, exec_lo, s3
; %bb.140:                              ;   in Loop: Header=BB31_102 Depth=1
	v_bfe_u32 v20, v22, 20, 1
	s_delay_alu instid0(VALU_DEP_1) | instskip(NEXT) | instid1(VALU_DEP_1)
	v_add3_u32 v20, v22, v20, 0x407ffff
	v_lshrrev_b32_e32 v20, 20, v20
; %bb.141:                              ;   in Loop: Header=BB31_102 Depth=1
	s_and_not1_saveexec_b32 s3, s3
; %bb.142:                              ;   in Loop: Header=BB31_102 Depth=1
	v_add_f32_e64 v20, 0x46800000, |v22|
; %bb.143:                              ;   in Loop: Header=BB31_102 Depth=1
	s_or_b32 exec_lo, exec_lo, s3
.LBB31_144:                             ;   in Loop: Header=BB31_102 Depth=1
	s_delay_alu instid0(SALU_CYCLE_1) | instskip(SKIP_2) | instid1(VALU_DEP_1)
	s_or_b32 exec_lo, exec_lo, s0
	v_and_b32_e32 v3, 0xffff0000, v3
	s_mov_b32 s0, exec_lo
	v_div_scale_f32 v23, null, v8, v8, v3
	s_delay_alu instid0(VALU_DEP_1) | instskip(SKIP_2) | instid1(VALU_DEP_1)
	v_rcp_f32_e32 v24, v23
	s_waitcnt_depctr 0xfff
	v_fma_f32 v25, -v23, v24, 1.0
	v_fmac_f32_e32 v24, v25, v24
	v_div_scale_f32 v25, vcc_lo, v3, v8, v3
	s_delay_alu instid0(VALU_DEP_1) | instskip(NEXT) | instid1(VALU_DEP_1)
	v_mul_f32_e32 v26, v25, v24
	v_fma_f32 v27, -v23, v26, v25
	s_delay_alu instid0(VALU_DEP_1) | instskip(NEXT) | instid1(VALU_DEP_1)
	v_fmac_f32_e32 v26, v27, v24
	v_fma_f32 v23, -v23, v26, v25
	s_delay_alu instid0(VALU_DEP_1) | instskip(NEXT) | instid1(VALU_DEP_1)
	v_div_fmas_f32 v23, v23, v24, v26
	v_div_fixup_f32 v3, v23, v8, v3
	s_delay_alu instid0(VALU_DEP_1) | instskip(NEXT) | instid1(VALU_DEP_1)
	v_maxmin_f32 v3, v3, v7, v9
	v_and_b32_e32 v23, 0x7fffffff, v3
	s_delay_alu instid0(VALU_DEP_1)
	v_cmpx_gt_u32_e32 0x43f00000, v23
	s_cbranch_execz .LBB31_101
; %bb.145:                              ;   in Loop: Header=BB31_102 Depth=1
	s_mov_b32 s3, exec_lo
                                        ; implicit-def: $vgpr21
	v_cmpx_lt_u32_e32 0x3c7fffff, v23
	s_xor_b32 s3, exec_lo, s3
; %bb.146:                              ;   in Loop: Header=BB31_102 Depth=1
	v_bfe_u32 v21, v3, 20, 1
	s_delay_alu instid0(VALU_DEP_1) | instskip(NEXT) | instid1(VALU_DEP_1)
	v_add3_u32 v21, v3, v21, 0x407ffff
	v_lshrrev_b32_e32 v21, 20, v21
; %bb.147:                              ;   in Loop: Header=BB31_102 Depth=1
	s_and_not1_saveexec_b32 s3, s3
	s_cbranch_execz .LBB31_100
; %bb.148:                              ;   in Loop: Header=BB31_102 Depth=1
	v_add_f32_e64 v21, 0x46800000, |v3|
	s_branch .LBB31_100
.LBB31_149:
	s_nop 0
	s_sendmsg sendmsg(MSG_DEALLOC_VGPRS)
	s_endpgm
	.section	.rodata,"a",@progbits
	.p2align	6, 0x0
	.amdhsa_kernel _Z33per_token_group_quant_8bit_kernelIN3c108BFloat16ENS0_13Float8_e4m3fnELb0ELb0EfEvPKT_PvPT3_iiifffii
		.amdhsa_group_segment_fixed_size 0
		.amdhsa_private_segment_fixed_size 0
		.amdhsa_kernarg_size 56
		.amdhsa_user_sgpr_count 15
		.amdhsa_user_sgpr_dispatch_ptr 0
		.amdhsa_user_sgpr_queue_ptr 0
		.amdhsa_user_sgpr_kernarg_segment_ptr 1
		.amdhsa_user_sgpr_dispatch_id 0
		.amdhsa_user_sgpr_private_segment_size 0
		.amdhsa_wavefront_size32 1
		.amdhsa_uses_dynamic_stack 0
		.amdhsa_enable_private_segment 0
		.amdhsa_system_sgpr_workgroup_id_x 1
		.amdhsa_system_sgpr_workgroup_id_y 0
		.amdhsa_system_sgpr_workgroup_id_z 0
		.amdhsa_system_sgpr_workgroup_info 0
		.amdhsa_system_vgpr_workitem_id 0
		.amdhsa_next_free_vgpr 39
		.amdhsa_next_free_sgpr 16
		.amdhsa_reserve_vcc 1
		.amdhsa_float_round_mode_32 0
		.amdhsa_float_round_mode_16_64 0
		.amdhsa_float_denorm_mode_32 3
		.amdhsa_float_denorm_mode_16_64 3
		.amdhsa_dx10_clamp 1
		.amdhsa_ieee_mode 1
		.amdhsa_fp16_overflow 0
		.amdhsa_workgroup_processor_mode 1
		.amdhsa_memory_ordered 1
		.amdhsa_forward_progress 0
		.amdhsa_shared_vgpr_count 0
		.amdhsa_exception_fp_ieee_invalid_op 0
		.amdhsa_exception_fp_denorm_src 0
		.amdhsa_exception_fp_ieee_div_zero 0
		.amdhsa_exception_fp_ieee_overflow 0
		.amdhsa_exception_fp_ieee_underflow 0
		.amdhsa_exception_fp_ieee_inexact 0
		.amdhsa_exception_int_div_zero 0
	.end_amdhsa_kernel
	.section	.text._Z33per_token_group_quant_8bit_kernelIN3c108BFloat16ENS0_13Float8_e4m3fnELb0ELb0EfEvPKT_PvPT3_iiifffii,"axG",@progbits,_Z33per_token_group_quant_8bit_kernelIN3c108BFloat16ENS0_13Float8_e4m3fnELb0ELb0EfEvPKT_PvPT3_iiifffii,comdat
.Lfunc_end31:
	.size	_Z33per_token_group_quant_8bit_kernelIN3c108BFloat16ENS0_13Float8_e4m3fnELb0ELb0EfEvPKT_PvPT3_iiifffii, .Lfunc_end31-_Z33per_token_group_quant_8bit_kernelIN3c108BFloat16ENS0_13Float8_e4m3fnELb0ELb0EfEvPKT_PvPT3_iiifffii
                                        ; -- End function
	.section	.AMDGPU.csdata,"",@progbits
; Kernel info:
; codeLenInByte = 7540
; NumSgprs: 18
; NumVgprs: 39
; ScratchSize: 0
; MemoryBound: 0
; FloatMode: 240
; IeeeMode: 1
; LDSByteSize: 0 bytes/workgroup (compile time only)
; SGPRBlocks: 2
; VGPRBlocks: 4
; NumSGPRsForWavesPerEU: 18
; NumVGPRsForWavesPerEU: 39
; Occupancy: 16
; WaveLimiterHint : 0
; COMPUTE_PGM_RSRC2:SCRATCH_EN: 0
; COMPUTE_PGM_RSRC2:USER_SGPR: 15
; COMPUTE_PGM_RSRC2:TRAP_HANDLER: 0
; COMPUTE_PGM_RSRC2:TGID_X_EN: 1
; COMPUTE_PGM_RSRC2:TGID_Y_EN: 0
; COMPUTE_PGM_RSRC2:TGID_Z_EN: 0
; COMPUTE_PGM_RSRC2:TIDIG_COMP_CNT: 0
	.section	.text._Z33per_token_group_quant_8bit_kernelIN3c108BFloat16ENS0_15Float8_e4m3fnuzELb1ELb1EfEvPKT_PvPT3_iiifffii,"axG",@progbits,_Z33per_token_group_quant_8bit_kernelIN3c108BFloat16ENS0_15Float8_e4m3fnuzELb1ELb1EfEvPKT_PvPT3_iiifffii,comdat
	.protected	_Z33per_token_group_quant_8bit_kernelIN3c108BFloat16ENS0_15Float8_e4m3fnuzELb1ELb1EfEvPKT_PvPT3_iiifffii ; -- Begin function _Z33per_token_group_quant_8bit_kernelIN3c108BFloat16ENS0_15Float8_e4m3fnuzELb1ELb1EfEvPKT_PvPT3_iiifffii
	.globl	_Z33per_token_group_quant_8bit_kernelIN3c108BFloat16ENS0_15Float8_e4m3fnuzELb1ELb1EfEvPKT_PvPT3_iiifffii
	.p2align	8
	.type	_Z33per_token_group_quant_8bit_kernelIN3c108BFloat16ENS0_15Float8_e4m3fnuzELb1ELb1EfEvPKT_PvPT3_iiifffii,@function
_Z33per_token_group_quant_8bit_kernelIN3c108BFloat16ENS0_15Float8_e4m3fnuzELb1ELb1EfEvPKT_PvPT3_iiifffii: ; @_Z33per_token_group_quant_8bit_kernelIN3c108BFloat16ENS0_15Float8_e4m3fnuzELb1ELb1EfEvPKT_PvPT3_iiifffii
; %bb.0:
	s_clause 0x1
	s_load_b128 s[4:7], s[0:1], 0x20
	s_load_b32 s14, s[0:1], 0x18
	v_lshrrev_b32_e32 v3, 4, v0
	s_clause 0x1
	s_load_b64 s[2:3], s[0:1], 0x30
	s_load_b64 s[8:9], s[0:1], 0x0
	v_and_b32_e32 v17, 15, v0
                                        ; implicit-def: $vgpr12
	s_waitcnt lgkmcnt(0)
	s_mul_i32 s15, s15, s4
	v_mul_lo_u32 v19, v3, s14
	v_add_co_u32 v10, s4, s15, v3
	s_delay_alu instid0(VALU_DEP_1) | instskip(SKIP_1) | instid1(VALU_DEP_2)
	v_add_co_ci_u32_e64 v11, null, 0, 0, s4
	s_ashr_i32 s4, s14, 31
	v_mad_u64_u32 v[4:5], null, v10, s14, 0
	s_delay_alu instid0(VALU_DEP_2)
	v_mul_lo_u32 v1, v11, s14
	v_mul_lo_u32 v2, v10, s4
	s_and_b32 s4, s14, 7
	v_lshl_add_u32 v3, v19, 1, 0
	s_cmp_eq_u32 s4, 0
	s_cselect_b32 s15, -1, 0
	s_cmp_lg_u32 s4, 0
	s_delay_alu instid0(VALU_DEP_2) | instskip(SKIP_1) | instid1(VALU_DEP_1)
	v_add3_u32 v5, v5, v2, v1
	s_cselect_b32 s4, -1, 0
	v_lshlrev_b64 v[1:2], 1, v[4:5]
	s_delay_alu instid0(VALU_DEP_1) | instskip(SKIP_1) | instid1(VALU_DEP_3)
	v_add_co_u32 v6, vcc_lo, s8, v1
	v_mov_b32_e32 v9, 0
	v_add_co_ci_u32_e32 v7, vcc_lo, s9, v2, vcc_lo
	s_delay_alu instid0(VALU_DEP_3) | instskip(NEXT) | instid1(VALU_DEP_1)
	v_and_b32_e32 v8, 15, v6
	v_cmp_ne_u64_e32 vcc_lo, 0, v[8:9]
	s_or_b32 s4, s4, vcc_lo
	s_delay_alu instid0(SALU_CYCLE_1) | instskip(NEXT) | instid1(SALU_CYCLE_1)
	s_and_saveexec_b32 s10, s4
	s_xor_b32 s4, exec_lo, s10
	s_cbranch_execz .LBB32_12
; %bb.1:
	v_sub_nc_u32_e32 v0, 0, v6
	v_mov_b32_e32 v12, s5
	s_mov_b32 s10, exec_lo
	s_delay_alu instid0(VALU_DEP_2) | instskip(NEXT) | instid1(VALU_DEP_1)
	v_bfe_u32 v0, v0, 1, 3
	v_min_i32_e32 v8, s14, v0
	s_delay_alu instid0(VALU_DEP_1)
	v_cmpx_gt_i32_e64 v8, v17
	s_cbranch_execz .LBB32_3
; %bb.2:
	v_lshlrev_b32_e32 v0, 1, v17
	v_max_f32_e64 v9, s5, s5
	s_delay_alu instid0(VALU_DEP_2)
	v_add_co_u32 v6, vcc_lo, v6, v0
	v_add_co_ci_u32_e32 v7, vcc_lo, 0, v7, vcc_lo
	v_add_nc_u32_e32 v0, v3, v0
	global_load_u16 v6, v[6:7], off
	s_waitcnt vmcnt(0)
	v_lshlrev_b32_e32 v7, 16, v6
	ds_store_b16 v0, v6
	v_max_f32_e64 v7, |v7|, |v7|
	s_delay_alu instid0(VALU_DEP_1)
	v_max_f32_e32 v12, v9, v7
.LBB32_3:
	s_or_b32 exec_lo, exec_lo, s10
	v_sub_nc_u32_e32 v13, s14, v8
	v_ashrrev_i32_e32 v9, 31, v8
	s_mov_b32 s10, exec_lo
	s_delay_alu instid0(VALU_DEP_2) | instskip(NEXT) | instid1(VALU_DEP_2)
	v_ashrrev_i32_e32 v0, 31, v13
	v_lshlrev_b64 v[6:7], 1, v[8:9]
	s_delay_alu instid0(VALU_DEP_2) | instskip(NEXT) | instid1(VALU_DEP_1)
	v_lshrrev_b32_e32 v0, 29, v0
	v_add_nc_u32_e32 v0, v13, v0
	s_delay_alu instid0(VALU_DEP_1) | instskip(SKIP_1) | instid1(VALU_DEP_2)
	v_ashrrev_i32_e32 v14, 3, v0
	v_lshlrev_b32_e32 v0, 1, v8
	v_cmpx_gt_i32_e64 v14, v17
	s_cbranch_execz .LBB32_7
; %bb.4:
	v_lshlrev_b32_e32 v8, 4, v17
	s_mov_b32 s11, 0
	s_delay_alu instid0(VALU_DEP_1) | instskip(SKIP_2) | instid1(VALU_DEP_3)
	v_add_co_u32 v9, vcc_lo, v1, v8
	v_add_co_ci_u32_e32 v15, vcc_lo, 0, v2, vcc_lo
	v_lshl_add_u32 v8, v19, 1, v8
	v_add_co_u32 v9, vcc_lo, v9, v6
	s_delay_alu instid0(VALU_DEP_3) | instskip(NEXT) | instid1(VALU_DEP_2)
	v_add_co_ci_u32_e32 v15, vcc_lo, v15, v7, vcc_lo
	v_add_co_u32 v9, vcc_lo, v9, s8
	s_delay_alu instid0(VALU_DEP_2) | instskip(SKIP_1) | instid1(VALU_DEP_3)
	v_add_co_ci_u32_e32 v16, vcc_lo, s9, v15, vcc_lo
	v_add3_u32 v15, v8, v0, 0
	v_add_co_u32 v8, vcc_lo, v9, 8
	s_delay_alu instid0(VALU_DEP_3)
	v_add_co_ci_u32_e32 v9, vcc_lo, 0, v16, vcc_lo
	v_mov_b32_e32 v16, v17
	s_set_inst_prefetch_distance 0x1
	.p2align	6
.LBB32_5:                               ; =>This Inner Loop Header: Depth=1
	global_load_b128 v[20:23], v[8:9], off offset:-8
	v_add_nc_u32_e32 v16, 16, v16
	v_add_co_u32 v8, vcc_lo, 0x100, v8
	v_add_co_ci_u32_e32 v9, vcc_lo, 0, v9, vcc_lo
	s_delay_alu instid0(VALU_DEP_3)
	v_cmp_ge_i32_e32 vcc_lo, v16, v14
	s_or_b32 s11, vcc_lo, s11
	s_waitcnt vmcnt(0)
	v_lshlrev_b32_e32 v18, 16, v20
	v_and_b32_e32 v24, 0xffff0000, v20
	v_lshlrev_b32_e32 v25, 16, v21
	v_and_b32_e32 v26, 0xffff0000, v21
	ds_store_b128 v15, v[20:23]
	v_add_nc_u32_e32 v15, 0x100, v15
	v_max3_f32 v12, v12, |v18|, |v24|
	v_lshlrev_b32_e32 v18, 16, v22
	v_and_b32_e32 v24, 0xffff0000, v22
	s_delay_alu instid0(VALU_DEP_3) | instskip(SKIP_2) | instid1(VALU_DEP_3)
	v_max3_f32 v12, v12, |v25|, |v26|
	v_lshlrev_b32_e32 v25, 16, v23
	v_and_b32_e32 v26, 0xffff0000, v23
	v_max3_f32 v12, v12, |v18|, |v24|
	s_delay_alu instid0(VALU_DEP_1)
	v_max3_f32 v12, v12, |v25|, |v26|
	s_and_not1_b32 exec_lo, exec_lo, s11
	s_cbranch_execnz .LBB32_5
; %bb.6:
	s_set_inst_prefetch_distance 0x2
	s_or_b32 exec_lo, exec_lo, s11
.LBB32_7:
	s_delay_alu instid0(SALU_CYCLE_1) | instskip(SKIP_2) | instid1(VALU_DEP_1)
	s_or_b32 exec_lo, exec_lo, s10
	v_lshl_add_u32 v8, v14, 3, v17
	s_mov_b32 s10, exec_lo
	v_cmpx_lt_i32_e64 v8, v13
	s_cbranch_execz .LBB32_11
; %bb.8:
	v_ashrrev_i32_e32 v9, 31, v8
	v_lshlrev_b32_e32 v18, 4, v14
	v_lshlrev_b32_e32 v16, 1, v19
	v_add_co_u32 v1, vcc_lo, v1, v6
	s_delay_alu instid0(VALU_DEP_4) | instskip(SKIP_4) | instid1(VALU_DEP_4)
	v_lshlrev_b64 v[14:15], 1, v[8:9]
	v_add_co_ci_u32_e32 v2, vcc_lo, v2, v7, vcc_lo
	v_lshlrev_b32_e32 v20, 1, v17
	v_add3_u32 v0, v16, v18, v0
	s_mov_b32 s11, 0
	v_add_co_u32 v1, vcc_lo, v1, v14
	v_add_co_ci_u32_e32 v6, vcc_lo, v2, v15, vcc_lo
	s_delay_alu instid0(VALU_DEP_3) | instskip(NEXT) | instid1(VALU_DEP_3)
	v_add3_u32 v2, v0, v20, 0
	v_add_co_u32 v0, vcc_lo, s8, v1
	s_delay_alu instid0(VALU_DEP_3)
	v_add_co_ci_u32_e32 v1, vcc_lo, s9, v6, vcc_lo
	.p2align	6
.LBB32_9:                               ; =>This Inner Loop Header: Depth=1
	global_load_u16 v6, v[0:1], off
	v_add_nc_u32_e32 v8, 16, v8
	v_max_f32_e32 v7, v12, v12
	v_add_co_u32 v0, vcc_lo, v0, 32
	v_add_co_ci_u32_e32 v1, vcc_lo, 0, v1, vcc_lo
	s_delay_alu instid0(VALU_DEP_4)
	v_cmp_ge_i32_e32 vcc_lo, v8, v13
	s_or_b32 s11, vcc_lo, s11
	s_waitcnt vmcnt(0)
	v_lshlrev_b32_e32 v9, 16, v6
	ds_store_b16 v2, v6
	v_add_nc_u32_e32 v2, 32, v2
	v_max_f32_e64 v9, |v9|, |v9|
	s_delay_alu instid0(VALU_DEP_1)
	v_max_f32_e32 v12, v7, v9
	s_and_not1_b32 exec_lo, exec_lo, s11
	s_cbranch_execnz .LBB32_9
; %bb.10:
	s_or_b32 exec_lo, exec_lo, s11
.LBB32_11:
	s_delay_alu instid0(SALU_CYCLE_1)
	s_or_b32 exec_lo, exec_lo, s10
                                        ; implicit-def: $vgpr1_vgpr2
.LBB32_12:
	s_and_not1_saveexec_b32 s4, s4
	s_cbranch_execz .LBB32_18
; %bb.13:
	v_mov_b32_e32 v12, s5
	s_ashr_i32 s11, s14, 3
	s_mov_b32 s10, exec_lo
	v_cmpx_gt_i32_e64 s11, v17
	s_cbranch_execz .LBB32_17
; %bb.14:
	v_lshlrev_b32_e32 v0, 4, v17
	v_lshlrev_b32_e32 v6, 1, v19
	v_mov_b32_e32 v12, s5
	s_mov_b32 s5, 0
	s_delay_alu instid0(VALU_DEP_3) | instskip(SKIP_1) | instid1(VALU_DEP_2)
	v_add_co_u32 v1, vcc_lo, v1, v0
	v_add_co_ci_u32_e32 v2, vcc_lo, 0, v2, vcc_lo
	v_add_co_u32 v1, vcc_lo, v1, s8
	s_delay_alu instid0(VALU_DEP_2) | instskip(SKIP_1) | instid1(VALU_DEP_3)
	v_add_co_ci_u32_e32 v7, vcc_lo, s9, v2, vcc_lo
	v_add3_u32 v2, v6, v0, 0
	v_add_co_u32 v0, vcc_lo, v1, 8
	s_delay_alu instid0(VALU_DEP_3)
	v_add_co_ci_u32_e32 v1, vcc_lo, 0, v7, vcc_lo
	v_mov_b32_e32 v6, v17
	s_set_inst_prefetch_distance 0x1
	.p2align	6
.LBB32_15:                              ; =>This Inner Loop Header: Depth=1
	global_load_b128 v[13:16], v[0:1], off offset:-8
	v_add_nc_u32_e32 v6, 16, v6
	v_add_co_u32 v0, vcc_lo, 0x100, v0
	v_add_co_ci_u32_e32 v1, vcc_lo, 0, v1, vcc_lo
	s_delay_alu instid0(VALU_DEP_3)
	v_cmp_le_i32_e32 vcc_lo, s11, v6
	s_or_b32 s5, vcc_lo, s5
	s_waitcnt vmcnt(0)
	v_lshlrev_b32_e32 v7, 16, v13
	v_and_b32_e32 v8, 0xffff0000, v13
	v_lshlrev_b32_e32 v9, 16, v14
	v_and_b32_e32 v18, 0xffff0000, v14
	ds_store_b128 v2, v[13:16]
	v_add_nc_u32_e32 v2, 0x100, v2
	v_max3_f32 v7, v12, |v7|, |v8|
	v_lshlrev_b32_e32 v8, 16, v15
	v_and_b32_e32 v12, 0xffff0000, v15
	s_delay_alu instid0(VALU_DEP_3) | instskip(SKIP_2) | instid1(VALU_DEP_3)
	v_max3_f32 v7, v7, |v9|, |v18|
	v_lshlrev_b32_e32 v9, 16, v16
	v_and_b32_e32 v18, 0xffff0000, v16
	v_max3_f32 v7, v7, |v8|, |v12|
	s_delay_alu instid0(VALU_DEP_1)
	v_max3_f32 v12, v7, |v9|, |v18|
	s_and_not1_b32 exec_lo, exec_lo, s5
	s_cbranch_execnz .LBB32_15
; %bb.16:
	s_set_inst_prefetch_distance 0x2
	s_or_b32 exec_lo, exec_lo, s5
.LBB32_17:
	s_delay_alu instid0(SALU_CYCLE_1)
	s_or_b32 exec_lo, exec_lo, s10
.LBB32_18:
	s_delay_alu instid0(SALU_CYCLE_1) | instskip(SKIP_4) | instid1(VALU_DEP_2)
	s_or_b32 exec_lo, exec_lo, s4
	v_mbcnt_lo_u32_b32 v0, -1, 0
	s_load_b64 s[8:9], s[0:1], 0x8
	s_mov_b32 s16, exec_lo
	v_max_f32_e32 v7, v12, v12
	v_xor_b32_e32 v2, 8, v0
	v_and_b32_e32 v1, 16, v0
	v_xor_b32_e32 v6, 4, v0
	s_delay_alu instid0(VALU_DEP_2) | instskip(NEXT) | instid1(VALU_DEP_1)
	v_add_nc_u32_e32 v1, 16, v1
	v_cmp_lt_i32_e32 vcc_lo, v2, v1
	v_cndmask_b32_e32 v2, v0, v2, vcc_lo
	s_delay_alu instid0(VALU_DEP_4) | instskip(NEXT) | instid1(VALU_DEP_2)
	v_cmp_lt_i32_e32 vcc_lo, v6, v1
	v_lshlrev_b32_e32 v2, 2, v2
	v_cndmask_b32_e32 v6, v0, v6, vcc_lo
	ds_bpermute_b32 v2, v2, v12
	v_lshlrev_b32_e32 v6, 2, v6
	s_waitcnt lgkmcnt(0)
	v_max_f32_e32 v2, v2, v2
	s_delay_alu instid0(VALU_DEP_1) | instskip(SKIP_1) | instid1(VALU_DEP_1)
	v_max_f32_e32 v2, v7, v2
	v_xor_b32_e32 v7, 2, v0
	v_cmp_lt_i32_e32 vcc_lo, v7, v1
	v_cndmask_b32_e32 v7, v0, v7, vcc_lo
	s_delay_alu instid0(VALU_DEP_1) | instskip(SKIP_3) | instid1(VALU_DEP_1)
	v_lshlrev_b32_e32 v7, 2, v7
	ds_bpermute_b32 v6, v6, v2
	s_waitcnt lgkmcnt(0)
	v_max_f32_e32 v6, v6, v6
	v_max_f32_e32 v2, v2, v6
	ds_bpermute_b32 v6, v7, v2
	v_xor_b32_e32 v7, 1, v0
	s_delay_alu instid0(VALU_DEP_1) | instskip(SKIP_2) | instid1(VALU_DEP_1)
	v_cmp_lt_i32_e32 vcc_lo, v7, v1
	s_waitcnt lgkmcnt(0)
	v_dual_cndmask_b32 v0, v0, v7 :: v_dual_max_f32 v1, v6, v6
	v_dual_max_f32 v1, v2, v1 :: v_dual_lshlrev_b32 v0, 2, v0
	ds_bpermute_b32 v0, v0, v1
	s_waitcnt lgkmcnt(0)
	v_max_f32_e32 v0, v0, v0
	s_delay_alu instid0(VALU_DEP_1) | instskip(NEXT) | instid1(VALU_DEP_1)
	v_max_f32_e32 v0, v1, v0
	v_div_scale_f32 v1, null, s7, s7, v0
	v_div_scale_f32 v7, vcc_lo, v0, s7, v0
	s_delay_alu instid0(VALU_DEP_2) | instskip(SKIP_2) | instid1(VALU_DEP_1)
	v_rcp_f32_e32 v2, v1
	s_waitcnt_depctr 0xfff
	v_fma_f32 v6, -v1, v2, 1.0
	v_fmac_f32_e32 v2, v6, v2
	s_delay_alu instid0(VALU_DEP_1) | instskip(NEXT) | instid1(VALU_DEP_1)
	v_mul_f32_e32 v6, v7, v2
	v_fma_f32 v8, -v1, v6, v7
	s_delay_alu instid0(VALU_DEP_1) | instskip(NEXT) | instid1(VALU_DEP_1)
	v_fmac_f32_e32 v6, v8, v2
	v_fma_f32 v1, -v1, v6, v7
	s_delay_alu instid0(VALU_DEP_1) | instskip(NEXT) | instid1(VALU_DEP_1)
	v_div_fmas_f32 v1, v1, v2, v6
	v_div_fixup_f32 v0, v1, s7, v0
	s_delay_alu instid0(VALU_DEP_1) | instskip(NEXT) | instid1(VALU_DEP_1)
	v_max_f32_e64 v0, 0x2edbe6ff, |v0|
	v_cmp_gt_f32_e32 vcc_lo, 0x800000, v0
	v_cndmask_b32_e64 v1, 1.0, 0x4f800000, vcc_lo
	s_delay_alu instid0(VALU_DEP_1) | instskip(SKIP_1) | instid1(VALU_DEP_2)
	v_mul_f32_e32 v0, v0, v1
	v_cndmask_b32_e64 v1, 0, 0x42000000, vcc_lo
	v_log_f32_e32 v0, v0
	s_waitcnt_depctr 0xfff
	v_sub_f32_e32 v0, v0, v1
	s_delay_alu instid0(VALU_DEP_1) | instskip(NEXT) | instid1(VALU_DEP_1)
	v_ceil_f32_e32 v0, v0
	v_cmp_gt_f32_e32 vcc_lo, 0xc2fc0000, v0
	v_cndmask_b32_e64 v1, 0, 0x42800000, vcc_lo
	s_delay_alu instid0(VALU_DEP_1) | instskip(SKIP_1) | instid1(VALU_DEP_2)
	v_add_f32_e32 v0, v0, v1
	v_cndmask_b32_e64 v1, 1.0, 0x1f800000, vcc_lo
	v_exp_f32_e32 v0, v0
	s_waitcnt_depctr 0xfff
	v_mul_f32_e32 v18, v0, v1
	v_cmpx_eq_u32_e32 0, v17
	s_cbranch_execz .LBB32_24
; %bb.19:
	s_load_b64 s[4:5], s[0:1], 0x10
	s_ashr_i32 s0, s2, 31
	v_mov_b32_e32 v0, 0
	v_or_b32_e32 v1, s0, v11
	s_mov_b32 s1, s2
	s_delay_alu instid0(VALU_DEP_1) | instskip(SKIP_1) | instid1(SALU_CYCLE_1)
	v_cmp_ne_u64_e32 vcc_lo, 0, v[0:1]
                                        ; implicit-def: $vgpr0_vgpr1
	s_and_saveexec_b32 s2, vcc_lo
	s_xor_b32 s2, exec_lo, s2
	s_cbranch_execz .LBB32_21
; %bb.20:
	s_add_u32 s12, s1, s0
	s_mov_b32 s10, s0
	s_mov_b32 s11, s0
	s_addc_u32 s13, s0, s0
	s_delay_alu instid0(SALU_CYCLE_1) | instskip(NEXT) | instid1(SALU_CYCLE_1)
	s_xor_b64 s[12:13], s[12:13], s[10:11]
	v_cvt_f32_u32_e32 v0, s12
	v_cvt_f32_u32_e32 v1, s13
	s_sub_u32 s0, 0, s12
	s_subb_u32 s11, 0, s13
	s_delay_alu instid0(VALU_DEP_1) | instskip(NEXT) | instid1(VALU_DEP_1)
	v_fmamk_f32 v0, v1, 0x4f800000, v0
	v_rcp_f32_e32 v0, v0
	s_waitcnt_depctr 0xfff
	v_mul_f32_e32 v0, 0x5f7ffffc, v0
	s_delay_alu instid0(VALU_DEP_1) | instskip(NEXT) | instid1(VALU_DEP_1)
	v_mul_f32_e32 v1, 0x2f800000, v0
	v_trunc_f32_e32 v1, v1
	s_delay_alu instid0(VALU_DEP_1) | instskip(SKIP_1) | instid1(VALU_DEP_2)
	v_fmamk_f32 v0, v1, 0xcf800000, v0
	v_cvt_u32_f32_e32 v1, v1
	v_cvt_u32_f32_e32 v0, v0
	s_delay_alu instid0(VALU_DEP_2) | instskip(NEXT) | instid1(VALU_DEP_2)
	v_mul_lo_u32 v2, s0, v1
	v_mul_hi_u32 v6, s0, v0
	v_mul_lo_u32 v7, s11, v0
	s_delay_alu instid0(VALU_DEP_2) | instskip(SKIP_1) | instid1(VALU_DEP_2)
	v_add_nc_u32_e32 v2, v6, v2
	v_mul_lo_u32 v6, s0, v0
	v_add_nc_u32_e32 v2, v2, v7
	s_delay_alu instid0(VALU_DEP_2) | instskip(NEXT) | instid1(VALU_DEP_2)
	v_mul_hi_u32 v7, v0, v6
	v_mul_lo_u32 v8, v0, v2
	v_mul_hi_u32 v9, v0, v2
	v_mul_hi_u32 v12, v1, v6
	v_mul_lo_u32 v6, v1, v6
	v_mul_hi_u32 v13, v1, v2
	v_mul_lo_u32 v2, v1, v2
	v_add_co_u32 v7, vcc_lo, v7, v8
	v_add_co_ci_u32_e32 v8, vcc_lo, 0, v9, vcc_lo
	s_delay_alu instid0(VALU_DEP_2) | instskip(NEXT) | instid1(VALU_DEP_2)
	v_add_co_u32 v6, vcc_lo, v7, v6
	v_add_co_ci_u32_e32 v6, vcc_lo, v8, v12, vcc_lo
	v_add_co_ci_u32_e32 v7, vcc_lo, 0, v13, vcc_lo
	s_delay_alu instid0(VALU_DEP_2) | instskip(NEXT) | instid1(VALU_DEP_2)
	v_add_co_u32 v2, vcc_lo, v6, v2
	v_add_co_ci_u32_e32 v6, vcc_lo, 0, v7, vcc_lo
	s_delay_alu instid0(VALU_DEP_2) | instskip(NEXT) | instid1(VALU_DEP_2)
	v_add_co_u32 v0, vcc_lo, v0, v2
	v_add_co_ci_u32_e32 v1, vcc_lo, v1, v6, vcc_lo
	s_delay_alu instid0(VALU_DEP_2) | instskip(SKIP_1) | instid1(VALU_DEP_3)
	v_mul_hi_u32 v2, s0, v0
	v_mul_lo_u32 v7, s11, v0
	v_mul_lo_u32 v6, s0, v1
	s_delay_alu instid0(VALU_DEP_1) | instskip(SKIP_1) | instid1(VALU_DEP_2)
	v_add_nc_u32_e32 v2, v2, v6
	v_mul_lo_u32 v6, s0, v0
	v_add_nc_u32_e32 v2, v2, v7
	s_delay_alu instid0(VALU_DEP_2) | instskip(NEXT) | instid1(VALU_DEP_2)
	v_mul_hi_u32 v7, v0, v6
	v_mul_lo_u32 v8, v0, v2
	v_mul_hi_u32 v9, v0, v2
	v_mul_hi_u32 v12, v1, v6
	v_mul_lo_u32 v6, v1, v6
	v_mul_hi_u32 v13, v1, v2
	v_mul_lo_u32 v2, v1, v2
	v_add_co_u32 v7, vcc_lo, v7, v8
	v_add_co_ci_u32_e32 v8, vcc_lo, 0, v9, vcc_lo
	s_delay_alu instid0(VALU_DEP_2) | instskip(NEXT) | instid1(VALU_DEP_2)
	v_add_co_u32 v6, vcc_lo, v7, v6
	v_add_co_ci_u32_e32 v6, vcc_lo, v8, v12, vcc_lo
	v_add_co_ci_u32_e32 v7, vcc_lo, 0, v13, vcc_lo
	s_delay_alu instid0(VALU_DEP_2) | instskip(NEXT) | instid1(VALU_DEP_2)
	v_add_co_u32 v2, vcc_lo, v6, v2
	v_add_co_ci_u32_e32 v6, vcc_lo, 0, v7, vcc_lo
	s_delay_alu instid0(VALU_DEP_2) | instskip(NEXT) | instid1(VALU_DEP_2)
	v_add_co_u32 v2, vcc_lo, v0, v2
	v_add_co_ci_u32_e32 v12, vcc_lo, v1, v6, vcc_lo
	s_delay_alu instid0(VALU_DEP_2) | instskip(SKIP_1) | instid1(VALU_DEP_3)
	v_mul_hi_u32 v13, v10, v2
	v_mad_u64_u32 v[6:7], null, v11, v2, 0
	v_mad_u64_u32 v[0:1], null, v10, v12, 0
	;; [unrolled: 1-line block ×3, first 2 shown]
	s_delay_alu instid0(VALU_DEP_2) | instskip(NEXT) | instid1(VALU_DEP_3)
	v_add_co_u32 v0, vcc_lo, v13, v0
	v_add_co_ci_u32_e32 v1, vcc_lo, 0, v1, vcc_lo
	s_delay_alu instid0(VALU_DEP_2) | instskip(NEXT) | instid1(VALU_DEP_2)
	v_add_co_u32 v0, vcc_lo, v0, v6
	v_add_co_ci_u32_e32 v0, vcc_lo, v1, v7, vcc_lo
	v_add_co_ci_u32_e32 v1, vcc_lo, 0, v9, vcc_lo
	s_delay_alu instid0(VALU_DEP_2) | instskip(NEXT) | instid1(VALU_DEP_2)
	v_add_co_u32 v2, vcc_lo, v0, v8
	v_add_co_ci_u32_e32 v6, vcc_lo, 0, v1, vcc_lo
	s_delay_alu instid0(VALU_DEP_2) | instskip(SKIP_1) | instid1(VALU_DEP_3)
	v_mul_lo_u32 v7, s13, v2
	v_mad_u64_u32 v[0:1], null, s12, v2, 0
	v_mul_lo_u32 v6, s12, v6
	s_delay_alu instid0(VALU_DEP_2) | instskip(NEXT) | instid1(VALU_DEP_2)
	v_sub_co_u32 v0, vcc_lo, v10, v0
	v_add3_u32 v1, v1, v6, v7
	v_add_co_u32 v7, s0, v2, 2
	s_delay_alu instid0(VALU_DEP_2) | instskip(NEXT) | instid1(VALU_DEP_1)
	v_sub_nc_u32_e32 v6, v11, v1
	v_subrev_co_ci_u32_e64 v6, s0, s13, v6, vcc_lo
	v_sub_co_u32 v8, s0, v0, s12
	v_sub_co_ci_u32_e32 v1, vcc_lo, v11, v1, vcc_lo
	s_delay_alu instid0(VALU_DEP_3) | instskip(NEXT) | instid1(VALU_DEP_3)
	v_subrev_co_ci_u32_e64 v6, s0, 0, v6, s0
	v_cmp_le_u32_e32 vcc_lo, s12, v8
	v_cndmask_b32_e64 v8, 0, -1, vcc_lo
	s_delay_alu instid0(VALU_DEP_3)
	v_cmp_le_u32_e32 vcc_lo, s13, v6
	v_cndmask_b32_e64 v9, 0, -1, vcc_lo
	v_cmp_le_u32_e32 vcc_lo, s12, v0
	v_cndmask_b32_e64 v0, 0, -1, vcc_lo
	;; [unrolled: 2-line block ×3, first 2 shown]
	v_cmp_eq_u32_e32 vcc_lo, s13, v6
	v_cndmask_b32_e32 v6, v9, v8, vcc_lo
	v_add_co_u32 v8, vcc_lo, v2, 1
	v_cmp_eq_u32_e32 vcc_lo, s13, v1
	v_cndmask_b32_e32 v0, v11, v0, vcc_lo
	s_delay_alu instid0(VALU_DEP_4) | instskip(NEXT) | instid1(VALU_DEP_4)
	v_cmp_ne_u32_e32 vcc_lo, 0, v6
	v_cndmask_b32_e32 v1, v8, v7, vcc_lo
	s_delay_alu instid0(VALU_DEP_3) | instskip(NEXT) | instid1(VALU_DEP_2)
	v_cmp_ne_u32_e32 vcc_lo, 0, v0
	v_cndmask_b32_e32 v0, v2, v1, vcc_lo
	s_delay_alu instid0(VALU_DEP_1) | instskip(NEXT) | instid1(VALU_DEP_1)
	v_xor_b32_e32 v0, s10, v0
	v_sub_co_u32 v0, vcc_lo, v0, s10
.LBB32_21:
	s_and_not1_saveexec_b32 s0, s2
	s_cbranch_execz .LBB32_23
; %bb.22:
	v_cvt_f32_u32_e32 v0, s1
	s_sub_i32 s2, 0, s1
	s_delay_alu instid0(VALU_DEP_1) | instskip(SKIP_2) | instid1(VALU_DEP_1)
	v_rcp_iflag_f32_e32 v0, v0
	s_waitcnt_depctr 0xfff
	v_mul_f32_e32 v0, 0x4f7ffffe, v0
	v_cvt_u32_f32_e32 v0, v0
	s_delay_alu instid0(VALU_DEP_1) | instskip(NEXT) | instid1(VALU_DEP_1)
	v_mul_lo_u32 v1, s2, v0
	v_mul_hi_u32 v1, v0, v1
	s_delay_alu instid0(VALU_DEP_1) | instskip(NEXT) | instid1(VALU_DEP_1)
	v_add_nc_u32_e32 v0, v0, v1
	v_mul_hi_u32 v0, v10, v0
	s_delay_alu instid0(VALU_DEP_1) | instskip(SKIP_1) | instid1(VALU_DEP_2)
	v_mul_lo_u32 v1, v0, s1
	v_add_nc_u32_e32 v2, 1, v0
	v_sub_nc_u32_e32 v1, v10, v1
	s_delay_alu instid0(VALU_DEP_1) | instskip(SKIP_1) | instid1(VALU_DEP_2)
	v_subrev_nc_u32_e32 v6, s1, v1
	v_cmp_le_u32_e32 vcc_lo, s1, v1
	v_cndmask_b32_e32 v1, v1, v6, vcc_lo
	v_cndmask_b32_e32 v0, v0, v2, vcc_lo
	s_delay_alu instid0(VALU_DEP_2) | instskip(NEXT) | instid1(VALU_DEP_2)
	v_cmp_le_u32_e32 vcc_lo, s1, v1
	v_add_nc_u32_e32 v2, 1, v0
	s_delay_alu instid0(VALU_DEP_1)
	v_cndmask_b32_e32 v0, v0, v2, vcc_lo
.LBB32_23:
	s_or_b32 exec_lo, exec_lo, s0
	s_delay_alu instid0(VALU_DEP_1) | instskip(NEXT) | instid1(VALU_DEP_1)
	v_mul_lo_u32 v1, v0, s1
	v_sub_nc_u32_e32 v6, v10, v1
	s_delay_alu instid0(VALU_DEP_1) | instskip(NEXT) | instid1(VALU_DEP_1)
	v_mad_u64_u32 v[1:2], null, v6, s3, v[0:1]
	v_ashrrev_i32_e32 v2, 31, v1
	s_delay_alu instid0(VALU_DEP_1) | instskip(SKIP_1) | instid1(VALU_DEP_1)
	v_lshlrev_b64 v[0:1], 2, v[1:2]
	s_waitcnt lgkmcnt(0)
	v_add_co_u32 v0, vcc_lo, s4, v0
	s_delay_alu instid0(VALU_DEP_2)
	v_add_co_ci_u32_e32 v1, vcc_lo, s5, v1, vcc_lo
	global_store_b32 v[0:1], v18, off
.LBB32_24:
	s_or_b32 exec_lo, exec_lo, s16
	v_dual_mov_b32 v1, 0 :: v_dual_and_b32 v0, 15, v3
	s_xor_b32 s0, s15, -1
	s_waitcnt_vscnt null, 0x0
	s_barrier
	buffer_gl0_inv
	v_cmp_ne_u64_e32 vcc_lo, 0, v[0:1]
	s_or_b32 s0, s0, vcc_lo
	s_delay_alu instid0(SALU_CYCLE_1) | instskip(NEXT) | instid1(SALU_CYCLE_1)
	s_and_saveexec_b32 s1, s0
	s_xor_b32 s10, exec_lo, s1
	s_cbranch_execz .LBB32_119
; %bb.25:
	v_sub_nc_u32_e32 v0, 0, v3
	v_add_co_u32 v24, vcc_lo, s8, v4
	v_add_co_ci_u32_e32 v25, vcc_lo, s9, v5, vcc_lo
	s_delay_alu instid0(VALU_DEP_3) | instskip(SKIP_1) | instid1(VALU_DEP_1)
	v_bfe_u32 v0, v0, 1, 3
	s_mov_b32 s0, exec_lo
	v_min_i32_e32 v21, s14, v0
	s_delay_alu instid0(VALU_DEP_1)
	v_cmpx_gt_i32_e64 v21, v17
	s_cbranch_execz .LBB32_33
; %bb.26:
	v_lshl_add_u32 v0, v17, 1, v3
	s_mov_b32 s1, exec_lo
	ds_load_u16 v0, v0
	s_waitcnt lgkmcnt(0)
	v_lshlrev_b32_e32 v0, 16, v0
	s_delay_alu instid0(VALU_DEP_1) | instskip(SKIP_1) | instid1(VALU_DEP_2)
	v_div_scale_f32 v1, null, v18, v18, v0
	v_div_scale_f32 v6, vcc_lo, v0, v18, v0
	v_rcp_f32_e32 v2, v1
	s_waitcnt_depctr 0xfff
	v_fma_f32 v3, -v1, v2, 1.0
	s_delay_alu instid0(VALU_DEP_1) | instskip(NEXT) | instid1(VALU_DEP_1)
	v_fmac_f32_e32 v2, v3, v2
	v_mul_f32_e32 v3, v6, v2
	s_delay_alu instid0(VALU_DEP_1) | instskip(NEXT) | instid1(VALU_DEP_1)
	v_fma_f32 v7, -v1, v3, v6
	v_fmac_f32_e32 v3, v7, v2
	s_delay_alu instid0(VALU_DEP_1) | instskip(NEXT) | instid1(VALU_DEP_1)
	v_fma_f32 v1, -v1, v3, v6
	v_div_fmas_f32 v1, v1, v2, v3
	v_max_f32_e64 v2, s6, s6
	v_max_f32_e64 v3, s7, s7
	s_delay_alu instid0(VALU_DEP_3) | instskip(NEXT) | instid1(VALU_DEP_1)
	v_div_fixup_f32 v0, v1, v18, v0
	v_maxmin_f32 v0, v0, v2, v3
	v_mov_b32_e32 v2, 0x80
	s_delay_alu instid0(VALU_DEP_2) | instskip(NEXT) | instid1(VALU_DEP_1)
	v_and_b32_e32 v1, 0x7fffffff, v0
	v_cmpx_gt_u32_e32 0x43800000, v1
	s_cbranch_execz .LBB32_32
; %bb.27:
	v_cmp_lt_u32_e32 vcc_lo, 0x3bffffff, v1
	s_mov_b32 s2, 0
                                        ; implicit-def: $vgpr1
	s_and_saveexec_b32 s3, vcc_lo
	s_delay_alu instid0(SALU_CYCLE_1)
	s_xor_b32 s3, exec_lo, s3
	s_cbranch_execnz .LBB32_188
; %bb.28:
	s_or_saveexec_b32 s3, s3
                                        ; implicit-def: $sgpr4
	s_delay_alu instid0(SALU_CYCLE_1)
	s_xor_b32 exec_lo, exec_lo, s3
	s_cbranch_execnz .LBB32_189
.LBB32_29:
	s_or_b32 exec_lo, exec_lo, s3
	v_mov_b32_e32 v2, s4
	s_and_saveexec_b32 s3, s2
.LBB32_30:
	v_lshrrev_b32_e32 v0, 24, v0
	s_delay_alu instid0(VALU_DEP_1)
	v_and_or_b32 v2, 0x80, v0, v1
.LBB32_31:
	s_or_b32 exec_lo, exec_lo, s3
.LBB32_32:
	s_delay_alu instid0(SALU_CYCLE_1)
	s_or_b32 exec_lo, exec_lo, s1
	v_add_co_u32 v0, vcc_lo, v24, v17
	v_add_co_ci_u32_e32 v1, vcc_lo, 0, v25, vcc_lo
	global_store_b8 v[0:1], v2, off
.LBB32_33:
	s_or_b32 exec_lo, exec_lo, s0
	v_sub_nc_u32_e32 v20, s14, v21
	v_ashrrev_i32_e32 v22, 31, v21
	v_lshlrev_b32_e32 v23, 1, v21
	s_mov_b32 s2, exec_lo
	s_delay_alu instid0(VALU_DEP_3) | instskip(NEXT) | instid1(VALU_DEP_1)
	v_ashrrev_i32_e32 v0, 31, v20
	v_lshrrev_b32_e32 v0, 29, v0
	s_delay_alu instid0(VALU_DEP_1) | instskip(NEXT) | instid1(VALU_DEP_1)
	v_add_nc_u32_e32 v0, v20, v0
	v_ashrrev_i32_e32 v26, 3, v0
	s_delay_alu instid0(VALU_DEP_1)
	v_cmpx_gt_i32_e64 v26, v17
	s_cbranch_execz .LBB32_100
; %bb.34:
	v_lshlrev_b32_e32 v0, 4, v17
	v_dual_mov_b32 v30, v17 :: v_dual_lshlrev_b32 v1, 3, v17
	v_add_co_u32 v2, vcc_lo, v21, v4
	v_add_co_ci_u32_e32 v3, vcc_lo, v22, v5, vcc_lo
	s_delay_alu instid0(VALU_DEP_4) | instskip(SKIP_1) | instid1(VALU_DEP_4)
	v_lshl_add_u32 v0, v19, 1, v0
	v_lshlrev_b32_e32 v6, 1, v21
	v_add_co_u32 v1, vcc_lo, v2, v1
	s_delay_alu instid0(VALU_DEP_4) | instskip(NEXT) | instid1(VALU_DEP_3)
	v_add_co_ci_u32_e32 v2, vcc_lo, 0, v3, vcc_lo
	v_add3_u32 v27, v0, v6, 0
	s_delay_alu instid0(VALU_DEP_3) | instskip(NEXT) | instid1(VALU_DEP_3)
	v_add_co_u32 v6, vcc_lo, s8, v1
	v_add_co_ci_u32_e32 v7, vcc_lo, s9, v2, vcc_lo
	v_max_f32_e64 v28, s6, s6
	v_max_f32_e64 v29, s7, s7
	s_mov_b32 s3, 0
	s_branch .LBB32_37
.LBB32_35:                              ;   in Loop: Header=BB32_37 Depth=1
	s_or_b32 exec_lo, exec_lo, s0
.LBB32_36:                              ;   in Loop: Header=BB32_37 Depth=1
	s_delay_alu instid0(SALU_CYCLE_1)
	s_or_b32 exec_lo, exec_lo, s4
	v_lshlrev_b32_e32 v2, 16, v15
	v_lshlrev_b32_e32 v3, 16, v13
	;; [unrolled: 1-line block ×5, first 2 shown]
	v_and_b32_e32 v2, 0xff0000, v2
	v_perm_b32 v3, v11, v3, 0x4020c0c
	v_and_b32_e32 v0, 0xff, v0
	v_and_b32_e32 v10, 0xff, v10
	;; [unrolled: 1-line block ×3, first 2 shown]
	v_or_b32_e32 v1, v1, v2
	v_and_or_b32 v2, 0xff00, v8, v3
	v_add_nc_u32_e32 v30, 16, v30
	v_add_nc_u32_e32 v27, 0x100, v27
	s_delay_alu instid0(VALU_DEP_4) | instskip(NEXT) | instid1(VALU_DEP_4)
	v_or3_b32 v1, v1, v9, v0
	v_or_b32_e32 v0, v2, v10
	s_delay_alu instid0(VALU_DEP_4) | instskip(SKIP_2) | instid1(VALU_DEP_1)
	v_cmp_ge_i32_e32 vcc_lo, v30, v26
	global_store_b64 v[6:7], v[0:1], off
	v_add_co_u32 v6, s0, 0x80, v6
	v_add_co_ci_u32_e64 v7, s0, 0, v7, s0
	s_or_b32 s3, vcc_lo, s3
	s_delay_alu instid0(SALU_CYCLE_1)
	s_and_not1_b32 exec_lo, exec_lo, s3
	s_cbranch_execz .LBB32_100
.LBB32_37:                              ; =>This Inner Loop Header: Depth=1
	ds_load_b128 v[0:3], v27
	s_mov_b32 s4, exec_lo
	s_waitcnt lgkmcnt(0)
	v_lshlrev_b32_e32 v8, 16, v0
	s_delay_alu instid0(VALU_DEP_1) | instskip(SKIP_1) | instid1(VALU_DEP_2)
	v_div_scale_f32 v9, null, v18, v18, v8
	v_div_scale_f32 v12, vcc_lo, v8, v18, v8
	v_rcp_f32_e32 v10, v9
	s_waitcnt_depctr 0xfff
	v_fma_f32 v11, -v9, v10, 1.0
	s_delay_alu instid0(VALU_DEP_1) | instskip(NEXT) | instid1(VALU_DEP_1)
	v_fmac_f32_e32 v10, v11, v10
	v_mul_f32_e32 v11, v12, v10
	s_delay_alu instid0(VALU_DEP_1) | instskip(NEXT) | instid1(VALU_DEP_1)
	v_fma_f32 v13, -v9, v11, v12
	v_fmac_f32_e32 v11, v13, v10
	s_delay_alu instid0(VALU_DEP_1) | instskip(NEXT) | instid1(VALU_DEP_1)
	v_fma_f32 v9, -v9, v11, v12
	v_div_fmas_f32 v9, v9, v10, v11
	s_delay_alu instid0(VALU_DEP_1) | instskip(NEXT) | instid1(VALU_DEP_1)
	v_div_fixup_f32 v8, v9, v18, v8
	v_maxmin_f32 v12, v8, v28, v29
	v_mov_b32_e32 v8, 0x80
	v_mov_b32_e32 v9, 0
	s_delay_alu instid0(VALU_DEP_3) | instskip(NEXT) | instid1(VALU_DEP_2)
	v_and_b32_e32 v13, 0x7fffffff, v12
	v_dual_mov_b32 v11, v9 :: v_dual_mov_b32 v10, v8
	s_delay_alu instid0(VALU_DEP_2)
	v_cmpx_gt_u32_e32 0x43800000, v13
	s_cbranch_execz .LBB32_45
; %bb.38:                               ;   in Loop: Header=BB32_37 Depth=1
	s_mov_b32 s5, 0
	s_mov_b32 s0, exec_lo
                                        ; implicit-def: $vgpr9
	v_cmpx_lt_u32_e32 0x3bffffff, v13
	s_xor_b32 s0, exec_lo, s0
; %bb.39:                               ;   in Loop: Header=BB32_37 Depth=1
	v_bfe_u32 v9, v12, 20, 1
	s_mov_b32 s5, exec_lo
	s_delay_alu instid0(VALU_DEP_1) | instskip(NEXT) | instid1(VALU_DEP_1)
	v_add3_u32 v9, v12, v9, 0x487ffff
	v_lshrrev_b32_e32 v9, 20, v9
; %bb.40:                               ;   in Loop: Header=BB32_37 Depth=1
	s_or_saveexec_b32 s11, s0
                                        ; implicit-def: $sgpr0_sgpr1
	s_delay_alu instid0(SALU_CYCLE_1)
	s_xor_b32 exec_lo, exec_lo, s11
; %bb.41:                               ;   in Loop: Header=BB32_37 Depth=1
	v_add_f32_e64 v9, 0x46000000, |v12|
	s_and_not1_b32 s5, s5, exec_lo
	s_mov_b64 s[0:1], 0
	s_delay_alu instid0(VALU_DEP_1) | instskip(NEXT) | instid1(VALU_DEP_1)
	v_and_b32_e32 v9, 0xff, v9
	v_cmp_ne_u32_e32 vcc_lo, 0, v9
	s_and_b32 s12, vcc_lo, exec_lo
	s_delay_alu instid0(SALU_CYCLE_1)
	s_or_b32 s5, s5, s12
; %bb.42:                               ;   in Loop: Header=BB32_37 Depth=1
	s_or_b32 exec_lo, exec_lo, s11
	v_dual_mov_b32 v11, s1 :: v_dual_mov_b32 v10, s0
	s_and_saveexec_b32 s0, s5
; %bb.43:                               ;   in Loop: Header=BB32_37 Depth=1
	v_lshrrev_b32_e32 v10, 24, v12
	s_delay_alu instid0(VALU_DEP_1)
	v_and_or_b32 v10, 0x80, v10, v9
; %bb.44:                               ;   in Loop: Header=BB32_37 Depth=1
	s_or_b32 exec_lo, exec_lo, s0
.LBB32_45:                              ;   in Loop: Header=BB32_37 Depth=1
	s_delay_alu instid0(SALU_CYCLE_1) | instskip(SKIP_2) | instid1(VALU_DEP_1)
	s_or_b32 exec_lo, exec_lo, s4
	v_and_b32_e32 v0, 0xffff0000, v0
	s_mov_b32 s4, exec_lo
	v_div_scale_f32 v9, null, v18, v18, v0
	s_delay_alu instid0(VALU_DEP_1) | instskip(SKIP_2) | instid1(VALU_DEP_1)
	v_rcp_f32_e32 v11, v9
	s_waitcnt_depctr 0xfff
	v_fma_f32 v12, -v9, v11, 1.0
	v_fmac_f32_e32 v11, v12, v11
	v_div_scale_f32 v12, vcc_lo, v0, v18, v0
	s_delay_alu instid0(VALU_DEP_1) | instskip(NEXT) | instid1(VALU_DEP_1)
	v_mul_f32_e32 v13, v12, v11
	v_fma_f32 v14, -v9, v13, v12
	s_delay_alu instid0(VALU_DEP_1) | instskip(NEXT) | instid1(VALU_DEP_1)
	v_fmac_f32_e32 v13, v14, v11
	v_fma_f32 v9, -v9, v13, v12
	s_delay_alu instid0(VALU_DEP_1) | instskip(NEXT) | instid1(VALU_DEP_1)
	v_div_fmas_f32 v9, v9, v11, v13
	v_div_fixup_f32 v0, v9, v18, v0
	s_delay_alu instid0(VALU_DEP_1) | instskip(NEXT) | instid1(VALU_DEP_1)
	v_maxmin_f32 v0, v0, v28, v29
	v_and_b32_e32 v9, 0x7fffffff, v0
	s_delay_alu instid0(VALU_DEP_1)
	v_cmpx_gt_u32_e32 0x43800000, v9
	s_cbranch_execz .LBB32_53
; %bb.46:                               ;   in Loop: Header=BB32_37 Depth=1
	s_mov_b32 s5, 0
	s_mov_b32 s0, exec_lo
                                        ; implicit-def: $vgpr11
	v_cmpx_lt_u32_e32 0x3bffffff, v9
	s_xor_b32 s0, exec_lo, s0
; %bb.47:                               ;   in Loop: Header=BB32_37 Depth=1
	v_bfe_u32 v8, v0, 20, 1
	s_mov_b32 s5, exec_lo
	s_delay_alu instid0(VALU_DEP_1) | instskip(NEXT) | instid1(VALU_DEP_1)
	v_add3_u32 v8, v0, v8, 0x487ffff
	v_lshrrev_b32_e32 v11, 20, v8
; %bb.48:                               ;   in Loop: Header=BB32_37 Depth=1
	s_or_saveexec_b32 s11, s0
                                        ; implicit-def: $sgpr0_sgpr1
	s_delay_alu instid0(SALU_CYCLE_1)
	s_xor_b32 exec_lo, exec_lo, s11
; %bb.49:                               ;   in Loop: Header=BB32_37 Depth=1
	v_add_f32_e64 v8, 0x46000000, |v0|
	s_and_not1_b32 s5, s5, exec_lo
	s_mov_b64 s[0:1], 0
	s_delay_alu instid0(VALU_DEP_1) | instskip(NEXT) | instid1(VALU_DEP_1)
	v_and_b32_e32 v11, 0xff, v8
	v_cmp_ne_u32_e32 vcc_lo, 0, v11
	s_and_b32 s12, vcc_lo, exec_lo
	s_delay_alu instid0(SALU_CYCLE_1)
	s_or_b32 s5, s5, s12
; %bb.50:                               ;   in Loop: Header=BB32_37 Depth=1
	s_or_b32 exec_lo, exec_lo, s11
	v_dual_mov_b32 v9, s1 :: v_dual_mov_b32 v8, s0
	s_and_saveexec_b32 s0, s5
; %bb.51:                               ;   in Loop: Header=BB32_37 Depth=1
	v_lshrrev_b32_e32 v0, 24, v0
	s_delay_alu instid0(VALU_DEP_1)
	v_and_or_b32 v8, 0x80, v0, v11
; %bb.52:                               ;   in Loop: Header=BB32_37 Depth=1
	s_or_b32 exec_lo, exec_lo, s0
.LBB32_53:                              ;   in Loop: Header=BB32_37 Depth=1
	s_delay_alu instid0(SALU_CYCLE_1) | instskip(SKIP_2) | instid1(VALU_DEP_1)
	s_or_b32 exec_lo, exec_lo, s4
	v_lshlrev_b32_e32 v0, 16, v1
	s_mov_b32 s4, exec_lo
	v_div_scale_f32 v9, null, v18, v18, v0
	s_delay_alu instid0(VALU_DEP_1) | instskip(SKIP_2) | instid1(VALU_DEP_1)
	v_rcp_f32_e32 v11, v9
	s_waitcnt_depctr 0xfff
	v_fma_f32 v12, -v9, v11, 1.0
	v_fmac_f32_e32 v11, v12, v11
	v_div_scale_f32 v13, vcc_lo, v0, v18, v0
	s_delay_alu instid0(VALU_DEP_1) | instskip(NEXT) | instid1(VALU_DEP_1)
	v_mul_f32_e32 v12, v13, v11
	v_fma_f32 v14, -v9, v12, v13
	s_delay_alu instid0(VALU_DEP_1) | instskip(NEXT) | instid1(VALU_DEP_1)
	v_fmac_f32_e32 v12, v14, v11
	v_fma_f32 v9, -v9, v12, v13
	s_delay_alu instid0(VALU_DEP_1) | instskip(SKIP_2) | instid1(VALU_DEP_3)
	v_div_fmas_f32 v9, v9, v11, v12
	v_mov_b32_e32 v11, 0x80
	v_mov_b32_e32 v12, 0
	v_div_fixup_f32 v0, v9, v18, v0
	s_delay_alu instid0(VALU_DEP_2) | instskip(NEXT) | instid1(VALU_DEP_2)
	v_dual_mov_b32 v14, v12 :: v_dual_mov_b32 v13, v11
	v_maxmin_f32 v0, v0, v28, v29
	s_delay_alu instid0(VALU_DEP_1) | instskip(NEXT) | instid1(VALU_DEP_1)
	v_and_b32_e32 v9, 0x7fffffff, v0
	v_cmpx_gt_u32_e32 0x43800000, v9
	s_cbranch_execz .LBB32_61
; %bb.54:                               ;   in Loop: Header=BB32_37 Depth=1
	v_cmp_lt_u32_e32 vcc_lo, 0x3bffffff, v9
	s_mov_b32 s5, 0
                                        ; implicit-def: $vgpr9
	s_and_saveexec_b32 s0, vcc_lo
	s_delay_alu instid0(SALU_CYCLE_1)
	s_xor_b32 s0, exec_lo, s0
; %bb.55:                               ;   in Loop: Header=BB32_37 Depth=1
	v_bfe_u32 v9, v0, 20, 1
	s_mov_b32 s5, exec_lo
	s_delay_alu instid0(VALU_DEP_1) | instskip(NEXT) | instid1(VALU_DEP_1)
	v_add3_u32 v9, v0, v9, 0x487ffff
	v_lshrrev_b32_e32 v9, 20, v9
; %bb.56:                               ;   in Loop: Header=BB32_37 Depth=1
	s_or_saveexec_b32 s11, s0
                                        ; implicit-def: $sgpr0_sgpr1
	s_delay_alu instid0(SALU_CYCLE_1)
	s_xor_b32 exec_lo, exec_lo, s11
; %bb.57:                               ;   in Loop: Header=BB32_37 Depth=1
	v_add_f32_e64 v9, 0x46000000, |v0|
	s_and_not1_b32 s5, s5, exec_lo
	s_mov_b64 s[0:1], 0
	s_delay_alu instid0(VALU_DEP_1) | instskip(NEXT) | instid1(VALU_DEP_1)
	v_and_b32_e32 v9, 0xff, v9
	v_cmp_ne_u32_e32 vcc_lo, 0, v9
	s_and_b32 s12, vcc_lo, exec_lo
	s_delay_alu instid0(SALU_CYCLE_1)
	s_or_b32 s5, s5, s12
; %bb.58:                               ;   in Loop: Header=BB32_37 Depth=1
	s_or_b32 exec_lo, exec_lo, s11
	v_dual_mov_b32 v14, s1 :: v_dual_mov_b32 v13, s0
	s_and_saveexec_b32 s0, s5
; %bb.59:                               ;   in Loop: Header=BB32_37 Depth=1
	v_lshrrev_b32_e32 v0, 24, v0
	s_delay_alu instid0(VALU_DEP_1)
	v_and_or_b32 v13, 0x80, v0, v9
; %bb.60:                               ;   in Loop: Header=BB32_37 Depth=1
	s_or_b32 exec_lo, exec_lo, s0
.LBB32_61:                              ;   in Loop: Header=BB32_37 Depth=1
	s_delay_alu instid0(SALU_CYCLE_1) | instskip(SKIP_2) | instid1(VALU_DEP_1)
	s_or_b32 exec_lo, exec_lo, s4
	v_and_b32_e32 v0, 0xffff0000, v1
	s_mov_b32 s4, exec_lo
	v_div_scale_f32 v1, null, v18, v18, v0
	s_delay_alu instid0(VALU_DEP_1) | instskip(SKIP_2) | instid1(VALU_DEP_1)
	v_rcp_f32_e32 v9, v1
	s_waitcnt_depctr 0xfff
	v_fma_f32 v12, -v1, v9, 1.0
	v_fmac_f32_e32 v9, v12, v9
	v_div_scale_f32 v12, vcc_lo, v0, v18, v0
	s_delay_alu instid0(VALU_DEP_1) | instskip(NEXT) | instid1(VALU_DEP_1)
	v_mul_f32_e32 v14, v12, v9
	v_fma_f32 v15, -v1, v14, v12
	s_delay_alu instid0(VALU_DEP_1) | instskip(NEXT) | instid1(VALU_DEP_1)
	v_fmac_f32_e32 v14, v15, v9
	v_fma_f32 v1, -v1, v14, v12
	s_delay_alu instid0(VALU_DEP_1) | instskip(NEXT) | instid1(VALU_DEP_1)
	v_div_fmas_f32 v1, v1, v9, v14
	v_div_fixup_f32 v0, v1, v18, v0
	s_delay_alu instid0(VALU_DEP_1) | instskip(NEXT) | instid1(VALU_DEP_1)
	v_maxmin_f32 v0, v0, v28, v29
	v_and_b32_e32 v1, 0x7fffffff, v0
	s_delay_alu instid0(VALU_DEP_1)
	v_cmpx_gt_u32_e32 0x43800000, v1
	s_cbranch_execz .LBB32_69
; %bb.62:                               ;   in Loop: Header=BB32_37 Depth=1
	v_cmp_lt_u32_e32 vcc_lo, 0x3bffffff, v1
	s_mov_b32 s5, 0
                                        ; implicit-def: $vgpr1
	s_and_saveexec_b32 s0, vcc_lo
	s_delay_alu instid0(SALU_CYCLE_1)
	s_xor_b32 s0, exec_lo, s0
; %bb.63:                               ;   in Loop: Header=BB32_37 Depth=1
	v_bfe_u32 v1, v0, 20, 1
	s_mov_b32 s5, exec_lo
	s_delay_alu instid0(VALU_DEP_1) | instskip(NEXT) | instid1(VALU_DEP_1)
	v_add3_u32 v1, v0, v1, 0x487ffff
	v_lshrrev_b32_e32 v1, 20, v1
; %bb.64:                               ;   in Loop: Header=BB32_37 Depth=1
	s_or_saveexec_b32 s11, s0
                                        ; implicit-def: $sgpr0_sgpr1
	s_delay_alu instid0(SALU_CYCLE_1)
	s_xor_b32 exec_lo, exec_lo, s11
; %bb.65:                               ;   in Loop: Header=BB32_37 Depth=1
	v_add_f32_e64 v1, 0x46000000, |v0|
	s_and_not1_b32 s5, s5, exec_lo
	s_mov_b64 s[0:1], 0
	s_delay_alu instid0(VALU_DEP_1) | instskip(NEXT) | instid1(VALU_DEP_1)
	v_and_b32_e32 v1, 0xff, v1
	v_cmp_ne_u32_e32 vcc_lo, 0, v1
	s_and_b32 s12, vcc_lo, exec_lo
	s_delay_alu instid0(SALU_CYCLE_1)
	s_or_b32 s5, s5, s12
; %bb.66:                               ;   in Loop: Header=BB32_37 Depth=1
	s_or_b32 exec_lo, exec_lo, s11
	v_dual_mov_b32 v12, s1 :: v_dual_mov_b32 v11, s0
	s_and_saveexec_b32 s0, s5
; %bb.67:                               ;   in Loop: Header=BB32_37 Depth=1
	v_lshrrev_b32_e32 v0, 24, v0
	s_delay_alu instid0(VALU_DEP_1)
	v_and_or_b32 v11, 0x80, v0, v1
; %bb.68:                               ;   in Loop: Header=BB32_37 Depth=1
	s_or_b32 exec_lo, exec_lo, s0
.LBB32_69:                              ;   in Loop: Header=BB32_37 Depth=1
	s_delay_alu instid0(SALU_CYCLE_1) | instskip(SKIP_2) | instid1(VALU_DEP_1)
	s_or_b32 exec_lo, exec_lo, s4
	v_lshlrev_b32_e32 v0, 16, v2
	s_mov_b32 s4, exec_lo
	v_div_scale_f32 v1, null, v18, v18, v0
	s_delay_alu instid0(VALU_DEP_1) | instskip(SKIP_2) | instid1(VALU_DEP_1)
	v_rcp_f32_e32 v9, v1
	s_waitcnt_depctr 0xfff
	v_fma_f32 v12, -v1, v9, 1.0
	v_fmac_f32_e32 v9, v12, v9
	v_div_scale_f32 v14, vcc_lo, v0, v18, v0
	s_delay_alu instid0(VALU_DEP_1) | instskip(NEXT) | instid1(VALU_DEP_1)
	v_mul_f32_e32 v12, v14, v9
	v_fma_f32 v15, -v1, v12, v14
	s_delay_alu instid0(VALU_DEP_1) | instskip(NEXT) | instid1(VALU_DEP_1)
	v_fmac_f32_e32 v12, v15, v9
	v_fma_f32 v1, -v1, v12, v14
	v_mov_b32_e32 v14, 0x80
	v_mov_b32_e32 v15, 0
	s_delay_alu instid0(VALU_DEP_3) | instskip(NEXT) | instid1(VALU_DEP_1)
	v_div_fmas_f32 v1, v1, v9, v12
	v_div_fixup_f32 v0, v1, v18, v0
	s_delay_alu instid0(VALU_DEP_1) | instskip(NEXT) | instid1(VALU_DEP_4)
	v_maxmin_f32 v9, v0, v28, v29
	v_dual_mov_b32 v0, v14 :: v_dual_mov_b32 v1, v15
	s_delay_alu instid0(VALU_DEP_2) | instskip(NEXT) | instid1(VALU_DEP_1)
	v_and_b32_e32 v12, 0x7fffffff, v9
	v_cmpx_gt_u32_e32 0x43800000, v12
	s_cbranch_execz .LBB32_77
; %bb.70:                               ;   in Loop: Header=BB32_37 Depth=1
	v_cmp_lt_u32_e32 vcc_lo, 0x3bffffff, v12
	s_mov_b32 s5, 0
                                        ; implicit-def: $vgpr12
	s_and_saveexec_b32 s0, vcc_lo
	s_delay_alu instid0(SALU_CYCLE_1)
	s_xor_b32 s0, exec_lo, s0
; %bb.71:                               ;   in Loop: Header=BB32_37 Depth=1
	v_bfe_u32 v0, v9, 20, 1
	s_mov_b32 s5, exec_lo
	s_delay_alu instid0(VALU_DEP_1) | instskip(NEXT) | instid1(VALU_DEP_1)
	v_add3_u32 v0, v9, v0, 0x487ffff
	v_lshrrev_b32_e32 v12, 20, v0
; %bb.72:                               ;   in Loop: Header=BB32_37 Depth=1
	s_or_saveexec_b32 s11, s0
                                        ; implicit-def: $sgpr0_sgpr1
	s_delay_alu instid0(SALU_CYCLE_1)
	s_xor_b32 exec_lo, exec_lo, s11
; %bb.73:                               ;   in Loop: Header=BB32_37 Depth=1
	v_add_f32_e64 v0, 0x46000000, |v9|
	s_and_not1_b32 s5, s5, exec_lo
	s_mov_b64 s[0:1], 0
	s_delay_alu instid0(VALU_DEP_1) | instskip(NEXT) | instid1(VALU_DEP_1)
	v_and_b32_e32 v12, 0xff, v0
	v_cmp_ne_u32_e32 vcc_lo, 0, v12
	s_and_b32 s12, vcc_lo, exec_lo
	s_delay_alu instid0(SALU_CYCLE_1)
	s_or_b32 s5, s5, s12
; %bb.74:                               ;   in Loop: Header=BB32_37 Depth=1
	s_or_b32 exec_lo, exec_lo, s11
	v_dual_mov_b32 v0, s0 :: v_dual_mov_b32 v1, s1
	s_and_saveexec_b32 s0, s5
; %bb.75:                               ;   in Loop: Header=BB32_37 Depth=1
	v_lshrrev_b32_e32 v0, 24, v9
	s_delay_alu instid0(VALU_DEP_1)
	v_and_or_b32 v0, 0x80, v0, v12
; %bb.76:                               ;   in Loop: Header=BB32_37 Depth=1
	s_or_b32 exec_lo, exec_lo, s0
.LBB32_77:                              ;   in Loop: Header=BB32_37 Depth=1
	s_delay_alu instid0(SALU_CYCLE_1) | instskip(SKIP_2) | instid1(VALU_DEP_1)
	s_or_b32 exec_lo, exec_lo, s4
	v_and_b32_e32 v1, 0xffff0000, v2
	s_mov_b32 s4, exec_lo
	v_div_scale_f32 v2, null, v18, v18, v1
	s_delay_alu instid0(VALU_DEP_1) | instskip(SKIP_2) | instid1(VALU_DEP_1)
	v_rcp_f32_e32 v9, v2
	s_waitcnt_depctr 0xfff
	v_fma_f32 v12, -v2, v9, 1.0
	v_fmac_f32_e32 v9, v12, v9
	v_div_scale_f32 v12, vcc_lo, v1, v18, v1
	s_delay_alu instid0(VALU_DEP_1) | instskip(NEXT) | instid1(VALU_DEP_1)
	v_mul_f32_e32 v15, v12, v9
	v_fma_f32 v16, -v2, v15, v12
	s_delay_alu instid0(VALU_DEP_1) | instskip(NEXT) | instid1(VALU_DEP_1)
	v_fmac_f32_e32 v15, v16, v9
	v_fma_f32 v2, -v2, v15, v12
	s_delay_alu instid0(VALU_DEP_1) | instskip(NEXT) | instid1(VALU_DEP_1)
	v_div_fmas_f32 v2, v2, v9, v15
	v_div_fixup_f32 v1, v2, v18, v1
	s_delay_alu instid0(VALU_DEP_1) | instskip(NEXT) | instid1(VALU_DEP_1)
	v_maxmin_f32 v1, v1, v28, v29
	v_and_b32_e32 v2, 0x7fffffff, v1
	s_delay_alu instid0(VALU_DEP_1)
	v_cmpx_gt_u32_e32 0x43800000, v2
	s_cbranch_execz .LBB32_85
; %bb.78:                               ;   in Loop: Header=BB32_37 Depth=1
	v_cmp_lt_u32_e32 vcc_lo, 0x3bffffff, v2
	s_mov_b32 s5, 0
                                        ; implicit-def: $vgpr2
	s_and_saveexec_b32 s0, vcc_lo
	s_delay_alu instid0(SALU_CYCLE_1)
	s_xor_b32 s0, exec_lo, s0
; %bb.79:                               ;   in Loop: Header=BB32_37 Depth=1
	v_bfe_u32 v2, v1, 20, 1
	s_mov_b32 s5, exec_lo
	s_delay_alu instid0(VALU_DEP_1) | instskip(NEXT) | instid1(VALU_DEP_1)
	v_add3_u32 v2, v1, v2, 0x487ffff
	v_lshrrev_b32_e32 v2, 20, v2
; %bb.80:                               ;   in Loop: Header=BB32_37 Depth=1
	s_or_saveexec_b32 s11, s0
                                        ; implicit-def: $sgpr0_sgpr1
	s_delay_alu instid0(SALU_CYCLE_1)
	s_xor_b32 exec_lo, exec_lo, s11
; %bb.81:                               ;   in Loop: Header=BB32_37 Depth=1
	v_add_f32_e64 v2, 0x46000000, |v1|
	s_and_not1_b32 s5, s5, exec_lo
	s_mov_b64 s[0:1], 0
	s_delay_alu instid0(VALU_DEP_1) | instskip(NEXT) | instid1(VALU_DEP_1)
	v_and_b32_e32 v2, 0xff, v2
	v_cmp_ne_u32_e32 vcc_lo, 0, v2
	s_and_b32 s12, vcc_lo, exec_lo
	s_delay_alu instid0(SALU_CYCLE_1)
	s_or_b32 s5, s5, s12
; %bb.82:                               ;   in Loop: Header=BB32_37 Depth=1
	s_or_b32 exec_lo, exec_lo, s11
	v_dual_mov_b32 v15, s1 :: v_dual_mov_b32 v14, s0
	s_and_saveexec_b32 s0, s5
; %bb.83:                               ;   in Loop: Header=BB32_37 Depth=1
	v_lshrrev_b32_e32 v1, 24, v1
	s_delay_alu instid0(VALU_DEP_1)
	v_and_or_b32 v14, 0x80, v1, v2
; %bb.84:                               ;   in Loop: Header=BB32_37 Depth=1
	s_or_b32 exec_lo, exec_lo, s0
.LBB32_85:                              ;   in Loop: Header=BB32_37 Depth=1
	s_delay_alu instid0(SALU_CYCLE_1) | instskip(SKIP_2) | instid1(VALU_DEP_1)
	s_or_b32 exec_lo, exec_lo, s4
	v_lshlrev_b32_e32 v1, 16, v3
	s_mov_b32 s4, exec_lo
	v_div_scale_f32 v2, null, v18, v18, v1
	v_div_scale_f32 v15, vcc_lo, v1, v18, v1
	s_delay_alu instid0(VALU_DEP_2) | instskip(SKIP_2) | instid1(VALU_DEP_1)
	v_rcp_f32_e32 v9, v2
	s_waitcnt_depctr 0xfff
	v_fma_f32 v12, -v2, v9, 1.0
	v_fmac_f32_e32 v9, v12, v9
	s_delay_alu instid0(VALU_DEP_1) | instskip(NEXT) | instid1(VALU_DEP_1)
	v_mul_f32_e32 v12, v15, v9
	v_fma_f32 v16, -v2, v12, v15
	s_delay_alu instid0(VALU_DEP_1) | instskip(NEXT) | instid1(VALU_DEP_1)
	v_fmac_f32_e32 v12, v16, v9
	v_fma_f32 v2, -v2, v12, v15
	s_delay_alu instid0(VALU_DEP_1) | instskip(NEXT) | instid1(VALU_DEP_1)
	v_div_fmas_f32 v2, v2, v9, v12
	v_div_fixup_f32 v1, v2, v18, v1
	s_delay_alu instid0(VALU_DEP_1) | instskip(SKIP_2) | instid1(VALU_DEP_3)
	v_maxmin_f32 v9, v1, v28, v29
	v_mov_b32_e32 v1, 0x80
	v_mov_b32_e32 v2, 0
	v_and_b32_e32 v12, 0x7fffffff, v9
	s_delay_alu instid0(VALU_DEP_2) | instskip(NEXT) | instid1(VALU_DEP_2)
	v_dual_mov_b32 v16, v2 :: v_dual_mov_b32 v15, v1
	v_cmpx_gt_u32_e32 0x43800000, v12
	s_cbranch_execz .LBB32_93
; %bb.86:                               ;   in Loop: Header=BB32_37 Depth=1
	s_mov_b32 s5, 0
	s_mov_b32 s0, exec_lo
                                        ; implicit-def: $vgpr2
	v_cmpx_lt_u32_e32 0x3bffffff, v12
	s_xor_b32 s0, exec_lo, s0
; %bb.87:                               ;   in Loop: Header=BB32_37 Depth=1
	v_bfe_u32 v2, v9, 20, 1
	s_mov_b32 s5, exec_lo
	s_delay_alu instid0(VALU_DEP_1) | instskip(NEXT) | instid1(VALU_DEP_1)
	v_add3_u32 v2, v9, v2, 0x487ffff
	v_lshrrev_b32_e32 v2, 20, v2
; %bb.88:                               ;   in Loop: Header=BB32_37 Depth=1
	s_or_saveexec_b32 s11, s0
                                        ; implicit-def: $sgpr0_sgpr1
	s_delay_alu instid0(SALU_CYCLE_1)
	s_xor_b32 exec_lo, exec_lo, s11
; %bb.89:                               ;   in Loop: Header=BB32_37 Depth=1
	v_add_f32_e64 v2, 0x46000000, |v9|
	s_and_not1_b32 s5, s5, exec_lo
	s_mov_b64 s[0:1], 0
	s_delay_alu instid0(VALU_DEP_1) | instskip(NEXT) | instid1(VALU_DEP_1)
	v_and_b32_e32 v2, 0xff, v2
	v_cmp_ne_u32_e32 vcc_lo, 0, v2
	s_and_b32 s12, vcc_lo, exec_lo
	s_delay_alu instid0(SALU_CYCLE_1)
	s_or_b32 s5, s5, s12
; %bb.90:                               ;   in Loop: Header=BB32_37 Depth=1
	s_or_b32 exec_lo, exec_lo, s11
	v_dual_mov_b32 v16, s1 :: v_dual_mov_b32 v15, s0
	s_and_saveexec_b32 s0, s5
; %bb.91:                               ;   in Loop: Header=BB32_37 Depth=1
	v_lshrrev_b32_e32 v9, 24, v9
	s_delay_alu instid0(VALU_DEP_1)
	v_and_or_b32 v15, 0x80, v9, v2
; %bb.92:                               ;   in Loop: Header=BB32_37 Depth=1
	s_or_b32 exec_lo, exec_lo, s0
.LBB32_93:                              ;   in Loop: Header=BB32_37 Depth=1
	s_delay_alu instid0(SALU_CYCLE_1) | instskip(SKIP_2) | instid1(VALU_DEP_1)
	s_or_b32 exec_lo, exec_lo, s4
	v_and_b32_e32 v2, 0xffff0000, v3
	s_mov_b32 s4, exec_lo
	v_div_scale_f32 v3, null, v18, v18, v2
	s_delay_alu instid0(VALU_DEP_1) | instskip(SKIP_2) | instid1(VALU_DEP_1)
	v_rcp_f32_e32 v9, v3
	s_waitcnt_depctr 0xfff
	v_fma_f32 v12, -v3, v9, 1.0
	v_fmac_f32_e32 v9, v12, v9
	v_div_scale_f32 v12, vcc_lo, v2, v18, v2
	s_delay_alu instid0(VALU_DEP_1) | instskip(NEXT) | instid1(VALU_DEP_1)
	v_mul_f32_e32 v16, v12, v9
	v_fma_f32 v31, -v3, v16, v12
	s_delay_alu instid0(VALU_DEP_1) | instskip(NEXT) | instid1(VALU_DEP_1)
	v_fmac_f32_e32 v16, v31, v9
	v_fma_f32 v3, -v3, v16, v12
	s_delay_alu instid0(VALU_DEP_1) | instskip(NEXT) | instid1(VALU_DEP_1)
	v_div_fmas_f32 v3, v3, v9, v16
	v_div_fixup_f32 v2, v3, v18, v2
	s_delay_alu instid0(VALU_DEP_1) | instskip(NEXT) | instid1(VALU_DEP_1)
	v_maxmin_f32 v3, v2, v28, v29
	v_and_b32_e32 v2, 0x7fffffff, v3
	s_delay_alu instid0(VALU_DEP_1)
	v_cmpx_gt_u32_e32 0x43800000, v2
	s_cbranch_execz .LBB32_36
; %bb.94:                               ;   in Loop: Header=BB32_37 Depth=1
	s_mov_b32 s5, 0
	s_mov_b32 s0, exec_lo
                                        ; implicit-def: $vgpr9
	v_cmpx_lt_u32_e32 0x3bffffff, v2
	s_xor_b32 s0, exec_lo, s0
; %bb.95:                               ;   in Loop: Header=BB32_37 Depth=1
	v_bfe_u32 v1, v3, 20, 1
	s_mov_b32 s5, exec_lo
	s_delay_alu instid0(VALU_DEP_1) | instskip(NEXT) | instid1(VALU_DEP_1)
	v_add3_u32 v1, v3, v1, 0x487ffff
	v_lshrrev_b32_e32 v9, 20, v1
; %bb.96:                               ;   in Loop: Header=BB32_37 Depth=1
	s_or_saveexec_b32 s11, s0
                                        ; implicit-def: $sgpr0_sgpr1
	s_delay_alu instid0(SALU_CYCLE_1)
	s_xor_b32 exec_lo, exec_lo, s11
; %bb.97:                               ;   in Loop: Header=BB32_37 Depth=1
	v_add_f32_e64 v1, 0x46000000, |v3|
	s_and_not1_b32 s5, s5, exec_lo
	s_mov_b64 s[0:1], 0
	s_delay_alu instid0(VALU_DEP_1) | instskip(NEXT) | instid1(VALU_DEP_1)
	v_and_b32_e32 v9, 0xff, v1
	v_cmp_ne_u32_e32 vcc_lo, 0, v9
	s_and_b32 s12, vcc_lo, exec_lo
	s_delay_alu instid0(SALU_CYCLE_1)
	s_or_b32 s5, s5, s12
; %bb.98:                               ;   in Loop: Header=BB32_37 Depth=1
	s_or_b32 exec_lo, exec_lo, s11
	v_dual_mov_b32 v2, s1 :: v_dual_mov_b32 v1, s0
	s_and_saveexec_b32 s0, s5
	s_cbranch_execz .LBB32_35
; %bb.99:                               ;   in Loop: Header=BB32_37 Depth=1
	v_lshrrev_b32_e32 v1, 24, v3
	s_delay_alu instid0(VALU_DEP_1)
	v_and_or_b32 v1, 0x80, v1, v9
	s_branch .LBB32_35
.LBB32_100:
	s_or_b32 exec_lo, exec_lo, s2
	v_lshlrev_b32_e32 v2, 3, v26
	s_mov_b32 s11, exec_lo
	s_delay_alu instid0(VALU_DEP_1) | instskip(NEXT) | instid1(VALU_DEP_1)
	v_add_nc_u32_e32 v0, v2, v17
	v_cmpx_lt_i32_e64 v0, v20
	s_cbranch_execz .LBB32_118
; %bb.101:
	v_add_nc_u32_e32 v1, 16, v0
	s_mov_b32 s0, 0
	s_mov_b32 s1, exec_lo
	s_delay_alu instid0(VALU_DEP_1) | instskip(NEXT) | instid1(VALU_DEP_1)
	v_max_i32_e32 v3, v1, v20
	v_xad_u32 v3, v17, -1, v3
	s_delay_alu instid0(VALU_DEP_1) | instskip(NEXT) | instid1(VALU_DEP_1)
	v_sub_nc_u32_e32 v2, v3, v2
                                        ; implicit-def: $vgpr3
	v_cmpx_lt_u32_e32 15, v2
	s_xor_b32 s12, exec_lo, s1
	s_cbranch_execnz .LBB32_104
; %bb.102:
	s_and_not1_saveexec_b32 s1, s12
	s_cbranch_execnz .LBB32_107
.LBB32_103:
	s_or_b32 exec_lo, exec_lo, s1
	s_delay_alu instid0(SALU_CYCLE_1)
	s_and_b32 exec_lo, exec_lo, s0
	s_cbranch_execnz .LBB32_108
	s_branch .LBB32_118
.LBB32_104:
	v_lshrrev_b32_e32 v2, 4, v2
	v_dual_mov_b32 v10, v18 :: v_dual_lshlrev_b32 v3, 1, v19
	v_lshlrev_b32_e32 v23, 1, v21
	v_add_co_u32 v8, vcc_lo, v24, v21
	s_delay_alu instid0(VALU_DEP_4)
	v_add_nc_u32_e32 v6, 1, v2
	s_mov_b32 s0, s6
	s_mov_b32 s1, s6
	;; [unrolled: 1-line block ×4, first 2 shown]
	v_and_b32_e32 v7, 0x1ffffffe, v6
	v_lshlrev_b32_e32 v11, 4, v26
	v_add_co_ci_u32_e32 v9, vcc_lo, v25, v22, vcc_lo
	v_max_f32_e64 v12, s0, s0
	s_delay_alu instid0(VALU_DEP_4) | instskip(NEXT) | instid1(VALU_DEP_4)
	v_mov_b32_e32 v16, v7
	v_add3_u32 v2, v3, v11, v23
	v_lshlrev_b32_e32 v11, 1, v17
	v_max_f32_e64 v13, s1, s1
	v_max_f32_e64 v14, s3, s3
	;; [unrolled: 1-line block ×3, first 2 shown]
	s_mov_b32 s13, 0
	v_add3_u32 v11, v2, v11, 0
	v_mov_b32_e32 v2, v1
	v_mov_b32_e32 v1, v0
.LBB32_105:                             ; =>This Inner Loop Header: Depth=1
	ds_load_u16 v17, v11
	ds_load_u16 v19, v11 offset:32
	v_ashrrev_i32_e32 v25, 31, v1
	v_add_co_u32 v24, vcc_lo, v8, v1
	v_ashrrev_i32_e32 v27, 31, v2
	v_dual_mov_b32 v26, v2 :: v_dual_add_nc_u32 v1, 32, v1
	s_delay_alu instid0(VALU_DEP_4) | instskip(SKIP_1) | instid1(VALU_DEP_3)
	v_add_co_ci_u32_e32 v25, vcc_lo, v9, v25, vcc_lo
	v_add_nc_u32_e32 v11, 64, v11
	v_add_co_u32 v26, s0, v8, v26
	s_delay_alu instid0(VALU_DEP_1) | instskip(SKIP_2) | instid1(VALU_DEP_1)
	v_add_co_ci_u32_e64 v27, s0, v9, v27, s0
	s_waitcnt lgkmcnt(0)
	v_lshlrev_b32_e32 v19, 16, v19
	v_div_scale_f32 v29, null, v10, v10, v19
	v_div_scale_f32 v33, s1, v19, v10, v19
	s_delay_alu instid0(VALU_DEP_2) | instskip(SKIP_2) | instid1(VALU_DEP_1)
	v_rcp_f32_e32 v32, v29
	s_waitcnt_depctr 0xfff
	v_fma_f32 v35, -v29, v32, 1.0
	v_dual_fmac_f32 v32, v35, v32 :: v_dual_lshlrev_b32 v17, 16, v17
	s_delay_alu instid0(VALU_DEP_1) | instskip(SKIP_1) | instid1(VALU_DEP_3)
	v_div_scale_f32 v28, null, v18, v18, v17
	v_div_scale_f32 v30, vcc_lo, v17, v18, v17
	v_mul_f32_e32 v35, v33, v32
	s_delay_alu instid0(VALU_DEP_3) | instskip(NEXT) | instid1(VALU_DEP_1)
	v_rcp_f32_e32 v31, v28
	v_fma_f32 v37, -v29, v35, v33
	s_delay_alu instid0(VALU_DEP_1) | instskip(SKIP_4) | instid1(VALU_DEP_3)
	v_fmac_f32_e32 v35, v37, v32
	s_waitcnt_depctr 0xfff
	v_fma_f32 v34, -v28, v31, 1.0
	v_add_nc_u32_e32 v2, 32, v2
	v_fma_f32 v29, -v29, v35, v33
	v_fmac_f32_e32 v31, v34, v31
	s_delay_alu instid0(VALU_DEP_1) | instskip(NEXT) | instid1(VALU_DEP_1)
	v_mul_f32_e32 v34, v30, v31
	v_fma_f32 v36, -v28, v34, v30
	s_delay_alu instid0(VALU_DEP_1) | instskip(NEXT) | instid1(VALU_DEP_1)
	v_fmac_f32_e32 v34, v36, v31
	v_fma_f32 v28, -v28, v34, v30
	s_delay_alu instid0(VALU_DEP_1) | instskip(SKIP_2) | instid1(VALU_DEP_2)
	v_div_fmas_f32 v28, v28, v31, v34
	s_mov_b32 vcc_lo, s1
	v_div_fmas_f32 v29, v29, v32, v35
	v_div_fixup_f32 v17, v28, v18, v17
	s_delay_alu instid0(VALU_DEP_2) | instskip(NEXT) | instid1(VALU_DEP_2)
	v_div_fixup_f32 v19, v29, v10, v19
	v_maxmin_f32 v17, v17, v12, v15
	s_delay_alu instid0(VALU_DEP_2) | instskip(NEXT) | instid1(VALU_DEP_2)
	v_maxmin_f32 v19, v19, v13, v14
	v_bfe_u32 v29, v17, 20, 1
	v_and_b32_e32 v28, 0x7fffffff, v17
	v_add_f32_e64 v30, 0x46000000, |v17|
	s_delay_alu instid0(VALU_DEP_4)
	v_bfe_u32 v33, v19, 20, 1
	v_and_b32_e32 v32, 0x7fffffff, v19
	v_lshrrev_b32_e32 v31, 24, v17
	v_add3_u32 v17, v17, v29, 0x487ffff
	v_add_f32_e64 v34, 0x46000000, |v19|
	v_lshrrev_b32_e32 v35, 24, v19
	v_add3_u32 v19, v19, v33, 0x487ffff
	v_cmp_gt_u32_e32 vcc_lo, 0x43800000, v28
	v_cmp_gt_u32_e64 s1, 0x3c000000, v28
	v_cmp_gt_u32_e64 s2, 0x43800000, v32
	;; [unrolled: 1-line block ×3, first 2 shown]
	v_lshrrev_b32_e32 v17, 20, v17
	v_lshrrev_b32_e32 v19, 20, v19
	s_xor_b32 s4, s1, vcc_lo
	v_and_b32_e32 v28, 0xff, v30
	s_xor_b32 s5, s3, s2
	v_cndmask_b32_e64 v17, v30, v17, s4
	v_cndmask_b32_e64 v19, v34, v19, s5
	v_and_b32_e32 v29, 0xff, v34
	v_cmp_eq_u32_e64 s0, 0, v28
	s_delay_alu instid0(VALU_DEP_4) | instskip(NEXT) | instid1(VALU_DEP_4)
	v_and_or_b32 v17, 0x80, v31, v17
	v_and_or_b32 v19, 0x80, v35, v19
	v_add_nc_u32_e32 v16, -2, v16
	v_cmp_eq_u32_e64 s4, 0, v29
	s_and_b32 s0, s1, s0
	v_cndmask_b32_e32 v17, 0xffffff80, v17, vcc_lo
	v_cndmask_b32_e64 v19, 0xffffff80, v19, s2
	v_cmp_eq_u32_e32 vcc_lo, 0, v16
	s_and_b32 s1, s3, s4
	s_delay_alu instid0(VALU_DEP_3) | instskip(NEXT) | instid1(VALU_DEP_3)
	v_cndmask_b32_e64 v17, v17, 0, s0
	v_cndmask_b32_e64 v19, v19, 0, s1
	s_or_b32 s13, vcc_lo, s13
	s_clause 0x1
	global_store_b8 v[24:25], v17, off
	global_store_b8 v[26:27], v19, off
	s_and_not1_b32 exec_lo, exec_lo, s13
	s_cbranch_execnz .LBB32_105
; %bb.106:
	s_or_b32 exec_lo, exec_lo, s13
	v_cmp_ne_u32_e32 vcc_lo, v6, v7
	v_lshl_add_u32 v0, v7, 4, v0
                                        ; implicit-def: $vgpr19
	s_and_b32 s0, vcc_lo, exec_lo
	s_and_not1_saveexec_b32 s1, s12
	s_cbranch_execz .LBB32_103
.LBB32_107:
	v_lshlrev_b32_e32 v3, 1, v19
	s_or_b32 s0, s0, exec_lo
	s_or_b32 exec_lo, exec_lo, s1
	s_delay_alu instid0(SALU_CYCLE_1)
	s_and_b32 exec_lo, exec_lo, s0
	s_cbranch_execz .LBB32_118
.LBB32_108:
	v_add_co_u32 v1, vcc_lo, v21, v4
	v_add_co_ci_u32_e32 v2, vcc_lo, v22, v5, vcc_lo
	v_ashrrev_i32_e32 v4, 31, v0
	s_delay_alu instid0(VALU_DEP_3) | instskip(SKIP_2) | instid1(VALU_DEP_4)
	v_add_co_u32 v1, vcc_lo, v1, v0
	v_lshl_add_u32 v3, v0, 1, v3
	v_max_f32_e64 v5, s7, s7
	v_add_co_ci_u32_e32 v2, vcc_lo, v2, v4, vcc_lo
	s_delay_alu instid0(VALU_DEP_4) | instskip(NEXT) | instid1(VALU_DEP_4)
	v_add_co_u32 v1, vcc_lo, s8, v1
	v_add3_u32 v3, v3, v23, 0
	s_delay_alu instid0(VALU_DEP_3)
	v_add_co_ci_u32_e32 v2, vcc_lo, s9, v2, vcc_lo
	v_max_f32_e64 v4, s6, s6
	s_mov_b32 s1, 0
	s_branch .LBB32_111
.LBB32_109:                             ;   in Loop: Header=BB32_111 Depth=1
	s_or_b32 exec_lo, exec_lo, s3
.LBB32_110:                             ;   in Loop: Header=BB32_111 Depth=1
	s_delay_alu instid0(SALU_CYCLE_1)
	s_or_b32 exec_lo, exec_lo, s0
	v_add_nc_u32_e32 v0, 16, v0
	global_store_b8 v[1:2], v8, off
	v_add_co_u32 v1, s0, v1, 16
	v_add_nc_u32_e32 v3, 32, v3
	v_cmp_ge_i32_e32 vcc_lo, v0, v20
	v_add_co_ci_u32_e64 v2, s0, 0, v2, s0
	s_or_b32 s1, vcc_lo, s1
	s_delay_alu instid0(SALU_CYCLE_1)
	s_and_not1_b32 exec_lo, exec_lo, s1
	s_cbranch_execz .LBB32_118
.LBB32_111:                             ; =>This Inner Loop Header: Depth=1
	ds_load_u16 v6, v3
	s_mov_b32 s0, exec_lo
	s_waitcnt lgkmcnt(0)
	v_lshlrev_b32_e32 v6, 16, v6
	s_delay_alu instid0(VALU_DEP_1) | instskip(SKIP_1) | instid1(VALU_DEP_2)
	v_div_scale_f32 v7, null, v18, v18, v6
	v_div_scale_f32 v10, vcc_lo, v6, v18, v6
	v_rcp_f32_e32 v8, v7
	s_waitcnt_depctr 0xfff
	v_fma_f32 v9, -v7, v8, 1.0
	s_delay_alu instid0(VALU_DEP_1) | instskip(NEXT) | instid1(VALU_DEP_1)
	v_fmac_f32_e32 v8, v9, v8
	v_mul_f32_e32 v9, v10, v8
	s_delay_alu instid0(VALU_DEP_1) | instskip(NEXT) | instid1(VALU_DEP_1)
	v_fma_f32 v11, -v7, v9, v10
	v_fmac_f32_e32 v9, v11, v8
	s_delay_alu instid0(VALU_DEP_1) | instskip(NEXT) | instid1(VALU_DEP_1)
	v_fma_f32 v7, -v7, v9, v10
	v_div_fmas_f32 v7, v7, v8, v9
	v_mov_b32_e32 v8, 0x80
	s_delay_alu instid0(VALU_DEP_2) | instskip(NEXT) | instid1(VALU_DEP_1)
	v_div_fixup_f32 v6, v7, v18, v6
	v_maxmin_f32 v6, v6, v4, v5
	s_delay_alu instid0(VALU_DEP_1) | instskip(NEXT) | instid1(VALU_DEP_1)
	v_and_b32_e32 v7, 0x7fffffff, v6
	v_cmpx_gt_u32_e32 0x43800000, v7
	s_cbranch_execz .LBB32_110
; %bb.112:                              ;   in Loop: Header=BB32_111 Depth=1
	v_cmp_lt_u32_e32 vcc_lo, 0x3bffffff, v7
	s_mov_b32 s2, 0
                                        ; implicit-def: $vgpr7
	s_and_saveexec_b32 s3, vcc_lo
	s_delay_alu instid0(SALU_CYCLE_1)
	s_xor_b32 s3, exec_lo, s3
	s_cbranch_execnz .LBB32_115
; %bb.113:                              ;   in Loop: Header=BB32_111 Depth=1
	s_or_saveexec_b32 s3, s3
                                        ; implicit-def: $sgpr4
	s_delay_alu instid0(SALU_CYCLE_1)
	s_xor_b32 exec_lo, exec_lo, s3
	s_cbranch_execnz .LBB32_116
.LBB32_114:                             ;   in Loop: Header=BB32_111 Depth=1
	s_or_b32 exec_lo, exec_lo, s3
	v_mov_b32_e32 v8, s4
	s_and_saveexec_b32 s3, s2
	s_cbranch_execz .LBB32_109
	s_branch .LBB32_117
.LBB32_115:                             ;   in Loop: Header=BB32_111 Depth=1
	v_bfe_u32 v7, v6, 20, 1
	s_mov_b32 s2, exec_lo
	s_delay_alu instid0(VALU_DEP_1) | instskip(NEXT) | instid1(VALU_DEP_1)
	v_add3_u32 v7, v6, v7, 0x487ffff
	v_lshrrev_b32_e32 v7, 20, v7
	s_or_saveexec_b32 s3, s3
                                        ; implicit-def: $sgpr4
	s_delay_alu instid0(SALU_CYCLE_1)
	s_xor_b32 exec_lo, exec_lo, s3
	s_cbranch_execz .LBB32_114
.LBB32_116:                             ;   in Loop: Header=BB32_111 Depth=1
	v_add_f32_e64 v7, 0x46000000, |v6|
	s_and_not1_b32 s2, s2, exec_lo
	s_mov_b32 s4, 0
	s_delay_alu instid0(VALU_DEP_1) | instskip(NEXT) | instid1(VALU_DEP_1)
	v_and_b32_e32 v7, 0xff, v7
	v_cmp_ne_u32_e32 vcc_lo, 0, v7
	s_and_b32 s5, vcc_lo, exec_lo
	s_delay_alu instid0(SALU_CYCLE_1)
	s_or_b32 s2, s2, s5
	s_or_b32 exec_lo, exec_lo, s3
	v_mov_b32_e32 v8, s4
	s_and_saveexec_b32 s3, s2
	s_cbranch_execz .LBB32_109
.LBB32_117:                             ;   in Loop: Header=BB32_111 Depth=1
	v_lshrrev_b32_e32 v6, 24, v6
	s_delay_alu instid0(VALU_DEP_1)
	v_and_or_b32 v8, 0x80, v6, v7
	s_branch .LBB32_109
.LBB32_118:
	s_or_b32 exec_lo, exec_lo, s11
                                        ; implicit-def: $vgpr17
                                        ; implicit-def: $vgpr18
                                        ; implicit-def: $vgpr19
                                        ; implicit-def: $vgpr4_vgpr5
.LBB32_119:
	s_and_not1_saveexec_b32 s0, s10
	s_cbranch_execz .LBB32_187
; %bb.120:
	s_ashr_i32 s2, s14, 3
	s_mov_b32 s0, exec_lo
	v_cmpx_gt_i32_e64 s2, v17
	s_cbranch_execz .LBB32_187
; %bb.121:
	v_lshlrev_b32_e32 v0, 3, v17
	v_lshlrev_b32_e32 v1, 1, v19
	;; [unrolled: 1-line block ×3, first 2 shown]
	v_max_f32_e64 v16, s6, s6
	v_max_f32_e64 v19, s7, s7
	v_add_co_u32 v0, vcc_lo, v4, v0
	v_add_co_ci_u32_e32 v3, vcc_lo, 0, v5, vcc_lo
	v_add3_u32 v15, v1, v2, 0
	s_delay_alu instid0(VALU_DEP_3) | instskip(NEXT) | instid1(VALU_DEP_3)
	v_add_co_u32 v4, vcc_lo, s8, v0
	v_add_co_ci_u32_e32 v5, vcc_lo, s9, v3, vcc_lo
	s_mov_b32 s3, 0
	s_branch .LBB32_124
.LBB32_122:                             ;   in Loop: Header=BB32_124 Depth=1
	s_or_b32 exec_lo, exec_lo, s0
.LBB32_123:                             ;   in Loop: Header=BB32_124 Depth=1
	s_delay_alu instid0(SALU_CYCLE_1)
	s_or_b32 exec_lo, exec_lo, s4
	v_lshlrev_b32_e32 v2, 16, v13
	v_lshlrev_b32_e32 v3, 16, v11
	;; [unrolled: 1-line block ×5, first 2 shown]
	v_and_b32_e32 v2, 0xff0000, v2
	v_perm_b32 v3, v9, v3, 0x4020c0c
	v_and_b32_e32 v0, 0xff, v0
	v_and_b32_e32 v8, 0xff, v8
	;; [unrolled: 1-line block ×3, first 2 shown]
	v_or_b32_e32 v1, v1, v2
	v_and_or_b32 v2, 0xff00, v6, v3
	v_add_nc_u32_e32 v17, 16, v17
	v_add_nc_u32_e32 v15, 0x100, v15
	s_delay_alu instid0(VALU_DEP_4) | instskip(NEXT) | instid1(VALU_DEP_4)
	v_or3_b32 v1, v1, v7, v0
	v_or_b32_e32 v0, v2, v8
	s_delay_alu instid0(VALU_DEP_4) | instskip(SKIP_2) | instid1(VALU_DEP_1)
	v_cmp_le_i32_e32 vcc_lo, s2, v17
	global_store_b64 v[4:5], v[0:1], off
	v_add_co_u32 v4, s0, 0x80, v4
	v_add_co_ci_u32_e64 v5, s0, 0, v5, s0
	s_or_b32 s3, vcc_lo, s3
	s_delay_alu instid0(SALU_CYCLE_1)
	s_and_not1_b32 exec_lo, exec_lo, s3
	s_cbranch_execz .LBB32_187
.LBB32_124:                             ; =>This Inner Loop Header: Depth=1
	ds_load_b128 v[0:3], v15
	s_mov_b32 s4, exec_lo
	s_waitcnt lgkmcnt(0)
	v_lshlrev_b32_e32 v6, 16, v0
	s_delay_alu instid0(VALU_DEP_1) | instskip(SKIP_1) | instid1(VALU_DEP_2)
	v_div_scale_f32 v7, null, v18, v18, v6
	v_div_scale_f32 v10, vcc_lo, v6, v18, v6
	v_rcp_f32_e32 v8, v7
	s_waitcnt_depctr 0xfff
	v_fma_f32 v9, -v7, v8, 1.0
	s_delay_alu instid0(VALU_DEP_1) | instskip(NEXT) | instid1(VALU_DEP_1)
	v_fmac_f32_e32 v8, v9, v8
	v_mul_f32_e32 v9, v10, v8
	s_delay_alu instid0(VALU_DEP_1) | instskip(NEXT) | instid1(VALU_DEP_1)
	v_fma_f32 v11, -v7, v9, v10
	v_fmac_f32_e32 v9, v11, v8
	s_delay_alu instid0(VALU_DEP_1) | instskip(NEXT) | instid1(VALU_DEP_1)
	v_fma_f32 v7, -v7, v9, v10
	v_div_fmas_f32 v7, v7, v8, v9
	s_delay_alu instid0(VALU_DEP_1) | instskip(NEXT) | instid1(VALU_DEP_1)
	v_div_fixup_f32 v6, v7, v18, v6
	v_maxmin_f32 v10, v6, v16, v19
	v_mov_b32_e32 v6, 0x80
	v_mov_b32_e32 v7, 0
	s_delay_alu instid0(VALU_DEP_3) | instskip(NEXT) | instid1(VALU_DEP_2)
	v_and_b32_e32 v11, 0x7fffffff, v10
	v_dual_mov_b32 v9, v7 :: v_dual_mov_b32 v8, v6
	s_delay_alu instid0(VALU_DEP_2)
	v_cmpx_gt_u32_e32 0x43800000, v11
	s_cbranch_execz .LBB32_132
; %bb.125:                              ;   in Loop: Header=BB32_124 Depth=1
	s_mov_b32 s5, 0
	s_mov_b32 s0, exec_lo
                                        ; implicit-def: $vgpr7
	v_cmpx_lt_u32_e32 0x3bffffff, v11
	s_xor_b32 s0, exec_lo, s0
; %bb.126:                              ;   in Loop: Header=BB32_124 Depth=1
	v_bfe_u32 v7, v10, 20, 1
	s_mov_b32 s5, exec_lo
	s_delay_alu instid0(VALU_DEP_1) | instskip(NEXT) | instid1(VALU_DEP_1)
	v_add3_u32 v7, v10, v7, 0x487ffff
	v_lshrrev_b32_e32 v7, 20, v7
; %bb.127:                              ;   in Loop: Header=BB32_124 Depth=1
	s_or_saveexec_b32 s6, s0
                                        ; implicit-def: $sgpr0_sgpr1
	s_delay_alu instid0(SALU_CYCLE_1)
	s_xor_b32 exec_lo, exec_lo, s6
; %bb.128:                              ;   in Loop: Header=BB32_124 Depth=1
	v_add_f32_e64 v7, 0x46000000, |v10|
	s_and_not1_b32 s5, s5, exec_lo
	s_mov_b64 s[0:1], 0
	s_delay_alu instid0(VALU_DEP_1) | instskip(NEXT) | instid1(VALU_DEP_1)
	v_and_b32_e32 v7, 0xff, v7
	v_cmp_ne_u32_e32 vcc_lo, 0, v7
	s_and_b32 s7, vcc_lo, exec_lo
	s_delay_alu instid0(SALU_CYCLE_1)
	s_or_b32 s5, s5, s7
; %bb.129:                              ;   in Loop: Header=BB32_124 Depth=1
	s_or_b32 exec_lo, exec_lo, s6
	v_dual_mov_b32 v9, s1 :: v_dual_mov_b32 v8, s0
	s_and_saveexec_b32 s0, s5
; %bb.130:                              ;   in Loop: Header=BB32_124 Depth=1
	v_lshrrev_b32_e32 v8, 24, v10
	s_delay_alu instid0(VALU_DEP_1)
	v_and_or_b32 v8, 0x80, v8, v7
; %bb.131:                              ;   in Loop: Header=BB32_124 Depth=1
	s_or_b32 exec_lo, exec_lo, s0
.LBB32_132:                             ;   in Loop: Header=BB32_124 Depth=1
	s_delay_alu instid0(SALU_CYCLE_1) | instskip(SKIP_2) | instid1(VALU_DEP_1)
	s_or_b32 exec_lo, exec_lo, s4
	v_and_b32_e32 v0, 0xffff0000, v0
	s_mov_b32 s4, exec_lo
	v_div_scale_f32 v7, null, v18, v18, v0
	s_delay_alu instid0(VALU_DEP_1) | instskip(SKIP_2) | instid1(VALU_DEP_1)
	v_rcp_f32_e32 v9, v7
	s_waitcnt_depctr 0xfff
	v_fma_f32 v10, -v7, v9, 1.0
	v_fmac_f32_e32 v9, v10, v9
	v_div_scale_f32 v10, vcc_lo, v0, v18, v0
	s_delay_alu instid0(VALU_DEP_1) | instskip(NEXT) | instid1(VALU_DEP_1)
	v_mul_f32_e32 v11, v10, v9
	v_fma_f32 v12, -v7, v11, v10
	s_delay_alu instid0(VALU_DEP_1) | instskip(NEXT) | instid1(VALU_DEP_1)
	v_fmac_f32_e32 v11, v12, v9
	v_fma_f32 v7, -v7, v11, v10
	s_delay_alu instid0(VALU_DEP_1) | instskip(NEXT) | instid1(VALU_DEP_1)
	v_div_fmas_f32 v7, v7, v9, v11
	v_div_fixup_f32 v0, v7, v18, v0
	s_delay_alu instid0(VALU_DEP_1) | instskip(NEXT) | instid1(VALU_DEP_1)
	v_maxmin_f32 v0, v0, v16, v19
	v_and_b32_e32 v7, 0x7fffffff, v0
	s_delay_alu instid0(VALU_DEP_1)
	v_cmpx_gt_u32_e32 0x43800000, v7
	s_cbranch_execz .LBB32_140
; %bb.133:                              ;   in Loop: Header=BB32_124 Depth=1
	s_mov_b32 s5, 0
	s_mov_b32 s0, exec_lo
                                        ; implicit-def: $vgpr9
	v_cmpx_lt_u32_e32 0x3bffffff, v7
	s_xor_b32 s0, exec_lo, s0
; %bb.134:                              ;   in Loop: Header=BB32_124 Depth=1
	v_bfe_u32 v6, v0, 20, 1
	s_mov_b32 s5, exec_lo
	s_delay_alu instid0(VALU_DEP_1) | instskip(NEXT) | instid1(VALU_DEP_1)
	v_add3_u32 v6, v0, v6, 0x487ffff
	v_lshrrev_b32_e32 v9, 20, v6
; %bb.135:                              ;   in Loop: Header=BB32_124 Depth=1
	s_or_saveexec_b32 s6, s0
                                        ; implicit-def: $sgpr0_sgpr1
	s_delay_alu instid0(SALU_CYCLE_1)
	s_xor_b32 exec_lo, exec_lo, s6
; %bb.136:                              ;   in Loop: Header=BB32_124 Depth=1
	v_add_f32_e64 v6, 0x46000000, |v0|
	s_and_not1_b32 s5, s5, exec_lo
	s_mov_b64 s[0:1], 0
	s_delay_alu instid0(VALU_DEP_1) | instskip(NEXT) | instid1(VALU_DEP_1)
	v_and_b32_e32 v9, 0xff, v6
	v_cmp_ne_u32_e32 vcc_lo, 0, v9
	s_and_b32 s7, vcc_lo, exec_lo
	s_delay_alu instid0(SALU_CYCLE_1)
	s_or_b32 s5, s5, s7
; %bb.137:                              ;   in Loop: Header=BB32_124 Depth=1
	s_or_b32 exec_lo, exec_lo, s6
	v_dual_mov_b32 v7, s1 :: v_dual_mov_b32 v6, s0
	s_and_saveexec_b32 s0, s5
; %bb.138:                              ;   in Loop: Header=BB32_124 Depth=1
	v_lshrrev_b32_e32 v0, 24, v0
	s_delay_alu instid0(VALU_DEP_1)
	v_and_or_b32 v6, 0x80, v0, v9
; %bb.139:                              ;   in Loop: Header=BB32_124 Depth=1
	s_or_b32 exec_lo, exec_lo, s0
.LBB32_140:                             ;   in Loop: Header=BB32_124 Depth=1
	s_delay_alu instid0(SALU_CYCLE_1) | instskip(SKIP_2) | instid1(VALU_DEP_1)
	s_or_b32 exec_lo, exec_lo, s4
	v_lshlrev_b32_e32 v0, 16, v1
	s_mov_b32 s4, exec_lo
	v_div_scale_f32 v7, null, v18, v18, v0
	v_div_scale_f32 v11, vcc_lo, v0, v18, v0
	s_delay_alu instid0(VALU_DEP_2) | instskip(SKIP_2) | instid1(VALU_DEP_1)
	v_rcp_f32_e32 v9, v7
	s_waitcnt_depctr 0xfff
	v_fma_f32 v10, -v7, v9, 1.0
	v_fmac_f32_e32 v9, v10, v9
	s_delay_alu instid0(VALU_DEP_1) | instskip(NEXT) | instid1(VALU_DEP_1)
	v_mul_f32_e32 v10, v11, v9
	v_fma_f32 v12, -v7, v10, v11
	s_delay_alu instid0(VALU_DEP_1) | instskip(NEXT) | instid1(VALU_DEP_1)
	v_fmac_f32_e32 v10, v12, v9
	v_fma_f32 v7, -v7, v10, v11
	s_delay_alu instid0(VALU_DEP_1) | instskip(SKIP_2) | instid1(VALU_DEP_3)
	v_div_fmas_f32 v7, v7, v9, v10
	v_mov_b32_e32 v9, 0x80
	v_mov_b32_e32 v10, 0
	v_div_fixup_f32 v0, v7, v18, v0
	s_delay_alu instid0(VALU_DEP_2) | instskip(NEXT) | instid1(VALU_DEP_2)
	v_dual_mov_b32 v12, v10 :: v_dual_mov_b32 v11, v9
	v_maxmin_f32 v0, v0, v16, v19
	s_delay_alu instid0(VALU_DEP_1) | instskip(NEXT) | instid1(VALU_DEP_1)
	v_and_b32_e32 v7, 0x7fffffff, v0
	v_cmpx_gt_u32_e32 0x43800000, v7
	s_cbranch_execz .LBB32_148
; %bb.141:                              ;   in Loop: Header=BB32_124 Depth=1
	v_cmp_lt_u32_e32 vcc_lo, 0x3bffffff, v7
	s_mov_b32 s5, 0
                                        ; implicit-def: $vgpr7
	s_and_saveexec_b32 s0, vcc_lo
	s_delay_alu instid0(SALU_CYCLE_1)
	s_xor_b32 s0, exec_lo, s0
; %bb.142:                              ;   in Loop: Header=BB32_124 Depth=1
	v_bfe_u32 v7, v0, 20, 1
	s_mov_b32 s5, exec_lo
	s_delay_alu instid0(VALU_DEP_1) | instskip(NEXT) | instid1(VALU_DEP_1)
	v_add3_u32 v7, v0, v7, 0x487ffff
	v_lshrrev_b32_e32 v7, 20, v7
; %bb.143:                              ;   in Loop: Header=BB32_124 Depth=1
	s_or_saveexec_b32 s6, s0
                                        ; implicit-def: $sgpr0_sgpr1
	s_delay_alu instid0(SALU_CYCLE_1)
	s_xor_b32 exec_lo, exec_lo, s6
; %bb.144:                              ;   in Loop: Header=BB32_124 Depth=1
	v_add_f32_e64 v7, 0x46000000, |v0|
	s_and_not1_b32 s5, s5, exec_lo
	s_mov_b64 s[0:1], 0
	s_delay_alu instid0(VALU_DEP_1) | instskip(NEXT) | instid1(VALU_DEP_1)
	v_and_b32_e32 v7, 0xff, v7
	v_cmp_ne_u32_e32 vcc_lo, 0, v7
	s_and_b32 s7, vcc_lo, exec_lo
	s_delay_alu instid0(SALU_CYCLE_1)
	s_or_b32 s5, s5, s7
; %bb.145:                              ;   in Loop: Header=BB32_124 Depth=1
	s_or_b32 exec_lo, exec_lo, s6
	v_dual_mov_b32 v12, s1 :: v_dual_mov_b32 v11, s0
	s_and_saveexec_b32 s0, s5
; %bb.146:                              ;   in Loop: Header=BB32_124 Depth=1
	v_lshrrev_b32_e32 v0, 24, v0
	s_delay_alu instid0(VALU_DEP_1)
	v_and_or_b32 v11, 0x80, v0, v7
; %bb.147:                              ;   in Loop: Header=BB32_124 Depth=1
	s_or_b32 exec_lo, exec_lo, s0
.LBB32_148:                             ;   in Loop: Header=BB32_124 Depth=1
	s_delay_alu instid0(SALU_CYCLE_1) | instskip(SKIP_2) | instid1(VALU_DEP_1)
	s_or_b32 exec_lo, exec_lo, s4
	v_and_b32_e32 v0, 0xffff0000, v1
	s_mov_b32 s4, exec_lo
	v_div_scale_f32 v1, null, v18, v18, v0
	s_delay_alu instid0(VALU_DEP_1) | instskip(SKIP_2) | instid1(VALU_DEP_1)
	v_rcp_f32_e32 v7, v1
	s_waitcnt_depctr 0xfff
	v_fma_f32 v10, -v1, v7, 1.0
	v_fmac_f32_e32 v7, v10, v7
	v_div_scale_f32 v10, vcc_lo, v0, v18, v0
	s_delay_alu instid0(VALU_DEP_1) | instskip(NEXT) | instid1(VALU_DEP_1)
	v_mul_f32_e32 v12, v10, v7
	v_fma_f32 v13, -v1, v12, v10
	s_delay_alu instid0(VALU_DEP_1) | instskip(NEXT) | instid1(VALU_DEP_1)
	v_fmac_f32_e32 v12, v13, v7
	v_fma_f32 v1, -v1, v12, v10
	s_delay_alu instid0(VALU_DEP_1) | instskip(NEXT) | instid1(VALU_DEP_1)
	v_div_fmas_f32 v1, v1, v7, v12
	v_div_fixup_f32 v0, v1, v18, v0
	s_delay_alu instid0(VALU_DEP_1) | instskip(NEXT) | instid1(VALU_DEP_1)
	v_maxmin_f32 v0, v0, v16, v19
	v_and_b32_e32 v1, 0x7fffffff, v0
	s_delay_alu instid0(VALU_DEP_1)
	v_cmpx_gt_u32_e32 0x43800000, v1
	s_cbranch_execz .LBB32_156
; %bb.149:                              ;   in Loop: Header=BB32_124 Depth=1
	v_cmp_lt_u32_e32 vcc_lo, 0x3bffffff, v1
	s_mov_b32 s5, 0
                                        ; implicit-def: $vgpr1
	s_and_saveexec_b32 s0, vcc_lo
	s_delay_alu instid0(SALU_CYCLE_1)
	s_xor_b32 s0, exec_lo, s0
; %bb.150:                              ;   in Loop: Header=BB32_124 Depth=1
	v_bfe_u32 v1, v0, 20, 1
	s_mov_b32 s5, exec_lo
	s_delay_alu instid0(VALU_DEP_1) | instskip(NEXT) | instid1(VALU_DEP_1)
	v_add3_u32 v1, v0, v1, 0x487ffff
	v_lshrrev_b32_e32 v1, 20, v1
; %bb.151:                              ;   in Loop: Header=BB32_124 Depth=1
	s_or_saveexec_b32 s6, s0
                                        ; implicit-def: $sgpr0_sgpr1
	s_delay_alu instid0(SALU_CYCLE_1)
	s_xor_b32 exec_lo, exec_lo, s6
; %bb.152:                              ;   in Loop: Header=BB32_124 Depth=1
	v_add_f32_e64 v1, 0x46000000, |v0|
	s_and_not1_b32 s5, s5, exec_lo
	s_mov_b64 s[0:1], 0
	s_delay_alu instid0(VALU_DEP_1) | instskip(NEXT) | instid1(VALU_DEP_1)
	v_and_b32_e32 v1, 0xff, v1
	v_cmp_ne_u32_e32 vcc_lo, 0, v1
	s_and_b32 s7, vcc_lo, exec_lo
	s_delay_alu instid0(SALU_CYCLE_1)
	s_or_b32 s5, s5, s7
; %bb.153:                              ;   in Loop: Header=BB32_124 Depth=1
	s_or_b32 exec_lo, exec_lo, s6
	v_dual_mov_b32 v10, s1 :: v_dual_mov_b32 v9, s0
	s_and_saveexec_b32 s0, s5
; %bb.154:                              ;   in Loop: Header=BB32_124 Depth=1
	v_lshrrev_b32_e32 v0, 24, v0
	s_delay_alu instid0(VALU_DEP_1)
	v_and_or_b32 v9, 0x80, v0, v1
; %bb.155:                              ;   in Loop: Header=BB32_124 Depth=1
	s_or_b32 exec_lo, exec_lo, s0
.LBB32_156:                             ;   in Loop: Header=BB32_124 Depth=1
	s_delay_alu instid0(SALU_CYCLE_1) | instskip(SKIP_2) | instid1(VALU_DEP_1)
	s_or_b32 exec_lo, exec_lo, s4
	v_lshlrev_b32_e32 v0, 16, v2
	s_mov_b32 s4, exec_lo
	v_div_scale_f32 v1, null, v18, v18, v0
	s_delay_alu instid0(VALU_DEP_1) | instskip(SKIP_2) | instid1(VALU_DEP_1)
	v_rcp_f32_e32 v7, v1
	s_waitcnt_depctr 0xfff
	v_fma_f32 v10, -v1, v7, 1.0
	v_fmac_f32_e32 v7, v10, v7
	v_div_scale_f32 v12, vcc_lo, v0, v18, v0
	s_delay_alu instid0(VALU_DEP_1) | instskip(NEXT) | instid1(VALU_DEP_1)
	v_mul_f32_e32 v10, v12, v7
	v_fma_f32 v13, -v1, v10, v12
	s_delay_alu instid0(VALU_DEP_1) | instskip(NEXT) | instid1(VALU_DEP_1)
	v_fmac_f32_e32 v10, v13, v7
	v_fma_f32 v1, -v1, v10, v12
	v_mov_b32_e32 v12, 0x80
	v_mov_b32_e32 v13, 0
	s_delay_alu instid0(VALU_DEP_3) | instskip(NEXT) | instid1(VALU_DEP_1)
	v_div_fmas_f32 v1, v1, v7, v10
	v_div_fixup_f32 v0, v1, v18, v0
	s_delay_alu instid0(VALU_DEP_1) | instskip(NEXT) | instid1(VALU_DEP_4)
	v_maxmin_f32 v7, v0, v16, v19
	v_dual_mov_b32 v0, v12 :: v_dual_mov_b32 v1, v13
	s_delay_alu instid0(VALU_DEP_2) | instskip(NEXT) | instid1(VALU_DEP_1)
	v_and_b32_e32 v10, 0x7fffffff, v7
	v_cmpx_gt_u32_e32 0x43800000, v10
	s_cbranch_execz .LBB32_164
; %bb.157:                              ;   in Loop: Header=BB32_124 Depth=1
	v_cmp_lt_u32_e32 vcc_lo, 0x3bffffff, v10
	s_mov_b32 s5, 0
                                        ; implicit-def: $vgpr10
	s_and_saveexec_b32 s0, vcc_lo
	s_delay_alu instid0(SALU_CYCLE_1)
	s_xor_b32 s0, exec_lo, s0
; %bb.158:                              ;   in Loop: Header=BB32_124 Depth=1
	v_bfe_u32 v0, v7, 20, 1
	s_mov_b32 s5, exec_lo
	s_delay_alu instid0(VALU_DEP_1) | instskip(NEXT) | instid1(VALU_DEP_1)
	v_add3_u32 v0, v7, v0, 0x487ffff
	v_lshrrev_b32_e32 v10, 20, v0
; %bb.159:                              ;   in Loop: Header=BB32_124 Depth=1
	s_or_saveexec_b32 s6, s0
                                        ; implicit-def: $sgpr0_sgpr1
	s_delay_alu instid0(SALU_CYCLE_1)
	s_xor_b32 exec_lo, exec_lo, s6
; %bb.160:                              ;   in Loop: Header=BB32_124 Depth=1
	v_add_f32_e64 v0, 0x46000000, |v7|
	s_and_not1_b32 s5, s5, exec_lo
	s_mov_b64 s[0:1], 0
	s_delay_alu instid0(VALU_DEP_1) | instskip(NEXT) | instid1(VALU_DEP_1)
	v_and_b32_e32 v10, 0xff, v0
	v_cmp_ne_u32_e32 vcc_lo, 0, v10
	s_and_b32 s7, vcc_lo, exec_lo
	s_delay_alu instid0(SALU_CYCLE_1)
	s_or_b32 s5, s5, s7
; %bb.161:                              ;   in Loop: Header=BB32_124 Depth=1
	s_or_b32 exec_lo, exec_lo, s6
	v_dual_mov_b32 v0, s0 :: v_dual_mov_b32 v1, s1
	s_and_saveexec_b32 s0, s5
; %bb.162:                              ;   in Loop: Header=BB32_124 Depth=1
	v_lshrrev_b32_e32 v0, 24, v7
	s_delay_alu instid0(VALU_DEP_1)
	v_and_or_b32 v0, 0x80, v0, v10
; %bb.163:                              ;   in Loop: Header=BB32_124 Depth=1
	s_or_b32 exec_lo, exec_lo, s0
.LBB32_164:                             ;   in Loop: Header=BB32_124 Depth=1
	s_delay_alu instid0(SALU_CYCLE_1) | instskip(SKIP_2) | instid1(VALU_DEP_1)
	s_or_b32 exec_lo, exec_lo, s4
	v_and_b32_e32 v1, 0xffff0000, v2
	s_mov_b32 s4, exec_lo
	v_div_scale_f32 v2, null, v18, v18, v1
	s_delay_alu instid0(VALU_DEP_1) | instskip(SKIP_2) | instid1(VALU_DEP_1)
	v_rcp_f32_e32 v7, v2
	s_waitcnt_depctr 0xfff
	v_fma_f32 v10, -v2, v7, 1.0
	v_fmac_f32_e32 v7, v10, v7
	v_div_scale_f32 v10, vcc_lo, v1, v18, v1
	s_delay_alu instid0(VALU_DEP_1) | instskip(NEXT) | instid1(VALU_DEP_1)
	v_mul_f32_e32 v13, v10, v7
	v_fma_f32 v14, -v2, v13, v10
	s_delay_alu instid0(VALU_DEP_1) | instskip(NEXT) | instid1(VALU_DEP_1)
	v_fmac_f32_e32 v13, v14, v7
	v_fma_f32 v2, -v2, v13, v10
	s_delay_alu instid0(VALU_DEP_1) | instskip(NEXT) | instid1(VALU_DEP_1)
	v_div_fmas_f32 v2, v2, v7, v13
	v_div_fixup_f32 v1, v2, v18, v1
	s_delay_alu instid0(VALU_DEP_1) | instskip(NEXT) | instid1(VALU_DEP_1)
	v_maxmin_f32 v1, v1, v16, v19
	v_and_b32_e32 v2, 0x7fffffff, v1
	s_delay_alu instid0(VALU_DEP_1)
	v_cmpx_gt_u32_e32 0x43800000, v2
	s_cbranch_execz .LBB32_172
; %bb.165:                              ;   in Loop: Header=BB32_124 Depth=1
	v_cmp_lt_u32_e32 vcc_lo, 0x3bffffff, v2
	s_mov_b32 s5, 0
                                        ; implicit-def: $vgpr2
	s_and_saveexec_b32 s0, vcc_lo
	s_delay_alu instid0(SALU_CYCLE_1)
	s_xor_b32 s0, exec_lo, s0
; %bb.166:                              ;   in Loop: Header=BB32_124 Depth=1
	v_bfe_u32 v2, v1, 20, 1
	s_mov_b32 s5, exec_lo
	s_delay_alu instid0(VALU_DEP_1) | instskip(NEXT) | instid1(VALU_DEP_1)
	v_add3_u32 v2, v1, v2, 0x487ffff
	v_lshrrev_b32_e32 v2, 20, v2
; %bb.167:                              ;   in Loop: Header=BB32_124 Depth=1
	s_or_saveexec_b32 s6, s0
                                        ; implicit-def: $sgpr0_sgpr1
	s_delay_alu instid0(SALU_CYCLE_1)
	s_xor_b32 exec_lo, exec_lo, s6
; %bb.168:                              ;   in Loop: Header=BB32_124 Depth=1
	v_add_f32_e64 v2, 0x46000000, |v1|
	s_and_not1_b32 s5, s5, exec_lo
	s_mov_b64 s[0:1], 0
	s_delay_alu instid0(VALU_DEP_1) | instskip(NEXT) | instid1(VALU_DEP_1)
	v_and_b32_e32 v2, 0xff, v2
	v_cmp_ne_u32_e32 vcc_lo, 0, v2
	s_and_b32 s7, vcc_lo, exec_lo
	s_delay_alu instid0(SALU_CYCLE_1)
	s_or_b32 s5, s5, s7
; %bb.169:                              ;   in Loop: Header=BB32_124 Depth=1
	s_or_b32 exec_lo, exec_lo, s6
	v_dual_mov_b32 v13, s1 :: v_dual_mov_b32 v12, s0
	s_and_saveexec_b32 s0, s5
; %bb.170:                              ;   in Loop: Header=BB32_124 Depth=1
	v_lshrrev_b32_e32 v1, 24, v1
	s_delay_alu instid0(VALU_DEP_1)
	v_and_or_b32 v12, 0x80, v1, v2
; %bb.171:                              ;   in Loop: Header=BB32_124 Depth=1
	s_or_b32 exec_lo, exec_lo, s0
.LBB32_172:                             ;   in Loop: Header=BB32_124 Depth=1
	s_delay_alu instid0(SALU_CYCLE_1) | instskip(SKIP_2) | instid1(VALU_DEP_1)
	s_or_b32 exec_lo, exec_lo, s4
	v_lshlrev_b32_e32 v1, 16, v3
	s_mov_b32 s4, exec_lo
	v_div_scale_f32 v2, null, v18, v18, v1
	v_div_scale_f32 v13, vcc_lo, v1, v18, v1
	s_delay_alu instid0(VALU_DEP_2) | instskip(SKIP_2) | instid1(VALU_DEP_1)
	v_rcp_f32_e32 v7, v2
	s_waitcnt_depctr 0xfff
	v_fma_f32 v10, -v2, v7, 1.0
	v_fmac_f32_e32 v7, v10, v7
	s_delay_alu instid0(VALU_DEP_1) | instskip(NEXT) | instid1(VALU_DEP_1)
	v_mul_f32_e32 v10, v13, v7
	v_fma_f32 v14, -v2, v10, v13
	s_delay_alu instid0(VALU_DEP_1) | instskip(NEXT) | instid1(VALU_DEP_1)
	v_fmac_f32_e32 v10, v14, v7
	v_fma_f32 v2, -v2, v10, v13
	s_delay_alu instid0(VALU_DEP_1) | instskip(NEXT) | instid1(VALU_DEP_1)
	v_div_fmas_f32 v2, v2, v7, v10
	v_div_fixup_f32 v1, v2, v18, v1
	s_delay_alu instid0(VALU_DEP_1) | instskip(SKIP_2) | instid1(VALU_DEP_3)
	v_maxmin_f32 v7, v1, v16, v19
	v_mov_b32_e32 v1, 0x80
	v_mov_b32_e32 v2, 0
	v_and_b32_e32 v10, 0x7fffffff, v7
	s_delay_alu instid0(VALU_DEP_2) | instskip(NEXT) | instid1(VALU_DEP_2)
	v_dual_mov_b32 v14, v2 :: v_dual_mov_b32 v13, v1
	v_cmpx_gt_u32_e32 0x43800000, v10
	s_cbranch_execz .LBB32_180
; %bb.173:                              ;   in Loop: Header=BB32_124 Depth=1
	s_mov_b32 s5, 0
	s_mov_b32 s0, exec_lo
                                        ; implicit-def: $vgpr2
	v_cmpx_lt_u32_e32 0x3bffffff, v10
	s_xor_b32 s0, exec_lo, s0
; %bb.174:                              ;   in Loop: Header=BB32_124 Depth=1
	v_bfe_u32 v2, v7, 20, 1
	s_mov_b32 s5, exec_lo
	s_delay_alu instid0(VALU_DEP_1) | instskip(NEXT) | instid1(VALU_DEP_1)
	v_add3_u32 v2, v7, v2, 0x487ffff
	v_lshrrev_b32_e32 v2, 20, v2
; %bb.175:                              ;   in Loop: Header=BB32_124 Depth=1
	s_or_saveexec_b32 s6, s0
                                        ; implicit-def: $sgpr0_sgpr1
	s_delay_alu instid0(SALU_CYCLE_1)
	s_xor_b32 exec_lo, exec_lo, s6
; %bb.176:                              ;   in Loop: Header=BB32_124 Depth=1
	v_add_f32_e64 v2, 0x46000000, |v7|
	s_and_not1_b32 s5, s5, exec_lo
	s_mov_b64 s[0:1], 0
	s_delay_alu instid0(VALU_DEP_1) | instskip(NEXT) | instid1(VALU_DEP_1)
	v_and_b32_e32 v2, 0xff, v2
	v_cmp_ne_u32_e32 vcc_lo, 0, v2
	s_and_b32 s7, vcc_lo, exec_lo
	s_delay_alu instid0(SALU_CYCLE_1)
	s_or_b32 s5, s5, s7
; %bb.177:                              ;   in Loop: Header=BB32_124 Depth=1
	s_or_b32 exec_lo, exec_lo, s6
	v_dual_mov_b32 v14, s1 :: v_dual_mov_b32 v13, s0
	s_and_saveexec_b32 s0, s5
; %bb.178:                              ;   in Loop: Header=BB32_124 Depth=1
	v_lshrrev_b32_e32 v7, 24, v7
	s_delay_alu instid0(VALU_DEP_1)
	v_and_or_b32 v13, 0x80, v7, v2
; %bb.179:                              ;   in Loop: Header=BB32_124 Depth=1
	s_or_b32 exec_lo, exec_lo, s0
.LBB32_180:                             ;   in Loop: Header=BB32_124 Depth=1
	s_delay_alu instid0(SALU_CYCLE_1) | instskip(SKIP_2) | instid1(VALU_DEP_1)
	s_or_b32 exec_lo, exec_lo, s4
	v_and_b32_e32 v2, 0xffff0000, v3
	s_mov_b32 s4, exec_lo
	v_div_scale_f32 v3, null, v18, v18, v2
	s_delay_alu instid0(VALU_DEP_1) | instskip(SKIP_2) | instid1(VALU_DEP_1)
	v_rcp_f32_e32 v7, v3
	s_waitcnt_depctr 0xfff
	v_fma_f32 v10, -v3, v7, 1.0
	v_fmac_f32_e32 v7, v10, v7
	v_div_scale_f32 v10, vcc_lo, v2, v18, v2
	s_delay_alu instid0(VALU_DEP_1) | instskip(NEXT) | instid1(VALU_DEP_1)
	v_mul_f32_e32 v14, v10, v7
	v_fma_f32 v20, -v3, v14, v10
	s_delay_alu instid0(VALU_DEP_1) | instskip(NEXT) | instid1(VALU_DEP_1)
	v_fmac_f32_e32 v14, v20, v7
	v_fma_f32 v3, -v3, v14, v10
	s_delay_alu instid0(VALU_DEP_1) | instskip(NEXT) | instid1(VALU_DEP_1)
	v_div_fmas_f32 v3, v3, v7, v14
	v_div_fixup_f32 v2, v3, v18, v2
	s_delay_alu instid0(VALU_DEP_1) | instskip(NEXT) | instid1(VALU_DEP_1)
	v_maxmin_f32 v3, v2, v16, v19
	v_and_b32_e32 v2, 0x7fffffff, v3
	s_delay_alu instid0(VALU_DEP_1)
	v_cmpx_gt_u32_e32 0x43800000, v2
	s_cbranch_execz .LBB32_123
; %bb.181:                              ;   in Loop: Header=BB32_124 Depth=1
	s_mov_b32 s5, 0
	s_mov_b32 s0, exec_lo
                                        ; implicit-def: $vgpr7
	v_cmpx_lt_u32_e32 0x3bffffff, v2
	s_xor_b32 s0, exec_lo, s0
; %bb.182:                              ;   in Loop: Header=BB32_124 Depth=1
	v_bfe_u32 v1, v3, 20, 1
	s_mov_b32 s5, exec_lo
	s_delay_alu instid0(VALU_DEP_1) | instskip(NEXT) | instid1(VALU_DEP_1)
	v_add3_u32 v1, v3, v1, 0x487ffff
	v_lshrrev_b32_e32 v7, 20, v1
; %bb.183:                              ;   in Loop: Header=BB32_124 Depth=1
	s_or_saveexec_b32 s6, s0
                                        ; implicit-def: $sgpr0_sgpr1
	s_delay_alu instid0(SALU_CYCLE_1)
	s_xor_b32 exec_lo, exec_lo, s6
; %bb.184:                              ;   in Loop: Header=BB32_124 Depth=1
	v_add_f32_e64 v1, 0x46000000, |v3|
	s_and_not1_b32 s5, s5, exec_lo
	s_mov_b64 s[0:1], 0
	s_delay_alu instid0(VALU_DEP_1) | instskip(NEXT) | instid1(VALU_DEP_1)
	v_and_b32_e32 v7, 0xff, v1
	v_cmp_ne_u32_e32 vcc_lo, 0, v7
	s_and_b32 s7, vcc_lo, exec_lo
	s_delay_alu instid0(SALU_CYCLE_1)
	s_or_b32 s5, s5, s7
; %bb.185:                              ;   in Loop: Header=BB32_124 Depth=1
	s_or_b32 exec_lo, exec_lo, s6
	v_dual_mov_b32 v2, s1 :: v_dual_mov_b32 v1, s0
	s_and_saveexec_b32 s0, s5
	s_cbranch_execz .LBB32_122
; %bb.186:                              ;   in Loop: Header=BB32_124 Depth=1
	v_lshrrev_b32_e32 v1, 24, v3
	s_delay_alu instid0(VALU_DEP_1)
	v_and_or_b32 v1, 0x80, v1, v7
	s_branch .LBB32_122
.LBB32_187:
	s_nop 0
	s_sendmsg sendmsg(MSG_DEALLOC_VGPRS)
	s_endpgm
.LBB32_188:
	v_bfe_u32 v1, v0, 20, 1
	s_mov_b32 s2, exec_lo
	s_delay_alu instid0(VALU_DEP_1) | instskip(NEXT) | instid1(VALU_DEP_1)
	v_add3_u32 v1, v0, v1, 0x487ffff
	v_lshrrev_b32_e32 v1, 20, v1
	s_or_saveexec_b32 s3, s3
                                        ; implicit-def: $sgpr4
	s_delay_alu instid0(SALU_CYCLE_1)
	s_xor_b32 exec_lo, exec_lo, s3
	s_cbranch_execz .LBB32_29
.LBB32_189:
	v_add_f32_e64 v1, 0x46000000, |v0|
	s_and_not1_b32 s2, s2, exec_lo
	s_mov_b32 s4, 0
	s_delay_alu instid0(VALU_DEP_1) | instskip(NEXT) | instid1(VALU_DEP_1)
	v_and_b32_e32 v1, 0xff, v1
	v_cmp_ne_u32_e32 vcc_lo, 0, v1
	s_and_b32 s5, vcc_lo, exec_lo
	s_delay_alu instid0(SALU_CYCLE_1)
	s_or_b32 s2, s2, s5
	s_or_b32 exec_lo, exec_lo, s3
	v_mov_b32_e32 v2, s4
	s_and_saveexec_b32 s3, s2
	s_cbranch_execnz .LBB32_30
	s_branch .LBB32_31
	.section	.rodata,"a",@progbits
	.p2align	6, 0x0
	.amdhsa_kernel _Z33per_token_group_quant_8bit_kernelIN3c108BFloat16ENS0_15Float8_e4m3fnuzELb1ELb1EfEvPKT_PvPT3_iiifffii
		.amdhsa_group_segment_fixed_size 0
		.amdhsa_private_segment_fixed_size 0
		.amdhsa_kernarg_size 56
		.amdhsa_user_sgpr_count 15
		.amdhsa_user_sgpr_dispatch_ptr 0
		.amdhsa_user_sgpr_queue_ptr 0
		.amdhsa_user_sgpr_kernarg_segment_ptr 1
		.amdhsa_user_sgpr_dispatch_id 0
		.amdhsa_user_sgpr_private_segment_size 0
		.amdhsa_wavefront_size32 1
		.amdhsa_uses_dynamic_stack 0
		.amdhsa_enable_private_segment 0
		.amdhsa_system_sgpr_workgroup_id_x 1
		.amdhsa_system_sgpr_workgroup_id_y 0
		.amdhsa_system_sgpr_workgroup_id_z 0
		.amdhsa_system_sgpr_workgroup_info 0
		.amdhsa_system_vgpr_workitem_id 0
		.amdhsa_next_free_vgpr 38
		.amdhsa_next_free_sgpr 17
		.amdhsa_reserve_vcc 1
		.amdhsa_float_round_mode_32 0
		.amdhsa_float_round_mode_16_64 0
		.amdhsa_float_denorm_mode_32 3
		.amdhsa_float_denorm_mode_16_64 3
		.amdhsa_dx10_clamp 1
		.amdhsa_ieee_mode 1
		.amdhsa_fp16_overflow 0
		.amdhsa_workgroup_processor_mode 1
		.amdhsa_memory_ordered 1
		.amdhsa_forward_progress 0
		.amdhsa_shared_vgpr_count 0
		.amdhsa_exception_fp_ieee_invalid_op 0
		.amdhsa_exception_fp_denorm_src 0
		.amdhsa_exception_fp_ieee_div_zero 0
		.amdhsa_exception_fp_ieee_overflow 0
		.amdhsa_exception_fp_ieee_underflow 0
		.amdhsa_exception_fp_ieee_inexact 0
		.amdhsa_exception_int_div_zero 0
	.end_amdhsa_kernel
	.section	.text._Z33per_token_group_quant_8bit_kernelIN3c108BFloat16ENS0_15Float8_e4m3fnuzELb1ELb1EfEvPKT_PvPT3_iiifffii,"axG",@progbits,_Z33per_token_group_quant_8bit_kernelIN3c108BFloat16ENS0_15Float8_e4m3fnuzELb1ELb1EfEvPKT_PvPT3_iiifffii,comdat
.Lfunc_end32:
	.size	_Z33per_token_group_quant_8bit_kernelIN3c108BFloat16ENS0_15Float8_e4m3fnuzELb1ELb1EfEvPKT_PvPT3_iiifffii, .Lfunc_end32-_Z33per_token_group_quant_8bit_kernelIN3c108BFloat16ENS0_15Float8_e4m3fnuzELb1ELb1EfEvPKT_PvPT3_iiifffii
                                        ; -- End function
	.section	.AMDGPU.csdata,"",@progbits
; Kernel info:
; codeLenInByte = 10144
; NumSgprs: 19
; NumVgprs: 38
; ScratchSize: 0
; MemoryBound: 0
; FloatMode: 240
; IeeeMode: 1
; LDSByteSize: 0 bytes/workgroup (compile time only)
; SGPRBlocks: 2
; VGPRBlocks: 4
; NumSGPRsForWavesPerEU: 19
; NumVGPRsForWavesPerEU: 38
; Occupancy: 16
; WaveLimiterHint : 0
; COMPUTE_PGM_RSRC2:SCRATCH_EN: 0
; COMPUTE_PGM_RSRC2:USER_SGPR: 15
; COMPUTE_PGM_RSRC2:TRAP_HANDLER: 0
; COMPUTE_PGM_RSRC2:TGID_X_EN: 1
; COMPUTE_PGM_RSRC2:TGID_Y_EN: 0
; COMPUTE_PGM_RSRC2:TGID_Z_EN: 0
; COMPUTE_PGM_RSRC2:TIDIG_COMP_CNT: 0
	.section	.text._Z33per_token_group_quant_8bit_kernelIN3c108BFloat16ENS0_15Float8_e4m3fnuzELb1ELb0EfEvPKT_PvPT3_iiifffii,"axG",@progbits,_Z33per_token_group_quant_8bit_kernelIN3c108BFloat16ENS0_15Float8_e4m3fnuzELb1ELb0EfEvPKT_PvPT3_iiifffii,comdat
	.protected	_Z33per_token_group_quant_8bit_kernelIN3c108BFloat16ENS0_15Float8_e4m3fnuzELb1ELb0EfEvPKT_PvPT3_iiifffii ; -- Begin function _Z33per_token_group_quant_8bit_kernelIN3c108BFloat16ENS0_15Float8_e4m3fnuzELb1ELb0EfEvPKT_PvPT3_iiifffii
	.globl	_Z33per_token_group_quant_8bit_kernelIN3c108BFloat16ENS0_15Float8_e4m3fnuzELb1ELb0EfEvPKT_PvPT3_iiifffii
	.p2align	8
	.type	_Z33per_token_group_quant_8bit_kernelIN3c108BFloat16ENS0_15Float8_e4m3fnuzELb1ELb0EfEvPKT_PvPT3_iiifffii,@function
_Z33per_token_group_quant_8bit_kernelIN3c108BFloat16ENS0_15Float8_e4m3fnuzELb1ELb0EfEvPKT_PvPT3_iiifffii: ; @_Z33per_token_group_quant_8bit_kernelIN3c108BFloat16ENS0_15Float8_e4m3fnuzELb1ELb0EfEvPKT_PvPT3_iiifffii
; %bb.0:
	s_clause 0x1
	s_load_b128 s[4:7], s[0:1], 0x20
	s_load_b32 s14, s[0:1], 0x18
	v_lshrrev_b32_e32 v3, 4, v0
	s_clause 0x1
	s_load_b64 s[2:3], s[0:1], 0x30
	s_load_b64 s[8:9], s[0:1], 0x0
	v_and_b32_e32 v17, 15, v0
                                        ; implicit-def: $vgpr12
	s_waitcnt lgkmcnt(0)
	s_mul_i32 s15, s15, s4
	v_mul_lo_u32 v19, v3, s14
	v_add_co_u32 v10, s4, s15, v3
	s_delay_alu instid0(VALU_DEP_1) | instskip(SKIP_1) | instid1(VALU_DEP_2)
	v_add_co_ci_u32_e64 v11, null, 0, 0, s4
	s_ashr_i32 s4, s14, 31
	v_mad_u64_u32 v[4:5], null, v10, s14, 0
	s_delay_alu instid0(VALU_DEP_2)
	v_mul_lo_u32 v1, v11, s14
	v_mul_lo_u32 v2, v10, s4
	s_and_b32 s4, s14, 7
	v_lshl_add_u32 v3, v19, 1, 0
	s_cmp_eq_u32 s4, 0
	s_cselect_b32 s15, -1, 0
	s_cmp_lg_u32 s4, 0
	s_delay_alu instid0(VALU_DEP_2) | instskip(SKIP_1) | instid1(VALU_DEP_1)
	v_add3_u32 v5, v5, v2, v1
	s_cselect_b32 s4, -1, 0
	v_lshlrev_b64 v[1:2], 1, v[4:5]
	s_delay_alu instid0(VALU_DEP_1) | instskip(SKIP_1) | instid1(VALU_DEP_3)
	v_add_co_u32 v6, vcc_lo, s8, v1
	v_mov_b32_e32 v9, 0
	v_add_co_ci_u32_e32 v7, vcc_lo, s9, v2, vcc_lo
	s_delay_alu instid0(VALU_DEP_3) | instskip(NEXT) | instid1(VALU_DEP_1)
	v_and_b32_e32 v8, 15, v6
	v_cmp_ne_u64_e32 vcc_lo, 0, v[8:9]
	s_or_b32 s4, s4, vcc_lo
	s_delay_alu instid0(SALU_CYCLE_1) | instskip(NEXT) | instid1(SALU_CYCLE_1)
	s_and_saveexec_b32 s10, s4
	s_xor_b32 s4, exec_lo, s10
	s_cbranch_execz .LBB33_12
; %bb.1:
	v_sub_nc_u32_e32 v0, 0, v6
	v_mov_b32_e32 v12, s5
	s_mov_b32 s10, exec_lo
	s_delay_alu instid0(VALU_DEP_2) | instskip(NEXT) | instid1(VALU_DEP_1)
	v_bfe_u32 v0, v0, 1, 3
	v_min_i32_e32 v8, s14, v0
	s_delay_alu instid0(VALU_DEP_1)
	v_cmpx_gt_i32_e64 v8, v17
	s_cbranch_execz .LBB33_3
; %bb.2:
	v_lshlrev_b32_e32 v0, 1, v17
	v_max_f32_e64 v9, s5, s5
	s_delay_alu instid0(VALU_DEP_2)
	v_add_co_u32 v6, vcc_lo, v6, v0
	v_add_co_ci_u32_e32 v7, vcc_lo, 0, v7, vcc_lo
	v_add_nc_u32_e32 v0, v3, v0
	global_load_u16 v6, v[6:7], off
	s_waitcnt vmcnt(0)
	v_lshlrev_b32_e32 v7, 16, v6
	ds_store_b16 v0, v6
	v_max_f32_e64 v7, |v7|, |v7|
	s_delay_alu instid0(VALU_DEP_1)
	v_max_f32_e32 v12, v9, v7
.LBB33_3:
	s_or_b32 exec_lo, exec_lo, s10
	v_sub_nc_u32_e32 v13, s14, v8
	v_ashrrev_i32_e32 v9, 31, v8
	s_mov_b32 s10, exec_lo
	s_delay_alu instid0(VALU_DEP_2) | instskip(NEXT) | instid1(VALU_DEP_2)
	v_ashrrev_i32_e32 v0, 31, v13
	v_lshlrev_b64 v[6:7], 1, v[8:9]
	s_delay_alu instid0(VALU_DEP_2) | instskip(NEXT) | instid1(VALU_DEP_1)
	v_lshrrev_b32_e32 v0, 29, v0
	v_add_nc_u32_e32 v0, v13, v0
	s_delay_alu instid0(VALU_DEP_1) | instskip(SKIP_1) | instid1(VALU_DEP_2)
	v_ashrrev_i32_e32 v14, 3, v0
	v_lshlrev_b32_e32 v0, 1, v8
	v_cmpx_gt_i32_e64 v14, v17
	s_cbranch_execz .LBB33_7
; %bb.4:
	v_lshlrev_b32_e32 v8, 4, v17
	s_mov_b32 s11, 0
	s_delay_alu instid0(VALU_DEP_1) | instskip(SKIP_2) | instid1(VALU_DEP_3)
	v_add_co_u32 v9, vcc_lo, v1, v8
	v_add_co_ci_u32_e32 v15, vcc_lo, 0, v2, vcc_lo
	v_lshl_add_u32 v8, v19, 1, v8
	v_add_co_u32 v9, vcc_lo, v9, v6
	s_delay_alu instid0(VALU_DEP_3) | instskip(NEXT) | instid1(VALU_DEP_2)
	v_add_co_ci_u32_e32 v15, vcc_lo, v15, v7, vcc_lo
	v_add_co_u32 v9, vcc_lo, v9, s8
	s_delay_alu instid0(VALU_DEP_2) | instskip(SKIP_1) | instid1(VALU_DEP_3)
	v_add_co_ci_u32_e32 v16, vcc_lo, s9, v15, vcc_lo
	v_add3_u32 v15, v8, v0, 0
	v_add_co_u32 v8, vcc_lo, v9, 8
	s_delay_alu instid0(VALU_DEP_3)
	v_add_co_ci_u32_e32 v9, vcc_lo, 0, v16, vcc_lo
	v_mov_b32_e32 v16, v17
	s_set_inst_prefetch_distance 0x1
	.p2align	6
.LBB33_5:                               ; =>This Inner Loop Header: Depth=1
	global_load_b128 v[20:23], v[8:9], off offset:-8
	v_add_nc_u32_e32 v16, 16, v16
	v_add_co_u32 v8, vcc_lo, 0x100, v8
	v_add_co_ci_u32_e32 v9, vcc_lo, 0, v9, vcc_lo
	s_delay_alu instid0(VALU_DEP_3)
	v_cmp_ge_i32_e32 vcc_lo, v16, v14
	s_or_b32 s11, vcc_lo, s11
	s_waitcnt vmcnt(0)
	v_lshlrev_b32_e32 v18, 16, v20
	v_and_b32_e32 v24, 0xffff0000, v20
	v_lshlrev_b32_e32 v25, 16, v21
	v_and_b32_e32 v26, 0xffff0000, v21
	ds_store_b128 v15, v[20:23]
	v_add_nc_u32_e32 v15, 0x100, v15
	v_max3_f32 v12, v12, |v18|, |v24|
	v_lshlrev_b32_e32 v18, 16, v22
	v_and_b32_e32 v24, 0xffff0000, v22
	s_delay_alu instid0(VALU_DEP_3) | instskip(SKIP_2) | instid1(VALU_DEP_3)
	v_max3_f32 v12, v12, |v25|, |v26|
	v_lshlrev_b32_e32 v25, 16, v23
	v_and_b32_e32 v26, 0xffff0000, v23
	v_max3_f32 v12, v12, |v18|, |v24|
	s_delay_alu instid0(VALU_DEP_1)
	v_max3_f32 v12, v12, |v25|, |v26|
	s_and_not1_b32 exec_lo, exec_lo, s11
	s_cbranch_execnz .LBB33_5
; %bb.6:
	s_set_inst_prefetch_distance 0x2
	s_or_b32 exec_lo, exec_lo, s11
.LBB33_7:
	s_delay_alu instid0(SALU_CYCLE_1) | instskip(SKIP_2) | instid1(VALU_DEP_1)
	s_or_b32 exec_lo, exec_lo, s10
	v_lshl_add_u32 v8, v14, 3, v17
	s_mov_b32 s10, exec_lo
	v_cmpx_lt_i32_e64 v8, v13
	s_cbranch_execz .LBB33_11
; %bb.8:
	v_ashrrev_i32_e32 v9, 31, v8
	v_lshlrev_b32_e32 v18, 4, v14
	v_lshlrev_b32_e32 v16, 1, v19
	v_add_co_u32 v1, vcc_lo, v1, v6
	s_delay_alu instid0(VALU_DEP_4) | instskip(SKIP_4) | instid1(VALU_DEP_4)
	v_lshlrev_b64 v[14:15], 1, v[8:9]
	v_add_co_ci_u32_e32 v2, vcc_lo, v2, v7, vcc_lo
	v_lshlrev_b32_e32 v20, 1, v17
	v_add3_u32 v0, v16, v18, v0
	s_mov_b32 s11, 0
	v_add_co_u32 v1, vcc_lo, v1, v14
	v_add_co_ci_u32_e32 v6, vcc_lo, v2, v15, vcc_lo
	s_delay_alu instid0(VALU_DEP_3) | instskip(NEXT) | instid1(VALU_DEP_3)
	v_add3_u32 v2, v0, v20, 0
	v_add_co_u32 v0, vcc_lo, s8, v1
	s_delay_alu instid0(VALU_DEP_3)
	v_add_co_ci_u32_e32 v1, vcc_lo, s9, v6, vcc_lo
	.p2align	6
.LBB33_9:                               ; =>This Inner Loop Header: Depth=1
	global_load_u16 v6, v[0:1], off
	v_add_nc_u32_e32 v8, 16, v8
	v_max_f32_e32 v7, v12, v12
	v_add_co_u32 v0, vcc_lo, v0, 32
	v_add_co_ci_u32_e32 v1, vcc_lo, 0, v1, vcc_lo
	s_delay_alu instid0(VALU_DEP_4)
	v_cmp_ge_i32_e32 vcc_lo, v8, v13
	s_or_b32 s11, vcc_lo, s11
	s_waitcnt vmcnt(0)
	v_lshlrev_b32_e32 v9, 16, v6
	ds_store_b16 v2, v6
	v_add_nc_u32_e32 v2, 32, v2
	v_max_f32_e64 v9, |v9|, |v9|
	s_delay_alu instid0(VALU_DEP_1)
	v_max_f32_e32 v12, v7, v9
	s_and_not1_b32 exec_lo, exec_lo, s11
	s_cbranch_execnz .LBB33_9
; %bb.10:
	s_or_b32 exec_lo, exec_lo, s11
.LBB33_11:
	s_delay_alu instid0(SALU_CYCLE_1)
	s_or_b32 exec_lo, exec_lo, s10
                                        ; implicit-def: $vgpr1_vgpr2
.LBB33_12:
	s_and_not1_saveexec_b32 s4, s4
	s_cbranch_execz .LBB33_18
; %bb.13:
	v_mov_b32_e32 v12, s5
	s_ashr_i32 s11, s14, 3
	s_mov_b32 s10, exec_lo
	v_cmpx_gt_i32_e64 s11, v17
	s_cbranch_execz .LBB33_17
; %bb.14:
	v_lshlrev_b32_e32 v0, 4, v17
	v_lshlrev_b32_e32 v6, 1, v19
	v_mov_b32_e32 v12, s5
	s_mov_b32 s5, 0
	s_delay_alu instid0(VALU_DEP_3) | instskip(SKIP_1) | instid1(VALU_DEP_2)
	v_add_co_u32 v1, vcc_lo, v1, v0
	v_add_co_ci_u32_e32 v2, vcc_lo, 0, v2, vcc_lo
	v_add_co_u32 v1, vcc_lo, v1, s8
	s_delay_alu instid0(VALU_DEP_2) | instskip(SKIP_1) | instid1(VALU_DEP_3)
	v_add_co_ci_u32_e32 v7, vcc_lo, s9, v2, vcc_lo
	v_add3_u32 v2, v6, v0, 0
	v_add_co_u32 v0, vcc_lo, v1, 8
	s_delay_alu instid0(VALU_DEP_3)
	v_add_co_ci_u32_e32 v1, vcc_lo, 0, v7, vcc_lo
	v_mov_b32_e32 v6, v17
	s_set_inst_prefetch_distance 0x1
	.p2align	6
.LBB33_15:                              ; =>This Inner Loop Header: Depth=1
	global_load_b128 v[13:16], v[0:1], off offset:-8
	v_add_nc_u32_e32 v6, 16, v6
	v_add_co_u32 v0, vcc_lo, 0x100, v0
	v_add_co_ci_u32_e32 v1, vcc_lo, 0, v1, vcc_lo
	s_delay_alu instid0(VALU_DEP_3)
	v_cmp_le_i32_e32 vcc_lo, s11, v6
	s_or_b32 s5, vcc_lo, s5
	s_waitcnt vmcnt(0)
	v_lshlrev_b32_e32 v7, 16, v13
	v_and_b32_e32 v8, 0xffff0000, v13
	v_lshlrev_b32_e32 v9, 16, v14
	v_and_b32_e32 v18, 0xffff0000, v14
	ds_store_b128 v2, v[13:16]
	v_add_nc_u32_e32 v2, 0x100, v2
	v_max3_f32 v7, v12, |v7|, |v8|
	v_lshlrev_b32_e32 v8, 16, v15
	v_and_b32_e32 v12, 0xffff0000, v15
	s_delay_alu instid0(VALU_DEP_3) | instskip(SKIP_2) | instid1(VALU_DEP_3)
	v_max3_f32 v7, v7, |v9|, |v18|
	v_lshlrev_b32_e32 v9, 16, v16
	v_and_b32_e32 v18, 0xffff0000, v16
	v_max3_f32 v7, v7, |v8|, |v12|
	s_delay_alu instid0(VALU_DEP_1)
	v_max3_f32 v12, v7, |v9|, |v18|
	s_and_not1_b32 exec_lo, exec_lo, s5
	s_cbranch_execnz .LBB33_15
; %bb.16:
	s_set_inst_prefetch_distance 0x2
	s_or_b32 exec_lo, exec_lo, s5
.LBB33_17:
	s_delay_alu instid0(SALU_CYCLE_1)
	s_or_b32 exec_lo, exec_lo, s10
.LBB33_18:
	s_delay_alu instid0(SALU_CYCLE_1) | instskip(SKIP_4) | instid1(VALU_DEP_2)
	s_or_b32 exec_lo, exec_lo, s4
	v_mbcnt_lo_u32_b32 v0, -1, 0
	s_load_b64 s[8:9], s[0:1], 0x8
	s_mov_b32 s16, exec_lo
	v_max_f32_e32 v7, v12, v12
	v_xor_b32_e32 v2, 8, v0
	v_and_b32_e32 v1, 16, v0
	v_xor_b32_e32 v6, 4, v0
	s_delay_alu instid0(VALU_DEP_2) | instskip(NEXT) | instid1(VALU_DEP_1)
	v_add_nc_u32_e32 v1, 16, v1
	v_cmp_lt_i32_e32 vcc_lo, v2, v1
	v_cndmask_b32_e32 v2, v0, v2, vcc_lo
	s_delay_alu instid0(VALU_DEP_4) | instskip(NEXT) | instid1(VALU_DEP_2)
	v_cmp_lt_i32_e32 vcc_lo, v6, v1
	v_lshlrev_b32_e32 v2, 2, v2
	v_cndmask_b32_e32 v6, v0, v6, vcc_lo
	ds_bpermute_b32 v2, v2, v12
	v_lshlrev_b32_e32 v6, 2, v6
	s_waitcnt lgkmcnt(0)
	v_max_f32_e32 v2, v2, v2
	s_delay_alu instid0(VALU_DEP_1) | instskip(SKIP_1) | instid1(VALU_DEP_1)
	v_max_f32_e32 v2, v7, v2
	v_xor_b32_e32 v7, 2, v0
	v_cmp_lt_i32_e32 vcc_lo, v7, v1
	v_cndmask_b32_e32 v7, v0, v7, vcc_lo
	s_delay_alu instid0(VALU_DEP_1) | instskip(SKIP_3) | instid1(VALU_DEP_1)
	v_lshlrev_b32_e32 v7, 2, v7
	ds_bpermute_b32 v6, v6, v2
	s_waitcnt lgkmcnt(0)
	v_max_f32_e32 v6, v6, v6
	v_max_f32_e32 v2, v2, v6
	ds_bpermute_b32 v6, v7, v2
	v_xor_b32_e32 v7, 1, v0
	s_delay_alu instid0(VALU_DEP_1) | instskip(SKIP_2) | instid1(VALU_DEP_1)
	v_cmp_lt_i32_e32 vcc_lo, v7, v1
	s_waitcnt lgkmcnt(0)
	v_dual_cndmask_b32 v0, v0, v7 :: v_dual_max_f32 v1, v6, v6
	v_dual_max_f32 v1, v2, v1 :: v_dual_lshlrev_b32 v0, 2, v0
	ds_bpermute_b32 v0, v0, v1
	s_waitcnt lgkmcnt(0)
	v_max_f32_e32 v0, v0, v0
	s_delay_alu instid0(VALU_DEP_1) | instskip(NEXT) | instid1(VALU_DEP_1)
	v_max_f32_e32 v0, v1, v0
	v_div_scale_f32 v1, null, s7, s7, v0
	v_div_scale_f32 v7, vcc_lo, v0, s7, v0
	s_delay_alu instid0(VALU_DEP_2) | instskip(SKIP_2) | instid1(VALU_DEP_1)
	v_rcp_f32_e32 v2, v1
	s_waitcnt_depctr 0xfff
	v_fma_f32 v6, -v1, v2, 1.0
	v_fmac_f32_e32 v2, v6, v2
	s_delay_alu instid0(VALU_DEP_1) | instskip(NEXT) | instid1(VALU_DEP_1)
	v_mul_f32_e32 v6, v7, v2
	v_fma_f32 v8, -v1, v6, v7
	s_delay_alu instid0(VALU_DEP_1) | instskip(NEXT) | instid1(VALU_DEP_1)
	v_fmac_f32_e32 v6, v8, v2
	v_fma_f32 v1, -v1, v6, v7
	s_delay_alu instid0(VALU_DEP_1) | instskip(NEXT) | instid1(VALU_DEP_1)
	v_div_fmas_f32 v1, v1, v2, v6
	v_div_fixup_f32 v18, v1, s7, v0
	v_cmpx_eq_u32_e32 0, v17
	s_cbranch_execz .LBB33_24
; %bb.19:
	s_load_b64 s[4:5], s[0:1], 0x10
	s_ashr_i32 s0, s2, 31
	v_mov_b32_e32 v0, 0
	v_or_b32_e32 v1, s0, v11
	s_mov_b32 s1, s2
	s_delay_alu instid0(VALU_DEP_1) | instskip(SKIP_1) | instid1(SALU_CYCLE_1)
	v_cmp_ne_u64_e32 vcc_lo, 0, v[0:1]
                                        ; implicit-def: $vgpr0_vgpr1
	s_and_saveexec_b32 s2, vcc_lo
	s_xor_b32 s2, exec_lo, s2
	s_cbranch_execz .LBB33_21
; %bb.20:
	s_add_u32 s12, s1, s0
	s_mov_b32 s10, s0
	s_mov_b32 s11, s0
	s_addc_u32 s13, s0, s0
	s_delay_alu instid0(SALU_CYCLE_1) | instskip(NEXT) | instid1(SALU_CYCLE_1)
	s_xor_b64 s[12:13], s[12:13], s[10:11]
	v_cvt_f32_u32_e32 v0, s12
	v_cvt_f32_u32_e32 v1, s13
	s_sub_u32 s0, 0, s12
	s_subb_u32 s11, 0, s13
	s_delay_alu instid0(VALU_DEP_1) | instskip(NEXT) | instid1(VALU_DEP_1)
	v_fmamk_f32 v0, v1, 0x4f800000, v0
	v_rcp_f32_e32 v0, v0
	s_waitcnt_depctr 0xfff
	v_mul_f32_e32 v0, 0x5f7ffffc, v0
	s_delay_alu instid0(VALU_DEP_1) | instskip(NEXT) | instid1(VALU_DEP_1)
	v_mul_f32_e32 v1, 0x2f800000, v0
	v_trunc_f32_e32 v1, v1
	s_delay_alu instid0(VALU_DEP_1) | instskip(SKIP_1) | instid1(VALU_DEP_2)
	v_fmamk_f32 v0, v1, 0xcf800000, v0
	v_cvt_u32_f32_e32 v1, v1
	v_cvt_u32_f32_e32 v0, v0
	s_delay_alu instid0(VALU_DEP_2) | instskip(NEXT) | instid1(VALU_DEP_2)
	v_mul_lo_u32 v2, s0, v1
	v_mul_hi_u32 v6, s0, v0
	v_mul_lo_u32 v7, s11, v0
	s_delay_alu instid0(VALU_DEP_2) | instskip(SKIP_1) | instid1(VALU_DEP_2)
	v_add_nc_u32_e32 v2, v6, v2
	v_mul_lo_u32 v6, s0, v0
	v_add_nc_u32_e32 v2, v2, v7
	s_delay_alu instid0(VALU_DEP_2) | instskip(NEXT) | instid1(VALU_DEP_2)
	v_mul_hi_u32 v7, v0, v6
	v_mul_lo_u32 v8, v0, v2
	v_mul_hi_u32 v9, v0, v2
	v_mul_hi_u32 v12, v1, v6
	v_mul_lo_u32 v6, v1, v6
	v_mul_hi_u32 v13, v1, v2
	v_mul_lo_u32 v2, v1, v2
	v_add_co_u32 v7, vcc_lo, v7, v8
	v_add_co_ci_u32_e32 v8, vcc_lo, 0, v9, vcc_lo
	s_delay_alu instid0(VALU_DEP_2) | instskip(NEXT) | instid1(VALU_DEP_2)
	v_add_co_u32 v6, vcc_lo, v7, v6
	v_add_co_ci_u32_e32 v6, vcc_lo, v8, v12, vcc_lo
	v_add_co_ci_u32_e32 v7, vcc_lo, 0, v13, vcc_lo
	s_delay_alu instid0(VALU_DEP_2) | instskip(NEXT) | instid1(VALU_DEP_2)
	v_add_co_u32 v2, vcc_lo, v6, v2
	v_add_co_ci_u32_e32 v6, vcc_lo, 0, v7, vcc_lo
	s_delay_alu instid0(VALU_DEP_2) | instskip(NEXT) | instid1(VALU_DEP_2)
	v_add_co_u32 v0, vcc_lo, v0, v2
	v_add_co_ci_u32_e32 v1, vcc_lo, v1, v6, vcc_lo
	s_delay_alu instid0(VALU_DEP_2) | instskip(SKIP_1) | instid1(VALU_DEP_3)
	v_mul_hi_u32 v2, s0, v0
	v_mul_lo_u32 v7, s11, v0
	v_mul_lo_u32 v6, s0, v1
	s_delay_alu instid0(VALU_DEP_1) | instskip(SKIP_1) | instid1(VALU_DEP_2)
	v_add_nc_u32_e32 v2, v2, v6
	v_mul_lo_u32 v6, s0, v0
	v_add_nc_u32_e32 v2, v2, v7
	s_delay_alu instid0(VALU_DEP_2) | instskip(NEXT) | instid1(VALU_DEP_2)
	v_mul_hi_u32 v7, v0, v6
	v_mul_lo_u32 v8, v0, v2
	v_mul_hi_u32 v9, v0, v2
	v_mul_hi_u32 v12, v1, v6
	v_mul_lo_u32 v6, v1, v6
	v_mul_hi_u32 v13, v1, v2
	v_mul_lo_u32 v2, v1, v2
	v_add_co_u32 v7, vcc_lo, v7, v8
	v_add_co_ci_u32_e32 v8, vcc_lo, 0, v9, vcc_lo
	s_delay_alu instid0(VALU_DEP_2) | instskip(NEXT) | instid1(VALU_DEP_2)
	v_add_co_u32 v6, vcc_lo, v7, v6
	v_add_co_ci_u32_e32 v6, vcc_lo, v8, v12, vcc_lo
	v_add_co_ci_u32_e32 v7, vcc_lo, 0, v13, vcc_lo
	s_delay_alu instid0(VALU_DEP_2) | instskip(NEXT) | instid1(VALU_DEP_2)
	v_add_co_u32 v2, vcc_lo, v6, v2
	v_add_co_ci_u32_e32 v6, vcc_lo, 0, v7, vcc_lo
	s_delay_alu instid0(VALU_DEP_2) | instskip(NEXT) | instid1(VALU_DEP_2)
	v_add_co_u32 v2, vcc_lo, v0, v2
	v_add_co_ci_u32_e32 v12, vcc_lo, v1, v6, vcc_lo
	s_delay_alu instid0(VALU_DEP_2) | instskip(SKIP_1) | instid1(VALU_DEP_3)
	v_mul_hi_u32 v13, v10, v2
	v_mad_u64_u32 v[6:7], null, v11, v2, 0
	v_mad_u64_u32 v[0:1], null, v10, v12, 0
	;; [unrolled: 1-line block ×3, first 2 shown]
	s_delay_alu instid0(VALU_DEP_2) | instskip(NEXT) | instid1(VALU_DEP_3)
	v_add_co_u32 v0, vcc_lo, v13, v0
	v_add_co_ci_u32_e32 v1, vcc_lo, 0, v1, vcc_lo
	s_delay_alu instid0(VALU_DEP_2) | instskip(NEXT) | instid1(VALU_DEP_2)
	v_add_co_u32 v0, vcc_lo, v0, v6
	v_add_co_ci_u32_e32 v0, vcc_lo, v1, v7, vcc_lo
	v_add_co_ci_u32_e32 v1, vcc_lo, 0, v9, vcc_lo
	s_delay_alu instid0(VALU_DEP_2) | instskip(NEXT) | instid1(VALU_DEP_2)
	v_add_co_u32 v2, vcc_lo, v0, v8
	v_add_co_ci_u32_e32 v6, vcc_lo, 0, v1, vcc_lo
	s_delay_alu instid0(VALU_DEP_2) | instskip(SKIP_1) | instid1(VALU_DEP_3)
	v_mul_lo_u32 v7, s13, v2
	v_mad_u64_u32 v[0:1], null, s12, v2, 0
	v_mul_lo_u32 v6, s12, v6
	s_delay_alu instid0(VALU_DEP_2) | instskip(NEXT) | instid1(VALU_DEP_2)
	v_sub_co_u32 v0, vcc_lo, v10, v0
	v_add3_u32 v1, v1, v6, v7
	v_add_co_u32 v7, s0, v2, 2
	s_delay_alu instid0(VALU_DEP_2) | instskip(NEXT) | instid1(VALU_DEP_1)
	v_sub_nc_u32_e32 v6, v11, v1
	v_subrev_co_ci_u32_e64 v6, s0, s13, v6, vcc_lo
	v_sub_co_u32 v8, s0, v0, s12
	v_sub_co_ci_u32_e32 v1, vcc_lo, v11, v1, vcc_lo
	s_delay_alu instid0(VALU_DEP_3) | instskip(NEXT) | instid1(VALU_DEP_3)
	v_subrev_co_ci_u32_e64 v6, s0, 0, v6, s0
	v_cmp_le_u32_e32 vcc_lo, s12, v8
	v_cndmask_b32_e64 v8, 0, -1, vcc_lo
	s_delay_alu instid0(VALU_DEP_3)
	v_cmp_le_u32_e32 vcc_lo, s13, v6
	v_cndmask_b32_e64 v9, 0, -1, vcc_lo
	v_cmp_le_u32_e32 vcc_lo, s12, v0
	v_cndmask_b32_e64 v0, 0, -1, vcc_lo
	;; [unrolled: 2-line block ×3, first 2 shown]
	v_cmp_eq_u32_e32 vcc_lo, s13, v6
	v_cndmask_b32_e32 v6, v9, v8, vcc_lo
	v_add_co_u32 v8, vcc_lo, v2, 1
	v_cmp_eq_u32_e32 vcc_lo, s13, v1
	v_cndmask_b32_e32 v0, v11, v0, vcc_lo
	s_delay_alu instid0(VALU_DEP_4) | instskip(NEXT) | instid1(VALU_DEP_4)
	v_cmp_ne_u32_e32 vcc_lo, 0, v6
	v_cndmask_b32_e32 v1, v8, v7, vcc_lo
	s_delay_alu instid0(VALU_DEP_3) | instskip(NEXT) | instid1(VALU_DEP_2)
	v_cmp_ne_u32_e32 vcc_lo, 0, v0
	v_cndmask_b32_e32 v0, v2, v1, vcc_lo
	s_delay_alu instid0(VALU_DEP_1) | instskip(NEXT) | instid1(VALU_DEP_1)
	v_xor_b32_e32 v0, s10, v0
	v_sub_co_u32 v0, vcc_lo, v0, s10
.LBB33_21:
	s_and_not1_saveexec_b32 s0, s2
	s_cbranch_execz .LBB33_23
; %bb.22:
	v_cvt_f32_u32_e32 v0, s1
	s_sub_i32 s2, 0, s1
	s_delay_alu instid0(VALU_DEP_1) | instskip(SKIP_2) | instid1(VALU_DEP_1)
	v_rcp_iflag_f32_e32 v0, v0
	s_waitcnt_depctr 0xfff
	v_mul_f32_e32 v0, 0x4f7ffffe, v0
	v_cvt_u32_f32_e32 v0, v0
	s_delay_alu instid0(VALU_DEP_1) | instskip(NEXT) | instid1(VALU_DEP_1)
	v_mul_lo_u32 v1, s2, v0
	v_mul_hi_u32 v1, v0, v1
	s_delay_alu instid0(VALU_DEP_1) | instskip(NEXT) | instid1(VALU_DEP_1)
	v_add_nc_u32_e32 v0, v0, v1
	v_mul_hi_u32 v0, v10, v0
	s_delay_alu instid0(VALU_DEP_1) | instskip(SKIP_1) | instid1(VALU_DEP_2)
	v_mul_lo_u32 v1, v0, s1
	v_add_nc_u32_e32 v2, 1, v0
	v_sub_nc_u32_e32 v1, v10, v1
	s_delay_alu instid0(VALU_DEP_1) | instskip(SKIP_1) | instid1(VALU_DEP_2)
	v_subrev_nc_u32_e32 v6, s1, v1
	v_cmp_le_u32_e32 vcc_lo, s1, v1
	v_cndmask_b32_e32 v1, v1, v6, vcc_lo
	v_cndmask_b32_e32 v0, v0, v2, vcc_lo
	s_delay_alu instid0(VALU_DEP_2) | instskip(NEXT) | instid1(VALU_DEP_2)
	v_cmp_le_u32_e32 vcc_lo, s1, v1
	v_add_nc_u32_e32 v2, 1, v0
	s_delay_alu instid0(VALU_DEP_1)
	v_cndmask_b32_e32 v0, v0, v2, vcc_lo
.LBB33_23:
	s_or_b32 exec_lo, exec_lo, s0
	s_delay_alu instid0(VALU_DEP_1) | instskip(NEXT) | instid1(VALU_DEP_1)
	v_mul_lo_u32 v1, v0, s1
	v_sub_nc_u32_e32 v6, v10, v1
	s_delay_alu instid0(VALU_DEP_1) | instskip(NEXT) | instid1(VALU_DEP_1)
	v_mad_u64_u32 v[1:2], null, v6, s3, v[0:1]
	v_ashrrev_i32_e32 v2, 31, v1
	s_delay_alu instid0(VALU_DEP_1) | instskip(SKIP_1) | instid1(VALU_DEP_1)
	v_lshlrev_b64 v[0:1], 2, v[1:2]
	s_waitcnt lgkmcnt(0)
	v_add_co_u32 v0, vcc_lo, s4, v0
	s_delay_alu instid0(VALU_DEP_2)
	v_add_co_ci_u32_e32 v1, vcc_lo, s5, v1, vcc_lo
	global_store_b32 v[0:1], v18, off
.LBB33_24:
	s_or_b32 exec_lo, exec_lo, s16
	v_dual_mov_b32 v1, 0 :: v_dual_and_b32 v0, 15, v3
	s_xor_b32 s0, s15, -1
	s_waitcnt_vscnt null, 0x0
	s_barrier
	buffer_gl0_inv
	v_cmp_ne_u64_e32 vcc_lo, 0, v[0:1]
	s_or_b32 s0, s0, vcc_lo
	s_delay_alu instid0(SALU_CYCLE_1) | instskip(NEXT) | instid1(SALU_CYCLE_1)
	s_and_saveexec_b32 s1, s0
	s_xor_b32 s10, exec_lo, s1
	s_cbranch_execz .LBB33_119
; %bb.25:
	v_sub_nc_u32_e32 v0, 0, v3
	v_add_co_u32 v24, vcc_lo, s8, v4
	v_add_co_ci_u32_e32 v25, vcc_lo, s9, v5, vcc_lo
	s_delay_alu instid0(VALU_DEP_3) | instskip(SKIP_1) | instid1(VALU_DEP_1)
	v_bfe_u32 v0, v0, 1, 3
	s_mov_b32 s0, exec_lo
	v_min_i32_e32 v21, s14, v0
	s_delay_alu instid0(VALU_DEP_1)
	v_cmpx_gt_i32_e64 v21, v17
	s_cbranch_execz .LBB33_33
; %bb.26:
	v_lshl_add_u32 v0, v17, 1, v3
	s_mov_b32 s1, exec_lo
	ds_load_u16 v0, v0
	s_waitcnt lgkmcnt(0)
	v_lshlrev_b32_e32 v0, 16, v0
	s_delay_alu instid0(VALU_DEP_1) | instskip(SKIP_1) | instid1(VALU_DEP_2)
	v_div_scale_f32 v1, null, v18, v18, v0
	v_div_scale_f32 v6, vcc_lo, v0, v18, v0
	v_rcp_f32_e32 v2, v1
	s_waitcnt_depctr 0xfff
	v_fma_f32 v3, -v1, v2, 1.0
	s_delay_alu instid0(VALU_DEP_1) | instskip(NEXT) | instid1(VALU_DEP_1)
	v_fmac_f32_e32 v2, v3, v2
	v_mul_f32_e32 v3, v6, v2
	s_delay_alu instid0(VALU_DEP_1) | instskip(NEXT) | instid1(VALU_DEP_1)
	v_fma_f32 v7, -v1, v3, v6
	v_fmac_f32_e32 v3, v7, v2
	s_delay_alu instid0(VALU_DEP_1) | instskip(NEXT) | instid1(VALU_DEP_1)
	v_fma_f32 v1, -v1, v3, v6
	v_div_fmas_f32 v1, v1, v2, v3
	v_max_f32_e64 v2, s6, s6
	v_max_f32_e64 v3, s7, s7
	s_delay_alu instid0(VALU_DEP_3) | instskip(NEXT) | instid1(VALU_DEP_1)
	v_div_fixup_f32 v0, v1, v18, v0
	v_maxmin_f32 v0, v0, v2, v3
	v_mov_b32_e32 v2, 0x80
	s_delay_alu instid0(VALU_DEP_2) | instskip(NEXT) | instid1(VALU_DEP_1)
	v_and_b32_e32 v1, 0x7fffffff, v0
	v_cmpx_gt_u32_e32 0x43800000, v1
	s_cbranch_execz .LBB33_32
; %bb.27:
	v_cmp_lt_u32_e32 vcc_lo, 0x3bffffff, v1
	s_mov_b32 s2, 0
                                        ; implicit-def: $vgpr1
	s_and_saveexec_b32 s3, vcc_lo
	s_delay_alu instid0(SALU_CYCLE_1)
	s_xor_b32 s3, exec_lo, s3
	s_cbranch_execnz .LBB33_188
; %bb.28:
	s_or_saveexec_b32 s3, s3
                                        ; implicit-def: $sgpr4
	s_delay_alu instid0(SALU_CYCLE_1)
	s_xor_b32 exec_lo, exec_lo, s3
	s_cbranch_execnz .LBB33_189
.LBB33_29:
	s_or_b32 exec_lo, exec_lo, s3
	v_mov_b32_e32 v2, s4
	s_and_saveexec_b32 s3, s2
.LBB33_30:
	v_lshrrev_b32_e32 v0, 24, v0
	s_delay_alu instid0(VALU_DEP_1)
	v_and_or_b32 v2, 0x80, v0, v1
.LBB33_31:
	s_or_b32 exec_lo, exec_lo, s3
.LBB33_32:
	s_delay_alu instid0(SALU_CYCLE_1)
	s_or_b32 exec_lo, exec_lo, s1
	v_add_co_u32 v0, vcc_lo, v24, v17
	v_add_co_ci_u32_e32 v1, vcc_lo, 0, v25, vcc_lo
	global_store_b8 v[0:1], v2, off
.LBB33_33:
	s_or_b32 exec_lo, exec_lo, s0
	v_sub_nc_u32_e32 v20, s14, v21
	v_ashrrev_i32_e32 v22, 31, v21
	v_lshlrev_b32_e32 v23, 1, v21
	s_mov_b32 s2, exec_lo
	s_delay_alu instid0(VALU_DEP_3) | instskip(NEXT) | instid1(VALU_DEP_1)
	v_ashrrev_i32_e32 v0, 31, v20
	v_lshrrev_b32_e32 v0, 29, v0
	s_delay_alu instid0(VALU_DEP_1) | instskip(NEXT) | instid1(VALU_DEP_1)
	v_add_nc_u32_e32 v0, v20, v0
	v_ashrrev_i32_e32 v26, 3, v0
	s_delay_alu instid0(VALU_DEP_1)
	v_cmpx_gt_i32_e64 v26, v17
	s_cbranch_execz .LBB33_100
; %bb.34:
	v_lshlrev_b32_e32 v0, 4, v17
	v_dual_mov_b32 v30, v17 :: v_dual_lshlrev_b32 v1, 3, v17
	v_add_co_u32 v2, vcc_lo, v21, v4
	v_add_co_ci_u32_e32 v3, vcc_lo, v22, v5, vcc_lo
	s_delay_alu instid0(VALU_DEP_4) | instskip(SKIP_1) | instid1(VALU_DEP_4)
	v_lshl_add_u32 v0, v19, 1, v0
	v_lshlrev_b32_e32 v6, 1, v21
	v_add_co_u32 v1, vcc_lo, v2, v1
	s_delay_alu instid0(VALU_DEP_4) | instskip(NEXT) | instid1(VALU_DEP_3)
	v_add_co_ci_u32_e32 v2, vcc_lo, 0, v3, vcc_lo
	v_add3_u32 v27, v0, v6, 0
	s_delay_alu instid0(VALU_DEP_3) | instskip(NEXT) | instid1(VALU_DEP_3)
	v_add_co_u32 v6, vcc_lo, s8, v1
	v_add_co_ci_u32_e32 v7, vcc_lo, s9, v2, vcc_lo
	v_max_f32_e64 v28, s6, s6
	v_max_f32_e64 v29, s7, s7
	s_mov_b32 s3, 0
	s_branch .LBB33_37
.LBB33_35:                              ;   in Loop: Header=BB33_37 Depth=1
	s_or_b32 exec_lo, exec_lo, s0
.LBB33_36:                              ;   in Loop: Header=BB33_37 Depth=1
	s_delay_alu instid0(SALU_CYCLE_1)
	s_or_b32 exec_lo, exec_lo, s4
	v_lshlrev_b32_e32 v2, 16, v15
	v_lshlrev_b32_e32 v3, 16, v13
	;; [unrolled: 1-line block ×5, first 2 shown]
	v_and_b32_e32 v2, 0xff0000, v2
	v_perm_b32 v3, v11, v3, 0x4020c0c
	v_and_b32_e32 v0, 0xff, v0
	v_and_b32_e32 v10, 0xff, v10
	;; [unrolled: 1-line block ×3, first 2 shown]
	v_or_b32_e32 v1, v1, v2
	v_and_or_b32 v2, 0xff00, v8, v3
	v_add_nc_u32_e32 v30, 16, v30
	v_add_nc_u32_e32 v27, 0x100, v27
	s_delay_alu instid0(VALU_DEP_4) | instskip(NEXT) | instid1(VALU_DEP_4)
	v_or3_b32 v1, v1, v9, v0
	v_or_b32_e32 v0, v2, v10
	s_delay_alu instid0(VALU_DEP_4) | instskip(SKIP_2) | instid1(VALU_DEP_1)
	v_cmp_ge_i32_e32 vcc_lo, v30, v26
	global_store_b64 v[6:7], v[0:1], off
	v_add_co_u32 v6, s0, 0x80, v6
	v_add_co_ci_u32_e64 v7, s0, 0, v7, s0
	s_or_b32 s3, vcc_lo, s3
	s_delay_alu instid0(SALU_CYCLE_1)
	s_and_not1_b32 exec_lo, exec_lo, s3
	s_cbranch_execz .LBB33_100
.LBB33_37:                              ; =>This Inner Loop Header: Depth=1
	ds_load_b128 v[0:3], v27
	s_mov_b32 s4, exec_lo
	s_waitcnt lgkmcnt(0)
	v_lshlrev_b32_e32 v8, 16, v0
	s_delay_alu instid0(VALU_DEP_1) | instskip(SKIP_1) | instid1(VALU_DEP_2)
	v_div_scale_f32 v9, null, v18, v18, v8
	v_div_scale_f32 v12, vcc_lo, v8, v18, v8
	v_rcp_f32_e32 v10, v9
	s_waitcnt_depctr 0xfff
	v_fma_f32 v11, -v9, v10, 1.0
	s_delay_alu instid0(VALU_DEP_1) | instskip(NEXT) | instid1(VALU_DEP_1)
	v_fmac_f32_e32 v10, v11, v10
	v_mul_f32_e32 v11, v12, v10
	s_delay_alu instid0(VALU_DEP_1) | instskip(NEXT) | instid1(VALU_DEP_1)
	v_fma_f32 v13, -v9, v11, v12
	v_fmac_f32_e32 v11, v13, v10
	s_delay_alu instid0(VALU_DEP_1) | instskip(NEXT) | instid1(VALU_DEP_1)
	v_fma_f32 v9, -v9, v11, v12
	v_div_fmas_f32 v9, v9, v10, v11
	s_delay_alu instid0(VALU_DEP_1) | instskip(NEXT) | instid1(VALU_DEP_1)
	v_div_fixup_f32 v8, v9, v18, v8
	v_maxmin_f32 v12, v8, v28, v29
	v_mov_b32_e32 v8, 0x80
	v_mov_b32_e32 v9, 0
	s_delay_alu instid0(VALU_DEP_3) | instskip(NEXT) | instid1(VALU_DEP_2)
	v_and_b32_e32 v13, 0x7fffffff, v12
	v_dual_mov_b32 v11, v9 :: v_dual_mov_b32 v10, v8
	s_delay_alu instid0(VALU_DEP_2)
	v_cmpx_gt_u32_e32 0x43800000, v13
	s_cbranch_execz .LBB33_45
; %bb.38:                               ;   in Loop: Header=BB33_37 Depth=1
	s_mov_b32 s5, 0
	s_mov_b32 s0, exec_lo
                                        ; implicit-def: $vgpr9
	v_cmpx_lt_u32_e32 0x3bffffff, v13
	s_xor_b32 s0, exec_lo, s0
; %bb.39:                               ;   in Loop: Header=BB33_37 Depth=1
	v_bfe_u32 v9, v12, 20, 1
	s_mov_b32 s5, exec_lo
	s_delay_alu instid0(VALU_DEP_1) | instskip(NEXT) | instid1(VALU_DEP_1)
	v_add3_u32 v9, v12, v9, 0x487ffff
	v_lshrrev_b32_e32 v9, 20, v9
; %bb.40:                               ;   in Loop: Header=BB33_37 Depth=1
	s_or_saveexec_b32 s11, s0
                                        ; implicit-def: $sgpr0_sgpr1
	s_delay_alu instid0(SALU_CYCLE_1)
	s_xor_b32 exec_lo, exec_lo, s11
; %bb.41:                               ;   in Loop: Header=BB33_37 Depth=1
	v_add_f32_e64 v9, 0x46000000, |v12|
	s_and_not1_b32 s5, s5, exec_lo
	s_mov_b64 s[0:1], 0
	s_delay_alu instid0(VALU_DEP_1) | instskip(NEXT) | instid1(VALU_DEP_1)
	v_and_b32_e32 v9, 0xff, v9
	v_cmp_ne_u32_e32 vcc_lo, 0, v9
	s_and_b32 s12, vcc_lo, exec_lo
	s_delay_alu instid0(SALU_CYCLE_1)
	s_or_b32 s5, s5, s12
; %bb.42:                               ;   in Loop: Header=BB33_37 Depth=1
	s_or_b32 exec_lo, exec_lo, s11
	v_dual_mov_b32 v11, s1 :: v_dual_mov_b32 v10, s0
	s_and_saveexec_b32 s0, s5
; %bb.43:                               ;   in Loop: Header=BB33_37 Depth=1
	v_lshrrev_b32_e32 v10, 24, v12
	s_delay_alu instid0(VALU_DEP_1)
	v_and_or_b32 v10, 0x80, v10, v9
; %bb.44:                               ;   in Loop: Header=BB33_37 Depth=1
	s_or_b32 exec_lo, exec_lo, s0
.LBB33_45:                              ;   in Loop: Header=BB33_37 Depth=1
	s_delay_alu instid0(SALU_CYCLE_1) | instskip(SKIP_2) | instid1(VALU_DEP_1)
	s_or_b32 exec_lo, exec_lo, s4
	v_and_b32_e32 v0, 0xffff0000, v0
	s_mov_b32 s4, exec_lo
	v_div_scale_f32 v9, null, v18, v18, v0
	s_delay_alu instid0(VALU_DEP_1) | instskip(SKIP_2) | instid1(VALU_DEP_1)
	v_rcp_f32_e32 v11, v9
	s_waitcnt_depctr 0xfff
	v_fma_f32 v12, -v9, v11, 1.0
	v_fmac_f32_e32 v11, v12, v11
	v_div_scale_f32 v12, vcc_lo, v0, v18, v0
	s_delay_alu instid0(VALU_DEP_1) | instskip(NEXT) | instid1(VALU_DEP_1)
	v_mul_f32_e32 v13, v12, v11
	v_fma_f32 v14, -v9, v13, v12
	s_delay_alu instid0(VALU_DEP_1) | instskip(NEXT) | instid1(VALU_DEP_1)
	v_fmac_f32_e32 v13, v14, v11
	v_fma_f32 v9, -v9, v13, v12
	s_delay_alu instid0(VALU_DEP_1) | instskip(NEXT) | instid1(VALU_DEP_1)
	v_div_fmas_f32 v9, v9, v11, v13
	v_div_fixup_f32 v0, v9, v18, v0
	s_delay_alu instid0(VALU_DEP_1) | instskip(NEXT) | instid1(VALU_DEP_1)
	v_maxmin_f32 v0, v0, v28, v29
	v_and_b32_e32 v9, 0x7fffffff, v0
	s_delay_alu instid0(VALU_DEP_1)
	v_cmpx_gt_u32_e32 0x43800000, v9
	s_cbranch_execz .LBB33_53
; %bb.46:                               ;   in Loop: Header=BB33_37 Depth=1
	s_mov_b32 s5, 0
	s_mov_b32 s0, exec_lo
                                        ; implicit-def: $vgpr11
	v_cmpx_lt_u32_e32 0x3bffffff, v9
	s_xor_b32 s0, exec_lo, s0
; %bb.47:                               ;   in Loop: Header=BB33_37 Depth=1
	v_bfe_u32 v8, v0, 20, 1
	s_mov_b32 s5, exec_lo
	s_delay_alu instid0(VALU_DEP_1) | instskip(NEXT) | instid1(VALU_DEP_1)
	v_add3_u32 v8, v0, v8, 0x487ffff
	v_lshrrev_b32_e32 v11, 20, v8
; %bb.48:                               ;   in Loop: Header=BB33_37 Depth=1
	s_or_saveexec_b32 s11, s0
                                        ; implicit-def: $sgpr0_sgpr1
	s_delay_alu instid0(SALU_CYCLE_1)
	s_xor_b32 exec_lo, exec_lo, s11
; %bb.49:                               ;   in Loop: Header=BB33_37 Depth=1
	v_add_f32_e64 v8, 0x46000000, |v0|
	s_and_not1_b32 s5, s5, exec_lo
	s_mov_b64 s[0:1], 0
	s_delay_alu instid0(VALU_DEP_1) | instskip(NEXT) | instid1(VALU_DEP_1)
	v_and_b32_e32 v11, 0xff, v8
	v_cmp_ne_u32_e32 vcc_lo, 0, v11
	s_and_b32 s12, vcc_lo, exec_lo
	s_delay_alu instid0(SALU_CYCLE_1)
	s_or_b32 s5, s5, s12
; %bb.50:                               ;   in Loop: Header=BB33_37 Depth=1
	s_or_b32 exec_lo, exec_lo, s11
	v_dual_mov_b32 v9, s1 :: v_dual_mov_b32 v8, s0
	s_and_saveexec_b32 s0, s5
; %bb.51:                               ;   in Loop: Header=BB33_37 Depth=1
	v_lshrrev_b32_e32 v0, 24, v0
	s_delay_alu instid0(VALU_DEP_1)
	v_and_or_b32 v8, 0x80, v0, v11
; %bb.52:                               ;   in Loop: Header=BB33_37 Depth=1
	s_or_b32 exec_lo, exec_lo, s0
.LBB33_53:                              ;   in Loop: Header=BB33_37 Depth=1
	s_delay_alu instid0(SALU_CYCLE_1) | instskip(SKIP_2) | instid1(VALU_DEP_1)
	s_or_b32 exec_lo, exec_lo, s4
	v_lshlrev_b32_e32 v0, 16, v1
	s_mov_b32 s4, exec_lo
	v_div_scale_f32 v9, null, v18, v18, v0
	s_delay_alu instid0(VALU_DEP_1) | instskip(SKIP_2) | instid1(VALU_DEP_1)
	v_rcp_f32_e32 v11, v9
	s_waitcnt_depctr 0xfff
	v_fma_f32 v12, -v9, v11, 1.0
	v_fmac_f32_e32 v11, v12, v11
	v_div_scale_f32 v13, vcc_lo, v0, v18, v0
	s_delay_alu instid0(VALU_DEP_1) | instskip(NEXT) | instid1(VALU_DEP_1)
	v_mul_f32_e32 v12, v13, v11
	v_fma_f32 v14, -v9, v12, v13
	s_delay_alu instid0(VALU_DEP_1) | instskip(NEXT) | instid1(VALU_DEP_1)
	v_fmac_f32_e32 v12, v14, v11
	v_fma_f32 v9, -v9, v12, v13
	s_delay_alu instid0(VALU_DEP_1) | instskip(SKIP_2) | instid1(VALU_DEP_3)
	v_div_fmas_f32 v9, v9, v11, v12
	v_mov_b32_e32 v11, 0x80
	v_mov_b32_e32 v12, 0
	v_div_fixup_f32 v0, v9, v18, v0
	s_delay_alu instid0(VALU_DEP_2) | instskip(NEXT) | instid1(VALU_DEP_2)
	v_dual_mov_b32 v14, v12 :: v_dual_mov_b32 v13, v11
	v_maxmin_f32 v0, v0, v28, v29
	s_delay_alu instid0(VALU_DEP_1) | instskip(NEXT) | instid1(VALU_DEP_1)
	v_and_b32_e32 v9, 0x7fffffff, v0
	v_cmpx_gt_u32_e32 0x43800000, v9
	s_cbranch_execz .LBB33_61
; %bb.54:                               ;   in Loop: Header=BB33_37 Depth=1
	v_cmp_lt_u32_e32 vcc_lo, 0x3bffffff, v9
	s_mov_b32 s5, 0
                                        ; implicit-def: $vgpr9
	s_and_saveexec_b32 s0, vcc_lo
	s_delay_alu instid0(SALU_CYCLE_1)
	s_xor_b32 s0, exec_lo, s0
; %bb.55:                               ;   in Loop: Header=BB33_37 Depth=1
	v_bfe_u32 v9, v0, 20, 1
	s_mov_b32 s5, exec_lo
	s_delay_alu instid0(VALU_DEP_1) | instskip(NEXT) | instid1(VALU_DEP_1)
	v_add3_u32 v9, v0, v9, 0x487ffff
	v_lshrrev_b32_e32 v9, 20, v9
; %bb.56:                               ;   in Loop: Header=BB33_37 Depth=1
	s_or_saveexec_b32 s11, s0
                                        ; implicit-def: $sgpr0_sgpr1
	s_delay_alu instid0(SALU_CYCLE_1)
	s_xor_b32 exec_lo, exec_lo, s11
; %bb.57:                               ;   in Loop: Header=BB33_37 Depth=1
	v_add_f32_e64 v9, 0x46000000, |v0|
	s_and_not1_b32 s5, s5, exec_lo
	s_mov_b64 s[0:1], 0
	s_delay_alu instid0(VALU_DEP_1) | instskip(NEXT) | instid1(VALU_DEP_1)
	v_and_b32_e32 v9, 0xff, v9
	v_cmp_ne_u32_e32 vcc_lo, 0, v9
	s_and_b32 s12, vcc_lo, exec_lo
	s_delay_alu instid0(SALU_CYCLE_1)
	s_or_b32 s5, s5, s12
; %bb.58:                               ;   in Loop: Header=BB33_37 Depth=1
	s_or_b32 exec_lo, exec_lo, s11
	v_dual_mov_b32 v14, s1 :: v_dual_mov_b32 v13, s0
	s_and_saveexec_b32 s0, s5
; %bb.59:                               ;   in Loop: Header=BB33_37 Depth=1
	v_lshrrev_b32_e32 v0, 24, v0
	s_delay_alu instid0(VALU_DEP_1)
	v_and_or_b32 v13, 0x80, v0, v9
; %bb.60:                               ;   in Loop: Header=BB33_37 Depth=1
	s_or_b32 exec_lo, exec_lo, s0
.LBB33_61:                              ;   in Loop: Header=BB33_37 Depth=1
	s_delay_alu instid0(SALU_CYCLE_1) | instskip(SKIP_2) | instid1(VALU_DEP_1)
	s_or_b32 exec_lo, exec_lo, s4
	v_and_b32_e32 v0, 0xffff0000, v1
	s_mov_b32 s4, exec_lo
	v_div_scale_f32 v1, null, v18, v18, v0
	s_delay_alu instid0(VALU_DEP_1) | instskip(SKIP_2) | instid1(VALU_DEP_1)
	v_rcp_f32_e32 v9, v1
	s_waitcnt_depctr 0xfff
	v_fma_f32 v12, -v1, v9, 1.0
	v_fmac_f32_e32 v9, v12, v9
	v_div_scale_f32 v12, vcc_lo, v0, v18, v0
	s_delay_alu instid0(VALU_DEP_1) | instskip(NEXT) | instid1(VALU_DEP_1)
	v_mul_f32_e32 v14, v12, v9
	v_fma_f32 v15, -v1, v14, v12
	s_delay_alu instid0(VALU_DEP_1) | instskip(NEXT) | instid1(VALU_DEP_1)
	v_fmac_f32_e32 v14, v15, v9
	v_fma_f32 v1, -v1, v14, v12
	s_delay_alu instid0(VALU_DEP_1) | instskip(NEXT) | instid1(VALU_DEP_1)
	v_div_fmas_f32 v1, v1, v9, v14
	v_div_fixup_f32 v0, v1, v18, v0
	s_delay_alu instid0(VALU_DEP_1) | instskip(NEXT) | instid1(VALU_DEP_1)
	v_maxmin_f32 v0, v0, v28, v29
	v_and_b32_e32 v1, 0x7fffffff, v0
	s_delay_alu instid0(VALU_DEP_1)
	v_cmpx_gt_u32_e32 0x43800000, v1
	s_cbranch_execz .LBB33_69
; %bb.62:                               ;   in Loop: Header=BB33_37 Depth=1
	v_cmp_lt_u32_e32 vcc_lo, 0x3bffffff, v1
	s_mov_b32 s5, 0
                                        ; implicit-def: $vgpr1
	s_and_saveexec_b32 s0, vcc_lo
	s_delay_alu instid0(SALU_CYCLE_1)
	s_xor_b32 s0, exec_lo, s0
; %bb.63:                               ;   in Loop: Header=BB33_37 Depth=1
	v_bfe_u32 v1, v0, 20, 1
	s_mov_b32 s5, exec_lo
	s_delay_alu instid0(VALU_DEP_1) | instskip(NEXT) | instid1(VALU_DEP_1)
	v_add3_u32 v1, v0, v1, 0x487ffff
	v_lshrrev_b32_e32 v1, 20, v1
; %bb.64:                               ;   in Loop: Header=BB33_37 Depth=1
	s_or_saveexec_b32 s11, s0
                                        ; implicit-def: $sgpr0_sgpr1
	s_delay_alu instid0(SALU_CYCLE_1)
	s_xor_b32 exec_lo, exec_lo, s11
; %bb.65:                               ;   in Loop: Header=BB33_37 Depth=1
	v_add_f32_e64 v1, 0x46000000, |v0|
	s_and_not1_b32 s5, s5, exec_lo
	s_mov_b64 s[0:1], 0
	s_delay_alu instid0(VALU_DEP_1) | instskip(NEXT) | instid1(VALU_DEP_1)
	v_and_b32_e32 v1, 0xff, v1
	v_cmp_ne_u32_e32 vcc_lo, 0, v1
	s_and_b32 s12, vcc_lo, exec_lo
	s_delay_alu instid0(SALU_CYCLE_1)
	s_or_b32 s5, s5, s12
; %bb.66:                               ;   in Loop: Header=BB33_37 Depth=1
	s_or_b32 exec_lo, exec_lo, s11
	v_dual_mov_b32 v12, s1 :: v_dual_mov_b32 v11, s0
	s_and_saveexec_b32 s0, s5
; %bb.67:                               ;   in Loop: Header=BB33_37 Depth=1
	v_lshrrev_b32_e32 v0, 24, v0
	s_delay_alu instid0(VALU_DEP_1)
	v_and_or_b32 v11, 0x80, v0, v1
; %bb.68:                               ;   in Loop: Header=BB33_37 Depth=1
	s_or_b32 exec_lo, exec_lo, s0
.LBB33_69:                              ;   in Loop: Header=BB33_37 Depth=1
	s_delay_alu instid0(SALU_CYCLE_1) | instskip(SKIP_2) | instid1(VALU_DEP_1)
	s_or_b32 exec_lo, exec_lo, s4
	v_lshlrev_b32_e32 v0, 16, v2
	s_mov_b32 s4, exec_lo
	v_div_scale_f32 v1, null, v18, v18, v0
	s_delay_alu instid0(VALU_DEP_1) | instskip(SKIP_2) | instid1(VALU_DEP_1)
	v_rcp_f32_e32 v9, v1
	s_waitcnt_depctr 0xfff
	v_fma_f32 v12, -v1, v9, 1.0
	v_fmac_f32_e32 v9, v12, v9
	v_div_scale_f32 v14, vcc_lo, v0, v18, v0
	s_delay_alu instid0(VALU_DEP_1) | instskip(NEXT) | instid1(VALU_DEP_1)
	v_mul_f32_e32 v12, v14, v9
	v_fma_f32 v15, -v1, v12, v14
	s_delay_alu instid0(VALU_DEP_1) | instskip(NEXT) | instid1(VALU_DEP_1)
	v_fmac_f32_e32 v12, v15, v9
	v_fma_f32 v1, -v1, v12, v14
	v_mov_b32_e32 v14, 0x80
	v_mov_b32_e32 v15, 0
	s_delay_alu instid0(VALU_DEP_3) | instskip(NEXT) | instid1(VALU_DEP_1)
	v_div_fmas_f32 v1, v1, v9, v12
	v_div_fixup_f32 v0, v1, v18, v0
	s_delay_alu instid0(VALU_DEP_1) | instskip(NEXT) | instid1(VALU_DEP_4)
	v_maxmin_f32 v9, v0, v28, v29
	v_dual_mov_b32 v0, v14 :: v_dual_mov_b32 v1, v15
	s_delay_alu instid0(VALU_DEP_2) | instskip(NEXT) | instid1(VALU_DEP_1)
	v_and_b32_e32 v12, 0x7fffffff, v9
	v_cmpx_gt_u32_e32 0x43800000, v12
	s_cbranch_execz .LBB33_77
; %bb.70:                               ;   in Loop: Header=BB33_37 Depth=1
	v_cmp_lt_u32_e32 vcc_lo, 0x3bffffff, v12
	s_mov_b32 s5, 0
                                        ; implicit-def: $vgpr12
	s_and_saveexec_b32 s0, vcc_lo
	s_delay_alu instid0(SALU_CYCLE_1)
	s_xor_b32 s0, exec_lo, s0
; %bb.71:                               ;   in Loop: Header=BB33_37 Depth=1
	v_bfe_u32 v0, v9, 20, 1
	s_mov_b32 s5, exec_lo
	s_delay_alu instid0(VALU_DEP_1) | instskip(NEXT) | instid1(VALU_DEP_1)
	v_add3_u32 v0, v9, v0, 0x487ffff
	v_lshrrev_b32_e32 v12, 20, v0
; %bb.72:                               ;   in Loop: Header=BB33_37 Depth=1
	s_or_saveexec_b32 s11, s0
                                        ; implicit-def: $sgpr0_sgpr1
	s_delay_alu instid0(SALU_CYCLE_1)
	s_xor_b32 exec_lo, exec_lo, s11
; %bb.73:                               ;   in Loop: Header=BB33_37 Depth=1
	v_add_f32_e64 v0, 0x46000000, |v9|
	s_and_not1_b32 s5, s5, exec_lo
	s_mov_b64 s[0:1], 0
	s_delay_alu instid0(VALU_DEP_1) | instskip(NEXT) | instid1(VALU_DEP_1)
	v_and_b32_e32 v12, 0xff, v0
	v_cmp_ne_u32_e32 vcc_lo, 0, v12
	s_and_b32 s12, vcc_lo, exec_lo
	s_delay_alu instid0(SALU_CYCLE_1)
	s_or_b32 s5, s5, s12
; %bb.74:                               ;   in Loop: Header=BB33_37 Depth=1
	s_or_b32 exec_lo, exec_lo, s11
	v_dual_mov_b32 v0, s0 :: v_dual_mov_b32 v1, s1
	s_and_saveexec_b32 s0, s5
; %bb.75:                               ;   in Loop: Header=BB33_37 Depth=1
	v_lshrrev_b32_e32 v0, 24, v9
	s_delay_alu instid0(VALU_DEP_1)
	v_and_or_b32 v0, 0x80, v0, v12
; %bb.76:                               ;   in Loop: Header=BB33_37 Depth=1
	s_or_b32 exec_lo, exec_lo, s0
.LBB33_77:                              ;   in Loop: Header=BB33_37 Depth=1
	s_delay_alu instid0(SALU_CYCLE_1) | instskip(SKIP_2) | instid1(VALU_DEP_1)
	s_or_b32 exec_lo, exec_lo, s4
	v_and_b32_e32 v1, 0xffff0000, v2
	s_mov_b32 s4, exec_lo
	v_div_scale_f32 v2, null, v18, v18, v1
	s_delay_alu instid0(VALU_DEP_1) | instskip(SKIP_2) | instid1(VALU_DEP_1)
	v_rcp_f32_e32 v9, v2
	s_waitcnt_depctr 0xfff
	v_fma_f32 v12, -v2, v9, 1.0
	v_fmac_f32_e32 v9, v12, v9
	v_div_scale_f32 v12, vcc_lo, v1, v18, v1
	s_delay_alu instid0(VALU_DEP_1) | instskip(NEXT) | instid1(VALU_DEP_1)
	v_mul_f32_e32 v15, v12, v9
	v_fma_f32 v16, -v2, v15, v12
	s_delay_alu instid0(VALU_DEP_1) | instskip(NEXT) | instid1(VALU_DEP_1)
	v_fmac_f32_e32 v15, v16, v9
	v_fma_f32 v2, -v2, v15, v12
	s_delay_alu instid0(VALU_DEP_1) | instskip(NEXT) | instid1(VALU_DEP_1)
	v_div_fmas_f32 v2, v2, v9, v15
	v_div_fixup_f32 v1, v2, v18, v1
	s_delay_alu instid0(VALU_DEP_1) | instskip(NEXT) | instid1(VALU_DEP_1)
	v_maxmin_f32 v1, v1, v28, v29
	v_and_b32_e32 v2, 0x7fffffff, v1
	s_delay_alu instid0(VALU_DEP_1)
	v_cmpx_gt_u32_e32 0x43800000, v2
	s_cbranch_execz .LBB33_85
; %bb.78:                               ;   in Loop: Header=BB33_37 Depth=1
	v_cmp_lt_u32_e32 vcc_lo, 0x3bffffff, v2
	s_mov_b32 s5, 0
                                        ; implicit-def: $vgpr2
	s_and_saveexec_b32 s0, vcc_lo
	s_delay_alu instid0(SALU_CYCLE_1)
	s_xor_b32 s0, exec_lo, s0
; %bb.79:                               ;   in Loop: Header=BB33_37 Depth=1
	v_bfe_u32 v2, v1, 20, 1
	s_mov_b32 s5, exec_lo
	s_delay_alu instid0(VALU_DEP_1) | instskip(NEXT) | instid1(VALU_DEP_1)
	v_add3_u32 v2, v1, v2, 0x487ffff
	v_lshrrev_b32_e32 v2, 20, v2
; %bb.80:                               ;   in Loop: Header=BB33_37 Depth=1
	s_or_saveexec_b32 s11, s0
                                        ; implicit-def: $sgpr0_sgpr1
	s_delay_alu instid0(SALU_CYCLE_1)
	s_xor_b32 exec_lo, exec_lo, s11
; %bb.81:                               ;   in Loop: Header=BB33_37 Depth=1
	v_add_f32_e64 v2, 0x46000000, |v1|
	s_and_not1_b32 s5, s5, exec_lo
	s_mov_b64 s[0:1], 0
	s_delay_alu instid0(VALU_DEP_1) | instskip(NEXT) | instid1(VALU_DEP_1)
	v_and_b32_e32 v2, 0xff, v2
	v_cmp_ne_u32_e32 vcc_lo, 0, v2
	s_and_b32 s12, vcc_lo, exec_lo
	s_delay_alu instid0(SALU_CYCLE_1)
	s_or_b32 s5, s5, s12
; %bb.82:                               ;   in Loop: Header=BB33_37 Depth=1
	s_or_b32 exec_lo, exec_lo, s11
	v_dual_mov_b32 v15, s1 :: v_dual_mov_b32 v14, s0
	s_and_saveexec_b32 s0, s5
; %bb.83:                               ;   in Loop: Header=BB33_37 Depth=1
	v_lshrrev_b32_e32 v1, 24, v1
	s_delay_alu instid0(VALU_DEP_1)
	v_and_or_b32 v14, 0x80, v1, v2
; %bb.84:                               ;   in Loop: Header=BB33_37 Depth=1
	s_or_b32 exec_lo, exec_lo, s0
.LBB33_85:                              ;   in Loop: Header=BB33_37 Depth=1
	s_delay_alu instid0(SALU_CYCLE_1) | instskip(SKIP_2) | instid1(VALU_DEP_1)
	s_or_b32 exec_lo, exec_lo, s4
	v_lshlrev_b32_e32 v1, 16, v3
	s_mov_b32 s4, exec_lo
	v_div_scale_f32 v2, null, v18, v18, v1
	v_div_scale_f32 v15, vcc_lo, v1, v18, v1
	s_delay_alu instid0(VALU_DEP_2) | instskip(SKIP_2) | instid1(VALU_DEP_1)
	v_rcp_f32_e32 v9, v2
	s_waitcnt_depctr 0xfff
	v_fma_f32 v12, -v2, v9, 1.0
	v_fmac_f32_e32 v9, v12, v9
	s_delay_alu instid0(VALU_DEP_1) | instskip(NEXT) | instid1(VALU_DEP_1)
	v_mul_f32_e32 v12, v15, v9
	v_fma_f32 v16, -v2, v12, v15
	s_delay_alu instid0(VALU_DEP_1) | instskip(NEXT) | instid1(VALU_DEP_1)
	v_fmac_f32_e32 v12, v16, v9
	v_fma_f32 v2, -v2, v12, v15
	s_delay_alu instid0(VALU_DEP_1) | instskip(NEXT) | instid1(VALU_DEP_1)
	v_div_fmas_f32 v2, v2, v9, v12
	v_div_fixup_f32 v1, v2, v18, v1
	s_delay_alu instid0(VALU_DEP_1) | instskip(SKIP_2) | instid1(VALU_DEP_3)
	v_maxmin_f32 v9, v1, v28, v29
	v_mov_b32_e32 v1, 0x80
	v_mov_b32_e32 v2, 0
	v_and_b32_e32 v12, 0x7fffffff, v9
	s_delay_alu instid0(VALU_DEP_2) | instskip(NEXT) | instid1(VALU_DEP_2)
	v_dual_mov_b32 v16, v2 :: v_dual_mov_b32 v15, v1
	v_cmpx_gt_u32_e32 0x43800000, v12
	s_cbranch_execz .LBB33_93
; %bb.86:                               ;   in Loop: Header=BB33_37 Depth=1
	s_mov_b32 s5, 0
	s_mov_b32 s0, exec_lo
                                        ; implicit-def: $vgpr2
	v_cmpx_lt_u32_e32 0x3bffffff, v12
	s_xor_b32 s0, exec_lo, s0
; %bb.87:                               ;   in Loop: Header=BB33_37 Depth=1
	v_bfe_u32 v2, v9, 20, 1
	s_mov_b32 s5, exec_lo
	s_delay_alu instid0(VALU_DEP_1) | instskip(NEXT) | instid1(VALU_DEP_1)
	v_add3_u32 v2, v9, v2, 0x487ffff
	v_lshrrev_b32_e32 v2, 20, v2
; %bb.88:                               ;   in Loop: Header=BB33_37 Depth=1
	s_or_saveexec_b32 s11, s0
                                        ; implicit-def: $sgpr0_sgpr1
	s_delay_alu instid0(SALU_CYCLE_1)
	s_xor_b32 exec_lo, exec_lo, s11
; %bb.89:                               ;   in Loop: Header=BB33_37 Depth=1
	v_add_f32_e64 v2, 0x46000000, |v9|
	s_and_not1_b32 s5, s5, exec_lo
	s_mov_b64 s[0:1], 0
	s_delay_alu instid0(VALU_DEP_1) | instskip(NEXT) | instid1(VALU_DEP_1)
	v_and_b32_e32 v2, 0xff, v2
	v_cmp_ne_u32_e32 vcc_lo, 0, v2
	s_and_b32 s12, vcc_lo, exec_lo
	s_delay_alu instid0(SALU_CYCLE_1)
	s_or_b32 s5, s5, s12
; %bb.90:                               ;   in Loop: Header=BB33_37 Depth=1
	s_or_b32 exec_lo, exec_lo, s11
	v_dual_mov_b32 v16, s1 :: v_dual_mov_b32 v15, s0
	s_and_saveexec_b32 s0, s5
; %bb.91:                               ;   in Loop: Header=BB33_37 Depth=1
	v_lshrrev_b32_e32 v9, 24, v9
	s_delay_alu instid0(VALU_DEP_1)
	v_and_or_b32 v15, 0x80, v9, v2
; %bb.92:                               ;   in Loop: Header=BB33_37 Depth=1
	s_or_b32 exec_lo, exec_lo, s0
.LBB33_93:                              ;   in Loop: Header=BB33_37 Depth=1
	s_delay_alu instid0(SALU_CYCLE_1) | instskip(SKIP_2) | instid1(VALU_DEP_1)
	s_or_b32 exec_lo, exec_lo, s4
	v_and_b32_e32 v2, 0xffff0000, v3
	s_mov_b32 s4, exec_lo
	v_div_scale_f32 v3, null, v18, v18, v2
	s_delay_alu instid0(VALU_DEP_1) | instskip(SKIP_2) | instid1(VALU_DEP_1)
	v_rcp_f32_e32 v9, v3
	s_waitcnt_depctr 0xfff
	v_fma_f32 v12, -v3, v9, 1.0
	v_fmac_f32_e32 v9, v12, v9
	v_div_scale_f32 v12, vcc_lo, v2, v18, v2
	s_delay_alu instid0(VALU_DEP_1) | instskip(NEXT) | instid1(VALU_DEP_1)
	v_mul_f32_e32 v16, v12, v9
	v_fma_f32 v31, -v3, v16, v12
	s_delay_alu instid0(VALU_DEP_1) | instskip(NEXT) | instid1(VALU_DEP_1)
	v_fmac_f32_e32 v16, v31, v9
	v_fma_f32 v3, -v3, v16, v12
	s_delay_alu instid0(VALU_DEP_1) | instskip(NEXT) | instid1(VALU_DEP_1)
	v_div_fmas_f32 v3, v3, v9, v16
	v_div_fixup_f32 v2, v3, v18, v2
	s_delay_alu instid0(VALU_DEP_1) | instskip(NEXT) | instid1(VALU_DEP_1)
	v_maxmin_f32 v3, v2, v28, v29
	v_and_b32_e32 v2, 0x7fffffff, v3
	s_delay_alu instid0(VALU_DEP_1)
	v_cmpx_gt_u32_e32 0x43800000, v2
	s_cbranch_execz .LBB33_36
; %bb.94:                               ;   in Loop: Header=BB33_37 Depth=1
	s_mov_b32 s5, 0
	s_mov_b32 s0, exec_lo
                                        ; implicit-def: $vgpr9
	v_cmpx_lt_u32_e32 0x3bffffff, v2
	s_xor_b32 s0, exec_lo, s0
; %bb.95:                               ;   in Loop: Header=BB33_37 Depth=1
	v_bfe_u32 v1, v3, 20, 1
	s_mov_b32 s5, exec_lo
	s_delay_alu instid0(VALU_DEP_1) | instskip(NEXT) | instid1(VALU_DEP_1)
	v_add3_u32 v1, v3, v1, 0x487ffff
	v_lshrrev_b32_e32 v9, 20, v1
; %bb.96:                               ;   in Loop: Header=BB33_37 Depth=1
	s_or_saveexec_b32 s11, s0
                                        ; implicit-def: $sgpr0_sgpr1
	s_delay_alu instid0(SALU_CYCLE_1)
	s_xor_b32 exec_lo, exec_lo, s11
; %bb.97:                               ;   in Loop: Header=BB33_37 Depth=1
	v_add_f32_e64 v1, 0x46000000, |v3|
	s_and_not1_b32 s5, s5, exec_lo
	s_mov_b64 s[0:1], 0
	s_delay_alu instid0(VALU_DEP_1) | instskip(NEXT) | instid1(VALU_DEP_1)
	v_and_b32_e32 v9, 0xff, v1
	v_cmp_ne_u32_e32 vcc_lo, 0, v9
	s_and_b32 s12, vcc_lo, exec_lo
	s_delay_alu instid0(SALU_CYCLE_1)
	s_or_b32 s5, s5, s12
; %bb.98:                               ;   in Loop: Header=BB33_37 Depth=1
	s_or_b32 exec_lo, exec_lo, s11
	v_dual_mov_b32 v2, s1 :: v_dual_mov_b32 v1, s0
	s_and_saveexec_b32 s0, s5
	s_cbranch_execz .LBB33_35
; %bb.99:                               ;   in Loop: Header=BB33_37 Depth=1
	v_lshrrev_b32_e32 v1, 24, v3
	s_delay_alu instid0(VALU_DEP_1)
	v_and_or_b32 v1, 0x80, v1, v9
	s_branch .LBB33_35
.LBB33_100:
	s_or_b32 exec_lo, exec_lo, s2
	v_lshlrev_b32_e32 v2, 3, v26
	s_mov_b32 s11, exec_lo
	s_delay_alu instid0(VALU_DEP_1) | instskip(NEXT) | instid1(VALU_DEP_1)
	v_add_nc_u32_e32 v0, v2, v17
	v_cmpx_lt_i32_e64 v0, v20
	s_cbranch_execz .LBB33_118
; %bb.101:
	v_add_nc_u32_e32 v1, 16, v0
	s_mov_b32 s0, 0
	s_mov_b32 s1, exec_lo
	s_delay_alu instid0(VALU_DEP_1) | instskip(NEXT) | instid1(VALU_DEP_1)
	v_max_i32_e32 v3, v1, v20
	v_xad_u32 v3, v17, -1, v3
	s_delay_alu instid0(VALU_DEP_1) | instskip(NEXT) | instid1(VALU_DEP_1)
	v_sub_nc_u32_e32 v2, v3, v2
                                        ; implicit-def: $vgpr3
	v_cmpx_lt_u32_e32 15, v2
	s_xor_b32 s12, exec_lo, s1
	s_cbranch_execnz .LBB33_104
; %bb.102:
	s_and_not1_saveexec_b32 s1, s12
	s_cbranch_execnz .LBB33_107
.LBB33_103:
	s_or_b32 exec_lo, exec_lo, s1
	s_delay_alu instid0(SALU_CYCLE_1)
	s_and_b32 exec_lo, exec_lo, s0
	s_cbranch_execnz .LBB33_108
	s_branch .LBB33_118
.LBB33_104:
	v_lshrrev_b32_e32 v2, 4, v2
	v_dual_mov_b32 v10, v18 :: v_dual_lshlrev_b32 v3, 1, v19
	v_lshlrev_b32_e32 v23, 1, v21
	v_add_co_u32 v8, vcc_lo, v24, v21
	s_delay_alu instid0(VALU_DEP_4)
	v_add_nc_u32_e32 v6, 1, v2
	s_mov_b32 s0, s6
	s_mov_b32 s1, s6
	;; [unrolled: 1-line block ×4, first 2 shown]
	v_and_b32_e32 v7, 0x1ffffffe, v6
	v_lshlrev_b32_e32 v11, 4, v26
	v_add_co_ci_u32_e32 v9, vcc_lo, v25, v22, vcc_lo
	v_max_f32_e64 v12, s0, s0
	s_delay_alu instid0(VALU_DEP_4) | instskip(NEXT) | instid1(VALU_DEP_4)
	v_mov_b32_e32 v16, v7
	v_add3_u32 v2, v3, v11, v23
	v_lshlrev_b32_e32 v11, 1, v17
	v_max_f32_e64 v13, s1, s1
	v_max_f32_e64 v14, s3, s3
	;; [unrolled: 1-line block ×3, first 2 shown]
	s_mov_b32 s13, 0
	v_add3_u32 v11, v2, v11, 0
	v_mov_b32_e32 v2, v1
	v_mov_b32_e32 v1, v0
.LBB33_105:                             ; =>This Inner Loop Header: Depth=1
	ds_load_u16 v17, v11
	ds_load_u16 v19, v11 offset:32
	v_ashrrev_i32_e32 v25, 31, v1
	v_add_co_u32 v24, vcc_lo, v8, v1
	v_ashrrev_i32_e32 v27, 31, v2
	v_dual_mov_b32 v26, v2 :: v_dual_add_nc_u32 v1, 32, v1
	s_delay_alu instid0(VALU_DEP_4) | instskip(SKIP_1) | instid1(VALU_DEP_3)
	v_add_co_ci_u32_e32 v25, vcc_lo, v9, v25, vcc_lo
	v_add_nc_u32_e32 v11, 64, v11
	v_add_co_u32 v26, s0, v8, v26
	s_delay_alu instid0(VALU_DEP_1) | instskip(SKIP_2) | instid1(VALU_DEP_1)
	v_add_co_ci_u32_e64 v27, s0, v9, v27, s0
	s_waitcnt lgkmcnt(0)
	v_lshlrev_b32_e32 v19, 16, v19
	v_div_scale_f32 v29, null, v10, v10, v19
	v_div_scale_f32 v33, s1, v19, v10, v19
	s_delay_alu instid0(VALU_DEP_2) | instskip(SKIP_2) | instid1(VALU_DEP_1)
	v_rcp_f32_e32 v32, v29
	s_waitcnt_depctr 0xfff
	v_fma_f32 v35, -v29, v32, 1.0
	v_dual_fmac_f32 v32, v35, v32 :: v_dual_lshlrev_b32 v17, 16, v17
	s_delay_alu instid0(VALU_DEP_1) | instskip(SKIP_1) | instid1(VALU_DEP_3)
	v_div_scale_f32 v28, null, v18, v18, v17
	v_div_scale_f32 v30, vcc_lo, v17, v18, v17
	v_mul_f32_e32 v35, v33, v32
	s_delay_alu instid0(VALU_DEP_3) | instskip(NEXT) | instid1(VALU_DEP_1)
	v_rcp_f32_e32 v31, v28
	v_fma_f32 v37, -v29, v35, v33
	s_delay_alu instid0(VALU_DEP_1) | instskip(SKIP_4) | instid1(VALU_DEP_3)
	v_fmac_f32_e32 v35, v37, v32
	s_waitcnt_depctr 0xfff
	v_fma_f32 v34, -v28, v31, 1.0
	v_add_nc_u32_e32 v2, 32, v2
	v_fma_f32 v29, -v29, v35, v33
	v_fmac_f32_e32 v31, v34, v31
	s_delay_alu instid0(VALU_DEP_1) | instskip(NEXT) | instid1(VALU_DEP_1)
	v_mul_f32_e32 v34, v30, v31
	v_fma_f32 v36, -v28, v34, v30
	s_delay_alu instid0(VALU_DEP_1) | instskip(NEXT) | instid1(VALU_DEP_1)
	v_fmac_f32_e32 v34, v36, v31
	v_fma_f32 v28, -v28, v34, v30
	s_delay_alu instid0(VALU_DEP_1) | instskip(SKIP_2) | instid1(VALU_DEP_2)
	v_div_fmas_f32 v28, v28, v31, v34
	s_mov_b32 vcc_lo, s1
	v_div_fmas_f32 v29, v29, v32, v35
	v_div_fixup_f32 v17, v28, v18, v17
	s_delay_alu instid0(VALU_DEP_2) | instskip(NEXT) | instid1(VALU_DEP_2)
	v_div_fixup_f32 v19, v29, v10, v19
	v_maxmin_f32 v17, v17, v12, v15
	s_delay_alu instid0(VALU_DEP_2) | instskip(NEXT) | instid1(VALU_DEP_2)
	v_maxmin_f32 v19, v19, v13, v14
	v_bfe_u32 v29, v17, 20, 1
	v_and_b32_e32 v28, 0x7fffffff, v17
	v_add_f32_e64 v30, 0x46000000, |v17|
	s_delay_alu instid0(VALU_DEP_4)
	v_bfe_u32 v33, v19, 20, 1
	v_and_b32_e32 v32, 0x7fffffff, v19
	v_lshrrev_b32_e32 v31, 24, v17
	v_add3_u32 v17, v17, v29, 0x487ffff
	v_add_f32_e64 v34, 0x46000000, |v19|
	v_lshrrev_b32_e32 v35, 24, v19
	v_add3_u32 v19, v19, v33, 0x487ffff
	v_cmp_gt_u32_e32 vcc_lo, 0x43800000, v28
	v_cmp_gt_u32_e64 s1, 0x3c000000, v28
	v_cmp_gt_u32_e64 s2, 0x43800000, v32
	v_cmp_gt_u32_e64 s3, 0x3c000000, v32
	v_lshrrev_b32_e32 v17, 20, v17
	v_lshrrev_b32_e32 v19, 20, v19
	s_xor_b32 s4, s1, vcc_lo
	v_and_b32_e32 v28, 0xff, v30
	s_xor_b32 s5, s3, s2
	v_cndmask_b32_e64 v17, v30, v17, s4
	v_cndmask_b32_e64 v19, v34, v19, s5
	v_and_b32_e32 v29, 0xff, v34
	v_cmp_eq_u32_e64 s0, 0, v28
	s_delay_alu instid0(VALU_DEP_4) | instskip(NEXT) | instid1(VALU_DEP_4)
	v_and_or_b32 v17, 0x80, v31, v17
	v_and_or_b32 v19, 0x80, v35, v19
	v_add_nc_u32_e32 v16, -2, v16
	v_cmp_eq_u32_e64 s4, 0, v29
	s_and_b32 s0, s1, s0
	v_cndmask_b32_e32 v17, 0xffffff80, v17, vcc_lo
	v_cndmask_b32_e64 v19, 0xffffff80, v19, s2
	v_cmp_eq_u32_e32 vcc_lo, 0, v16
	s_and_b32 s1, s3, s4
	s_delay_alu instid0(VALU_DEP_3) | instskip(NEXT) | instid1(VALU_DEP_3)
	v_cndmask_b32_e64 v17, v17, 0, s0
	v_cndmask_b32_e64 v19, v19, 0, s1
	s_or_b32 s13, vcc_lo, s13
	s_clause 0x1
	global_store_b8 v[24:25], v17, off
	global_store_b8 v[26:27], v19, off
	s_and_not1_b32 exec_lo, exec_lo, s13
	s_cbranch_execnz .LBB33_105
; %bb.106:
	s_or_b32 exec_lo, exec_lo, s13
	v_cmp_ne_u32_e32 vcc_lo, v6, v7
	v_lshl_add_u32 v0, v7, 4, v0
                                        ; implicit-def: $vgpr19
	s_and_b32 s0, vcc_lo, exec_lo
	s_and_not1_saveexec_b32 s1, s12
	s_cbranch_execz .LBB33_103
.LBB33_107:
	v_lshlrev_b32_e32 v3, 1, v19
	s_or_b32 s0, s0, exec_lo
	s_or_b32 exec_lo, exec_lo, s1
	s_delay_alu instid0(SALU_CYCLE_1)
	s_and_b32 exec_lo, exec_lo, s0
	s_cbranch_execz .LBB33_118
.LBB33_108:
	v_add_co_u32 v1, vcc_lo, v21, v4
	v_add_co_ci_u32_e32 v2, vcc_lo, v22, v5, vcc_lo
	v_ashrrev_i32_e32 v4, 31, v0
	s_delay_alu instid0(VALU_DEP_3) | instskip(SKIP_2) | instid1(VALU_DEP_4)
	v_add_co_u32 v1, vcc_lo, v1, v0
	v_lshl_add_u32 v3, v0, 1, v3
	v_max_f32_e64 v5, s7, s7
	v_add_co_ci_u32_e32 v2, vcc_lo, v2, v4, vcc_lo
	s_delay_alu instid0(VALU_DEP_4) | instskip(NEXT) | instid1(VALU_DEP_4)
	v_add_co_u32 v1, vcc_lo, s8, v1
	v_add3_u32 v3, v3, v23, 0
	s_delay_alu instid0(VALU_DEP_3)
	v_add_co_ci_u32_e32 v2, vcc_lo, s9, v2, vcc_lo
	v_max_f32_e64 v4, s6, s6
	s_mov_b32 s1, 0
	s_branch .LBB33_111
.LBB33_109:                             ;   in Loop: Header=BB33_111 Depth=1
	s_or_b32 exec_lo, exec_lo, s3
.LBB33_110:                             ;   in Loop: Header=BB33_111 Depth=1
	s_delay_alu instid0(SALU_CYCLE_1)
	s_or_b32 exec_lo, exec_lo, s0
	v_add_nc_u32_e32 v0, 16, v0
	global_store_b8 v[1:2], v8, off
	v_add_co_u32 v1, s0, v1, 16
	v_add_nc_u32_e32 v3, 32, v3
	v_cmp_ge_i32_e32 vcc_lo, v0, v20
	v_add_co_ci_u32_e64 v2, s0, 0, v2, s0
	s_or_b32 s1, vcc_lo, s1
	s_delay_alu instid0(SALU_CYCLE_1)
	s_and_not1_b32 exec_lo, exec_lo, s1
	s_cbranch_execz .LBB33_118
.LBB33_111:                             ; =>This Inner Loop Header: Depth=1
	ds_load_u16 v6, v3
	s_mov_b32 s0, exec_lo
	s_waitcnt lgkmcnt(0)
	v_lshlrev_b32_e32 v6, 16, v6
	s_delay_alu instid0(VALU_DEP_1) | instskip(SKIP_1) | instid1(VALU_DEP_2)
	v_div_scale_f32 v7, null, v18, v18, v6
	v_div_scale_f32 v10, vcc_lo, v6, v18, v6
	v_rcp_f32_e32 v8, v7
	s_waitcnt_depctr 0xfff
	v_fma_f32 v9, -v7, v8, 1.0
	s_delay_alu instid0(VALU_DEP_1) | instskip(NEXT) | instid1(VALU_DEP_1)
	v_fmac_f32_e32 v8, v9, v8
	v_mul_f32_e32 v9, v10, v8
	s_delay_alu instid0(VALU_DEP_1) | instskip(NEXT) | instid1(VALU_DEP_1)
	v_fma_f32 v11, -v7, v9, v10
	v_fmac_f32_e32 v9, v11, v8
	s_delay_alu instid0(VALU_DEP_1) | instskip(NEXT) | instid1(VALU_DEP_1)
	v_fma_f32 v7, -v7, v9, v10
	v_div_fmas_f32 v7, v7, v8, v9
	v_mov_b32_e32 v8, 0x80
	s_delay_alu instid0(VALU_DEP_2) | instskip(NEXT) | instid1(VALU_DEP_1)
	v_div_fixup_f32 v6, v7, v18, v6
	v_maxmin_f32 v6, v6, v4, v5
	s_delay_alu instid0(VALU_DEP_1) | instskip(NEXT) | instid1(VALU_DEP_1)
	v_and_b32_e32 v7, 0x7fffffff, v6
	v_cmpx_gt_u32_e32 0x43800000, v7
	s_cbranch_execz .LBB33_110
; %bb.112:                              ;   in Loop: Header=BB33_111 Depth=1
	v_cmp_lt_u32_e32 vcc_lo, 0x3bffffff, v7
	s_mov_b32 s2, 0
                                        ; implicit-def: $vgpr7
	s_and_saveexec_b32 s3, vcc_lo
	s_delay_alu instid0(SALU_CYCLE_1)
	s_xor_b32 s3, exec_lo, s3
	s_cbranch_execnz .LBB33_115
; %bb.113:                              ;   in Loop: Header=BB33_111 Depth=1
	s_or_saveexec_b32 s3, s3
                                        ; implicit-def: $sgpr4
	s_delay_alu instid0(SALU_CYCLE_1)
	s_xor_b32 exec_lo, exec_lo, s3
	s_cbranch_execnz .LBB33_116
.LBB33_114:                             ;   in Loop: Header=BB33_111 Depth=1
	s_or_b32 exec_lo, exec_lo, s3
	v_mov_b32_e32 v8, s4
	s_and_saveexec_b32 s3, s2
	s_cbranch_execz .LBB33_109
	s_branch .LBB33_117
.LBB33_115:                             ;   in Loop: Header=BB33_111 Depth=1
	v_bfe_u32 v7, v6, 20, 1
	s_mov_b32 s2, exec_lo
	s_delay_alu instid0(VALU_DEP_1) | instskip(NEXT) | instid1(VALU_DEP_1)
	v_add3_u32 v7, v6, v7, 0x487ffff
	v_lshrrev_b32_e32 v7, 20, v7
	s_or_saveexec_b32 s3, s3
                                        ; implicit-def: $sgpr4
	s_delay_alu instid0(SALU_CYCLE_1)
	s_xor_b32 exec_lo, exec_lo, s3
	s_cbranch_execz .LBB33_114
.LBB33_116:                             ;   in Loop: Header=BB33_111 Depth=1
	v_add_f32_e64 v7, 0x46000000, |v6|
	s_and_not1_b32 s2, s2, exec_lo
	s_mov_b32 s4, 0
	s_delay_alu instid0(VALU_DEP_1) | instskip(NEXT) | instid1(VALU_DEP_1)
	v_and_b32_e32 v7, 0xff, v7
	v_cmp_ne_u32_e32 vcc_lo, 0, v7
	s_and_b32 s5, vcc_lo, exec_lo
	s_delay_alu instid0(SALU_CYCLE_1)
	s_or_b32 s2, s2, s5
	s_or_b32 exec_lo, exec_lo, s3
	v_mov_b32_e32 v8, s4
	s_and_saveexec_b32 s3, s2
	s_cbranch_execz .LBB33_109
.LBB33_117:                             ;   in Loop: Header=BB33_111 Depth=1
	v_lshrrev_b32_e32 v6, 24, v6
	s_delay_alu instid0(VALU_DEP_1)
	v_and_or_b32 v8, 0x80, v6, v7
	s_branch .LBB33_109
.LBB33_118:
	s_or_b32 exec_lo, exec_lo, s11
                                        ; implicit-def: $vgpr17
                                        ; implicit-def: $vgpr18
                                        ; implicit-def: $vgpr19
                                        ; implicit-def: $vgpr4_vgpr5
.LBB33_119:
	s_and_not1_saveexec_b32 s0, s10
	s_cbranch_execz .LBB33_187
; %bb.120:
	s_ashr_i32 s2, s14, 3
	s_mov_b32 s0, exec_lo
	v_cmpx_gt_i32_e64 s2, v17
	s_cbranch_execz .LBB33_187
; %bb.121:
	v_lshlrev_b32_e32 v0, 3, v17
	v_lshlrev_b32_e32 v1, 1, v19
	;; [unrolled: 1-line block ×3, first 2 shown]
	v_max_f32_e64 v16, s6, s6
	v_max_f32_e64 v19, s7, s7
	v_add_co_u32 v0, vcc_lo, v4, v0
	v_add_co_ci_u32_e32 v3, vcc_lo, 0, v5, vcc_lo
	v_add3_u32 v15, v1, v2, 0
	s_delay_alu instid0(VALU_DEP_3) | instskip(NEXT) | instid1(VALU_DEP_3)
	v_add_co_u32 v4, vcc_lo, s8, v0
	v_add_co_ci_u32_e32 v5, vcc_lo, s9, v3, vcc_lo
	s_mov_b32 s3, 0
	s_branch .LBB33_124
.LBB33_122:                             ;   in Loop: Header=BB33_124 Depth=1
	s_or_b32 exec_lo, exec_lo, s0
.LBB33_123:                             ;   in Loop: Header=BB33_124 Depth=1
	s_delay_alu instid0(SALU_CYCLE_1)
	s_or_b32 exec_lo, exec_lo, s4
	v_lshlrev_b32_e32 v2, 16, v13
	v_lshlrev_b32_e32 v3, 16, v11
	;; [unrolled: 1-line block ×5, first 2 shown]
	v_and_b32_e32 v2, 0xff0000, v2
	v_perm_b32 v3, v9, v3, 0x4020c0c
	v_and_b32_e32 v0, 0xff, v0
	v_and_b32_e32 v8, 0xff, v8
	;; [unrolled: 1-line block ×3, first 2 shown]
	v_or_b32_e32 v1, v1, v2
	v_and_or_b32 v2, 0xff00, v6, v3
	v_add_nc_u32_e32 v17, 16, v17
	v_add_nc_u32_e32 v15, 0x100, v15
	s_delay_alu instid0(VALU_DEP_4) | instskip(NEXT) | instid1(VALU_DEP_4)
	v_or3_b32 v1, v1, v7, v0
	v_or_b32_e32 v0, v2, v8
	s_delay_alu instid0(VALU_DEP_4) | instskip(SKIP_2) | instid1(VALU_DEP_1)
	v_cmp_le_i32_e32 vcc_lo, s2, v17
	global_store_b64 v[4:5], v[0:1], off
	v_add_co_u32 v4, s0, 0x80, v4
	v_add_co_ci_u32_e64 v5, s0, 0, v5, s0
	s_or_b32 s3, vcc_lo, s3
	s_delay_alu instid0(SALU_CYCLE_1)
	s_and_not1_b32 exec_lo, exec_lo, s3
	s_cbranch_execz .LBB33_187
.LBB33_124:                             ; =>This Inner Loop Header: Depth=1
	ds_load_b128 v[0:3], v15
	s_mov_b32 s4, exec_lo
	s_waitcnt lgkmcnt(0)
	v_lshlrev_b32_e32 v6, 16, v0
	s_delay_alu instid0(VALU_DEP_1) | instskip(SKIP_1) | instid1(VALU_DEP_2)
	v_div_scale_f32 v7, null, v18, v18, v6
	v_div_scale_f32 v10, vcc_lo, v6, v18, v6
	v_rcp_f32_e32 v8, v7
	s_waitcnt_depctr 0xfff
	v_fma_f32 v9, -v7, v8, 1.0
	s_delay_alu instid0(VALU_DEP_1) | instskip(NEXT) | instid1(VALU_DEP_1)
	v_fmac_f32_e32 v8, v9, v8
	v_mul_f32_e32 v9, v10, v8
	s_delay_alu instid0(VALU_DEP_1) | instskip(NEXT) | instid1(VALU_DEP_1)
	v_fma_f32 v11, -v7, v9, v10
	v_fmac_f32_e32 v9, v11, v8
	s_delay_alu instid0(VALU_DEP_1) | instskip(NEXT) | instid1(VALU_DEP_1)
	v_fma_f32 v7, -v7, v9, v10
	v_div_fmas_f32 v7, v7, v8, v9
	s_delay_alu instid0(VALU_DEP_1) | instskip(NEXT) | instid1(VALU_DEP_1)
	v_div_fixup_f32 v6, v7, v18, v6
	v_maxmin_f32 v10, v6, v16, v19
	v_mov_b32_e32 v6, 0x80
	v_mov_b32_e32 v7, 0
	s_delay_alu instid0(VALU_DEP_3) | instskip(NEXT) | instid1(VALU_DEP_2)
	v_and_b32_e32 v11, 0x7fffffff, v10
	v_dual_mov_b32 v9, v7 :: v_dual_mov_b32 v8, v6
	s_delay_alu instid0(VALU_DEP_2)
	v_cmpx_gt_u32_e32 0x43800000, v11
	s_cbranch_execz .LBB33_132
; %bb.125:                              ;   in Loop: Header=BB33_124 Depth=1
	s_mov_b32 s5, 0
	s_mov_b32 s0, exec_lo
                                        ; implicit-def: $vgpr7
	v_cmpx_lt_u32_e32 0x3bffffff, v11
	s_xor_b32 s0, exec_lo, s0
; %bb.126:                              ;   in Loop: Header=BB33_124 Depth=1
	v_bfe_u32 v7, v10, 20, 1
	s_mov_b32 s5, exec_lo
	s_delay_alu instid0(VALU_DEP_1) | instskip(NEXT) | instid1(VALU_DEP_1)
	v_add3_u32 v7, v10, v7, 0x487ffff
	v_lshrrev_b32_e32 v7, 20, v7
; %bb.127:                              ;   in Loop: Header=BB33_124 Depth=1
	s_or_saveexec_b32 s6, s0
                                        ; implicit-def: $sgpr0_sgpr1
	s_delay_alu instid0(SALU_CYCLE_1)
	s_xor_b32 exec_lo, exec_lo, s6
; %bb.128:                              ;   in Loop: Header=BB33_124 Depth=1
	v_add_f32_e64 v7, 0x46000000, |v10|
	s_and_not1_b32 s5, s5, exec_lo
	s_mov_b64 s[0:1], 0
	s_delay_alu instid0(VALU_DEP_1) | instskip(NEXT) | instid1(VALU_DEP_1)
	v_and_b32_e32 v7, 0xff, v7
	v_cmp_ne_u32_e32 vcc_lo, 0, v7
	s_and_b32 s7, vcc_lo, exec_lo
	s_delay_alu instid0(SALU_CYCLE_1)
	s_or_b32 s5, s5, s7
; %bb.129:                              ;   in Loop: Header=BB33_124 Depth=1
	s_or_b32 exec_lo, exec_lo, s6
	v_dual_mov_b32 v9, s1 :: v_dual_mov_b32 v8, s0
	s_and_saveexec_b32 s0, s5
; %bb.130:                              ;   in Loop: Header=BB33_124 Depth=1
	v_lshrrev_b32_e32 v8, 24, v10
	s_delay_alu instid0(VALU_DEP_1)
	v_and_or_b32 v8, 0x80, v8, v7
; %bb.131:                              ;   in Loop: Header=BB33_124 Depth=1
	s_or_b32 exec_lo, exec_lo, s0
.LBB33_132:                             ;   in Loop: Header=BB33_124 Depth=1
	s_delay_alu instid0(SALU_CYCLE_1) | instskip(SKIP_2) | instid1(VALU_DEP_1)
	s_or_b32 exec_lo, exec_lo, s4
	v_and_b32_e32 v0, 0xffff0000, v0
	s_mov_b32 s4, exec_lo
	v_div_scale_f32 v7, null, v18, v18, v0
	s_delay_alu instid0(VALU_DEP_1) | instskip(SKIP_2) | instid1(VALU_DEP_1)
	v_rcp_f32_e32 v9, v7
	s_waitcnt_depctr 0xfff
	v_fma_f32 v10, -v7, v9, 1.0
	v_fmac_f32_e32 v9, v10, v9
	v_div_scale_f32 v10, vcc_lo, v0, v18, v0
	s_delay_alu instid0(VALU_DEP_1) | instskip(NEXT) | instid1(VALU_DEP_1)
	v_mul_f32_e32 v11, v10, v9
	v_fma_f32 v12, -v7, v11, v10
	s_delay_alu instid0(VALU_DEP_1) | instskip(NEXT) | instid1(VALU_DEP_1)
	v_fmac_f32_e32 v11, v12, v9
	v_fma_f32 v7, -v7, v11, v10
	s_delay_alu instid0(VALU_DEP_1) | instskip(NEXT) | instid1(VALU_DEP_1)
	v_div_fmas_f32 v7, v7, v9, v11
	v_div_fixup_f32 v0, v7, v18, v0
	s_delay_alu instid0(VALU_DEP_1) | instskip(NEXT) | instid1(VALU_DEP_1)
	v_maxmin_f32 v0, v0, v16, v19
	v_and_b32_e32 v7, 0x7fffffff, v0
	s_delay_alu instid0(VALU_DEP_1)
	v_cmpx_gt_u32_e32 0x43800000, v7
	s_cbranch_execz .LBB33_140
; %bb.133:                              ;   in Loop: Header=BB33_124 Depth=1
	s_mov_b32 s5, 0
	s_mov_b32 s0, exec_lo
                                        ; implicit-def: $vgpr9
	v_cmpx_lt_u32_e32 0x3bffffff, v7
	s_xor_b32 s0, exec_lo, s0
; %bb.134:                              ;   in Loop: Header=BB33_124 Depth=1
	v_bfe_u32 v6, v0, 20, 1
	s_mov_b32 s5, exec_lo
	s_delay_alu instid0(VALU_DEP_1) | instskip(NEXT) | instid1(VALU_DEP_1)
	v_add3_u32 v6, v0, v6, 0x487ffff
	v_lshrrev_b32_e32 v9, 20, v6
; %bb.135:                              ;   in Loop: Header=BB33_124 Depth=1
	s_or_saveexec_b32 s6, s0
                                        ; implicit-def: $sgpr0_sgpr1
	s_delay_alu instid0(SALU_CYCLE_1)
	s_xor_b32 exec_lo, exec_lo, s6
; %bb.136:                              ;   in Loop: Header=BB33_124 Depth=1
	v_add_f32_e64 v6, 0x46000000, |v0|
	s_and_not1_b32 s5, s5, exec_lo
	s_mov_b64 s[0:1], 0
	s_delay_alu instid0(VALU_DEP_1) | instskip(NEXT) | instid1(VALU_DEP_1)
	v_and_b32_e32 v9, 0xff, v6
	v_cmp_ne_u32_e32 vcc_lo, 0, v9
	s_and_b32 s7, vcc_lo, exec_lo
	s_delay_alu instid0(SALU_CYCLE_1)
	s_or_b32 s5, s5, s7
; %bb.137:                              ;   in Loop: Header=BB33_124 Depth=1
	s_or_b32 exec_lo, exec_lo, s6
	v_dual_mov_b32 v7, s1 :: v_dual_mov_b32 v6, s0
	s_and_saveexec_b32 s0, s5
; %bb.138:                              ;   in Loop: Header=BB33_124 Depth=1
	v_lshrrev_b32_e32 v0, 24, v0
	s_delay_alu instid0(VALU_DEP_1)
	v_and_or_b32 v6, 0x80, v0, v9
; %bb.139:                              ;   in Loop: Header=BB33_124 Depth=1
	s_or_b32 exec_lo, exec_lo, s0
.LBB33_140:                             ;   in Loop: Header=BB33_124 Depth=1
	s_delay_alu instid0(SALU_CYCLE_1) | instskip(SKIP_2) | instid1(VALU_DEP_1)
	s_or_b32 exec_lo, exec_lo, s4
	v_lshlrev_b32_e32 v0, 16, v1
	s_mov_b32 s4, exec_lo
	v_div_scale_f32 v7, null, v18, v18, v0
	v_div_scale_f32 v11, vcc_lo, v0, v18, v0
	s_delay_alu instid0(VALU_DEP_2) | instskip(SKIP_2) | instid1(VALU_DEP_1)
	v_rcp_f32_e32 v9, v7
	s_waitcnt_depctr 0xfff
	v_fma_f32 v10, -v7, v9, 1.0
	v_fmac_f32_e32 v9, v10, v9
	s_delay_alu instid0(VALU_DEP_1) | instskip(NEXT) | instid1(VALU_DEP_1)
	v_mul_f32_e32 v10, v11, v9
	v_fma_f32 v12, -v7, v10, v11
	s_delay_alu instid0(VALU_DEP_1) | instskip(NEXT) | instid1(VALU_DEP_1)
	v_fmac_f32_e32 v10, v12, v9
	v_fma_f32 v7, -v7, v10, v11
	s_delay_alu instid0(VALU_DEP_1) | instskip(SKIP_2) | instid1(VALU_DEP_3)
	v_div_fmas_f32 v7, v7, v9, v10
	v_mov_b32_e32 v9, 0x80
	v_mov_b32_e32 v10, 0
	v_div_fixup_f32 v0, v7, v18, v0
	s_delay_alu instid0(VALU_DEP_2) | instskip(NEXT) | instid1(VALU_DEP_2)
	v_dual_mov_b32 v12, v10 :: v_dual_mov_b32 v11, v9
	v_maxmin_f32 v0, v0, v16, v19
	s_delay_alu instid0(VALU_DEP_1) | instskip(NEXT) | instid1(VALU_DEP_1)
	v_and_b32_e32 v7, 0x7fffffff, v0
	v_cmpx_gt_u32_e32 0x43800000, v7
	s_cbranch_execz .LBB33_148
; %bb.141:                              ;   in Loop: Header=BB33_124 Depth=1
	v_cmp_lt_u32_e32 vcc_lo, 0x3bffffff, v7
	s_mov_b32 s5, 0
                                        ; implicit-def: $vgpr7
	s_and_saveexec_b32 s0, vcc_lo
	s_delay_alu instid0(SALU_CYCLE_1)
	s_xor_b32 s0, exec_lo, s0
; %bb.142:                              ;   in Loop: Header=BB33_124 Depth=1
	v_bfe_u32 v7, v0, 20, 1
	s_mov_b32 s5, exec_lo
	s_delay_alu instid0(VALU_DEP_1) | instskip(NEXT) | instid1(VALU_DEP_1)
	v_add3_u32 v7, v0, v7, 0x487ffff
	v_lshrrev_b32_e32 v7, 20, v7
; %bb.143:                              ;   in Loop: Header=BB33_124 Depth=1
	s_or_saveexec_b32 s6, s0
                                        ; implicit-def: $sgpr0_sgpr1
	s_delay_alu instid0(SALU_CYCLE_1)
	s_xor_b32 exec_lo, exec_lo, s6
; %bb.144:                              ;   in Loop: Header=BB33_124 Depth=1
	v_add_f32_e64 v7, 0x46000000, |v0|
	s_and_not1_b32 s5, s5, exec_lo
	s_mov_b64 s[0:1], 0
	s_delay_alu instid0(VALU_DEP_1) | instskip(NEXT) | instid1(VALU_DEP_1)
	v_and_b32_e32 v7, 0xff, v7
	v_cmp_ne_u32_e32 vcc_lo, 0, v7
	s_and_b32 s7, vcc_lo, exec_lo
	s_delay_alu instid0(SALU_CYCLE_1)
	s_or_b32 s5, s5, s7
; %bb.145:                              ;   in Loop: Header=BB33_124 Depth=1
	s_or_b32 exec_lo, exec_lo, s6
	v_dual_mov_b32 v12, s1 :: v_dual_mov_b32 v11, s0
	s_and_saveexec_b32 s0, s5
; %bb.146:                              ;   in Loop: Header=BB33_124 Depth=1
	v_lshrrev_b32_e32 v0, 24, v0
	s_delay_alu instid0(VALU_DEP_1)
	v_and_or_b32 v11, 0x80, v0, v7
; %bb.147:                              ;   in Loop: Header=BB33_124 Depth=1
	s_or_b32 exec_lo, exec_lo, s0
.LBB33_148:                             ;   in Loop: Header=BB33_124 Depth=1
	s_delay_alu instid0(SALU_CYCLE_1) | instskip(SKIP_2) | instid1(VALU_DEP_1)
	s_or_b32 exec_lo, exec_lo, s4
	v_and_b32_e32 v0, 0xffff0000, v1
	s_mov_b32 s4, exec_lo
	v_div_scale_f32 v1, null, v18, v18, v0
	s_delay_alu instid0(VALU_DEP_1) | instskip(SKIP_2) | instid1(VALU_DEP_1)
	v_rcp_f32_e32 v7, v1
	s_waitcnt_depctr 0xfff
	v_fma_f32 v10, -v1, v7, 1.0
	v_fmac_f32_e32 v7, v10, v7
	v_div_scale_f32 v10, vcc_lo, v0, v18, v0
	s_delay_alu instid0(VALU_DEP_1) | instskip(NEXT) | instid1(VALU_DEP_1)
	v_mul_f32_e32 v12, v10, v7
	v_fma_f32 v13, -v1, v12, v10
	s_delay_alu instid0(VALU_DEP_1) | instskip(NEXT) | instid1(VALU_DEP_1)
	v_fmac_f32_e32 v12, v13, v7
	v_fma_f32 v1, -v1, v12, v10
	s_delay_alu instid0(VALU_DEP_1) | instskip(NEXT) | instid1(VALU_DEP_1)
	v_div_fmas_f32 v1, v1, v7, v12
	v_div_fixup_f32 v0, v1, v18, v0
	s_delay_alu instid0(VALU_DEP_1) | instskip(NEXT) | instid1(VALU_DEP_1)
	v_maxmin_f32 v0, v0, v16, v19
	v_and_b32_e32 v1, 0x7fffffff, v0
	s_delay_alu instid0(VALU_DEP_1)
	v_cmpx_gt_u32_e32 0x43800000, v1
	s_cbranch_execz .LBB33_156
; %bb.149:                              ;   in Loop: Header=BB33_124 Depth=1
	v_cmp_lt_u32_e32 vcc_lo, 0x3bffffff, v1
	s_mov_b32 s5, 0
                                        ; implicit-def: $vgpr1
	s_and_saveexec_b32 s0, vcc_lo
	s_delay_alu instid0(SALU_CYCLE_1)
	s_xor_b32 s0, exec_lo, s0
; %bb.150:                              ;   in Loop: Header=BB33_124 Depth=1
	v_bfe_u32 v1, v0, 20, 1
	s_mov_b32 s5, exec_lo
	s_delay_alu instid0(VALU_DEP_1) | instskip(NEXT) | instid1(VALU_DEP_1)
	v_add3_u32 v1, v0, v1, 0x487ffff
	v_lshrrev_b32_e32 v1, 20, v1
; %bb.151:                              ;   in Loop: Header=BB33_124 Depth=1
	s_or_saveexec_b32 s6, s0
                                        ; implicit-def: $sgpr0_sgpr1
	s_delay_alu instid0(SALU_CYCLE_1)
	s_xor_b32 exec_lo, exec_lo, s6
; %bb.152:                              ;   in Loop: Header=BB33_124 Depth=1
	v_add_f32_e64 v1, 0x46000000, |v0|
	s_and_not1_b32 s5, s5, exec_lo
	s_mov_b64 s[0:1], 0
	s_delay_alu instid0(VALU_DEP_1) | instskip(NEXT) | instid1(VALU_DEP_1)
	v_and_b32_e32 v1, 0xff, v1
	v_cmp_ne_u32_e32 vcc_lo, 0, v1
	s_and_b32 s7, vcc_lo, exec_lo
	s_delay_alu instid0(SALU_CYCLE_1)
	s_or_b32 s5, s5, s7
; %bb.153:                              ;   in Loop: Header=BB33_124 Depth=1
	s_or_b32 exec_lo, exec_lo, s6
	v_dual_mov_b32 v10, s1 :: v_dual_mov_b32 v9, s0
	s_and_saveexec_b32 s0, s5
; %bb.154:                              ;   in Loop: Header=BB33_124 Depth=1
	v_lshrrev_b32_e32 v0, 24, v0
	s_delay_alu instid0(VALU_DEP_1)
	v_and_or_b32 v9, 0x80, v0, v1
; %bb.155:                              ;   in Loop: Header=BB33_124 Depth=1
	s_or_b32 exec_lo, exec_lo, s0
.LBB33_156:                             ;   in Loop: Header=BB33_124 Depth=1
	s_delay_alu instid0(SALU_CYCLE_1) | instskip(SKIP_2) | instid1(VALU_DEP_1)
	s_or_b32 exec_lo, exec_lo, s4
	v_lshlrev_b32_e32 v0, 16, v2
	s_mov_b32 s4, exec_lo
	v_div_scale_f32 v1, null, v18, v18, v0
	s_delay_alu instid0(VALU_DEP_1) | instskip(SKIP_2) | instid1(VALU_DEP_1)
	v_rcp_f32_e32 v7, v1
	s_waitcnt_depctr 0xfff
	v_fma_f32 v10, -v1, v7, 1.0
	v_fmac_f32_e32 v7, v10, v7
	v_div_scale_f32 v12, vcc_lo, v0, v18, v0
	s_delay_alu instid0(VALU_DEP_1) | instskip(NEXT) | instid1(VALU_DEP_1)
	v_mul_f32_e32 v10, v12, v7
	v_fma_f32 v13, -v1, v10, v12
	s_delay_alu instid0(VALU_DEP_1) | instskip(NEXT) | instid1(VALU_DEP_1)
	v_fmac_f32_e32 v10, v13, v7
	v_fma_f32 v1, -v1, v10, v12
	v_mov_b32_e32 v12, 0x80
	v_mov_b32_e32 v13, 0
	s_delay_alu instid0(VALU_DEP_3) | instskip(NEXT) | instid1(VALU_DEP_1)
	v_div_fmas_f32 v1, v1, v7, v10
	v_div_fixup_f32 v0, v1, v18, v0
	s_delay_alu instid0(VALU_DEP_1) | instskip(NEXT) | instid1(VALU_DEP_4)
	v_maxmin_f32 v7, v0, v16, v19
	v_dual_mov_b32 v0, v12 :: v_dual_mov_b32 v1, v13
	s_delay_alu instid0(VALU_DEP_2) | instskip(NEXT) | instid1(VALU_DEP_1)
	v_and_b32_e32 v10, 0x7fffffff, v7
	v_cmpx_gt_u32_e32 0x43800000, v10
	s_cbranch_execz .LBB33_164
; %bb.157:                              ;   in Loop: Header=BB33_124 Depth=1
	v_cmp_lt_u32_e32 vcc_lo, 0x3bffffff, v10
	s_mov_b32 s5, 0
                                        ; implicit-def: $vgpr10
	s_and_saveexec_b32 s0, vcc_lo
	s_delay_alu instid0(SALU_CYCLE_1)
	s_xor_b32 s0, exec_lo, s0
; %bb.158:                              ;   in Loop: Header=BB33_124 Depth=1
	v_bfe_u32 v0, v7, 20, 1
	s_mov_b32 s5, exec_lo
	s_delay_alu instid0(VALU_DEP_1) | instskip(NEXT) | instid1(VALU_DEP_1)
	v_add3_u32 v0, v7, v0, 0x487ffff
	v_lshrrev_b32_e32 v10, 20, v0
; %bb.159:                              ;   in Loop: Header=BB33_124 Depth=1
	s_or_saveexec_b32 s6, s0
                                        ; implicit-def: $sgpr0_sgpr1
	s_delay_alu instid0(SALU_CYCLE_1)
	s_xor_b32 exec_lo, exec_lo, s6
; %bb.160:                              ;   in Loop: Header=BB33_124 Depth=1
	v_add_f32_e64 v0, 0x46000000, |v7|
	s_and_not1_b32 s5, s5, exec_lo
	s_mov_b64 s[0:1], 0
	s_delay_alu instid0(VALU_DEP_1) | instskip(NEXT) | instid1(VALU_DEP_1)
	v_and_b32_e32 v10, 0xff, v0
	v_cmp_ne_u32_e32 vcc_lo, 0, v10
	s_and_b32 s7, vcc_lo, exec_lo
	s_delay_alu instid0(SALU_CYCLE_1)
	s_or_b32 s5, s5, s7
; %bb.161:                              ;   in Loop: Header=BB33_124 Depth=1
	s_or_b32 exec_lo, exec_lo, s6
	v_dual_mov_b32 v0, s0 :: v_dual_mov_b32 v1, s1
	s_and_saveexec_b32 s0, s5
; %bb.162:                              ;   in Loop: Header=BB33_124 Depth=1
	v_lshrrev_b32_e32 v0, 24, v7
	s_delay_alu instid0(VALU_DEP_1)
	v_and_or_b32 v0, 0x80, v0, v10
; %bb.163:                              ;   in Loop: Header=BB33_124 Depth=1
	s_or_b32 exec_lo, exec_lo, s0
.LBB33_164:                             ;   in Loop: Header=BB33_124 Depth=1
	s_delay_alu instid0(SALU_CYCLE_1) | instskip(SKIP_2) | instid1(VALU_DEP_1)
	s_or_b32 exec_lo, exec_lo, s4
	v_and_b32_e32 v1, 0xffff0000, v2
	s_mov_b32 s4, exec_lo
	v_div_scale_f32 v2, null, v18, v18, v1
	s_delay_alu instid0(VALU_DEP_1) | instskip(SKIP_2) | instid1(VALU_DEP_1)
	v_rcp_f32_e32 v7, v2
	s_waitcnt_depctr 0xfff
	v_fma_f32 v10, -v2, v7, 1.0
	v_fmac_f32_e32 v7, v10, v7
	v_div_scale_f32 v10, vcc_lo, v1, v18, v1
	s_delay_alu instid0(VALU_DEP_1) | instskip(NEXT) | instid1(VALU_DEP_1)
	v_mul_f32_e32 v13, v10, v7
	v_fma_f32 v14, -v2, v13, v10
	s_delay_alu instid0(VALU_DEP_1) | instskip(NEXT) | instid1(VALU_DEP_1)
	v_fmac_f32_e32 v13, v14, v7
	v_fma_f32 v2, -v2, v13, v10
	s_delay_alu instid0(VALU_DEP_1) | instskip(NEXT) | instid1(VALU_DEP_1)
	v_div_fmas_f32 v2, v2, v7, v13
	v_div_fixup_f32 v1, v2, v18, v1
	s_delay_alu instid0(VALU_DEP_1) | instskip(NEXT) | instid1(VALU_DEP_1)
	v_maxmin_f32 v1, v1, v16, v19
	v_and_b32_e32 v2, 0x7fffffff, v1
	s_delay_alu instid0(VALU_DEP_1)
	v_cmpx_gt_u32_e32 0x43800000, v2
	s_cbranch_execz .LBB33_172
; %bb.165:                              ;   in Loop: Header=BB33_124 Depth=1
	v_cmp_lt_u32_e32 vcc_lo, 0x3bffffff, v2
	s_mov_b32 s5, 0
                                        ; implicit-def: $vgpr2
	s_and_saveexec_b32 s0, vcc_lo
	s_delay_alu instid0(SALU_CYCLE_1)
	s_xor_b32 s0, exec_lo, s0
; %bb.166:                              ;   in Loop: Header=BB33_124 Depth=1
	v_bfe_u32 v2, v1, 20, 1
	s_mov_b32 s5, exec_lo
	s_delay_alu instid0(VALU_DEP_1) | instskip(NEXT) | instid1(VALU_DEP_1)
	v_add3_u32 v2, v1, v2, 0x487ffff
	v_lshrrev_b32_e32 v2, 20, v2
; %bb.167:                              ;   in Loop: Header=BB33_124 Depth=1
	s_or_saveexec_b32 s6, s0
                                        ; implicit-def: $sgpr0_sgpr1
	s_delay_alu instid0(SALU_CYCLE_1)
	s_xor_b32 exec_lo, exec_lo, s6
; %bb.168:                              ;   in Loop: Header=BB33_124 Depth=1
	v_add_f32_e64 v2, 0x46000000, |v1|
	s_and_not1_b32 s5, s5, exec_lo
	s_mov_b64 s[0:1], 0
	s_delay_alu instid0(VALU_DEP_1) | instskip(NEXT) | instid1(VALU_DEP_1)
	v_and_b32_e32 v2, 0xff, v2
	v_cmp_ne_u32_e32 vcc_lo, 0, v2
	s_and_b32 s7, vcc_lo, exec_lo
	s_delay_alu instid0(SALU_CYCLE_1)
	s_or_b32 s5, s5, s7
; %bb.169:                              ;   in Loop: Header=BB33_124 Depth=1
	s_or_b32 exec_lo, exec_lo, s6
	v_dual_mov_b32 v13, s1 :: v_dual_mov_b32 v12, s0
	s_and_saveexec_b32 s0, s5
; %bb.170:                              ;   in Loop: Header=BB33_124 Depth=1
	v_lshrrev_b32_e32 v1, 24, v1
	s_delay_alu instid0(VALU_DEP_1)
	v_and_or_b32 v12, 0x80, v1, v2
; %bb.171:                              ;   in Loop: Header=BB33_124 Depth=1
	s_or_b32 exec_lo, exec_lo, s0
.LBB33_172:                             ;   in Loop: Header=BB33_124 Depth=1
	s_delay_alu instid0(SALU_CYCLE_1) | instskip(SKIP_2) | instid1(VALU_DEP_1)
	s_or_b32 exec_lo, exec_lo, s4
	v_lshlrev_b32_e32 v1, 16, v3
	s_mov_b32 s4, exec_lo
	v_div_scale_f32 v2, null, v18, v18, v1
	v_div_scale_f32 v13, vcc_lo, v1, v18, v1
	s_delay_alu instid0(VALU_DEP_2) | instskip(SKIP_2) | instid1(VALU_DEP_1)
	v_rcp_f32_e32 v7, v2
	s_waitcnt_depctr 0xfff
	v_fma_f32 v10, -v2, v7, 1.0
	v_fmac_f32_e32 v7, v10, v7
	s_delay_alu instid0(VALU_DEP_1) | instskip(NEXT) | instid1(VALU_DEP_1)
	v_mul_f32_e32 v10, v13, v7
	v_fma_f32 v14, -v2, v10, v13
	s_delay_alu instid0(VALU_DEP_1) | instskip(NEXT) | instid1(VALU_DEP_1)
	v_fmac_f32_e32 v10, v14, v7
	v_fma_f32 v2, -v2, v10, v13
	s_delay_alu instid0(VALU_DEP_1) | instskip(NEXT) | instid1(VALU_DEP_1)
	v_div_fmas_f32 v2, v2, v7, v10
	v_div_fixup_f32 v1, v2, v18, v1
	s_delay_alu instid0(VALU_DEP_1) | instskip(SKIP_2) | instid1(VALU_DEP_3)
	v_maxmin_f32 v7, v1, v16, v19
	v_mov_b32_e32 v1, 0x80
	v_mov_b32_e32 v2, 0
	v_and_b32_e32 v10, 0x7fffffff, v7
	s_delay_alu instid0(VALU_DEP_2) | instskip(NEXT) | instid1(VALU_DEP_2)
	v_dual_mov_b32 v14, v2 :: v_dual_mov_b32 v13, v1
	v_cmpx_gt_u32_e32 0x43800000, v10
	s_cbranch_execz .LBB33_180
; %bb.173:                              ;   in Loop: Header=BB33_124 Depth=1
	s_mov_b32 s5, 0
	s_mov_b32 s0, exec_lo
                                        ; implicit-def: $vgpr2
	v_cmpx_lt_u32_e32 0x3bffffff, v10
	s_xor_b32 s0, exec_lo, s0
; %bb.174:                              ;   in Loop: Header=BB33_124 Depth=1
	v_bfe_u32 v2, v7, 20, 1
	s_mov_b32 s5, exec_lo
	s_delay_alu instid0(VALU_DEP_1) | instskip(NEXT) | instid1(VALU_DEP_1)
	v_add3_u32 v2, v7, v2, 0x487ffff
	v_lshrrev_b32_e32 v2, 20, v2
; %bb.175:                              ;   in Loop: Header=BB33_124 Depth=1
	s_or_saveexec_b32 s6, s0
                                        ; implicit-def: $sgpr0_sgpr1
	s_delay_alu instid0(SALU_CYCLE_1)
	s_xor_b32 exec_lo, exec_lo, s6
; %bb.176:                              ;   in Loop: Header=BB33_124 Depth=1
	v_add_f32_e64 v2, 0x46000000, |v7|
	s_and_not1_b32 s5, s5, exec_lo
	s_mov_b64 s[0:1], 0
	s_delay_alu instid0(VALU_DEP_1) | instskip(NEXT) | instid1(VALU_DEP_1)
	v_and_b32_e32 v2, 0xff, v2
	v_cmp_ne_u32_e32 vcc_lo, 0, v2
	s_and_b32 s7, vcc_lo, exec_lo
	s_delay_alu instid0(SALU_CYCLE_1)
	s_or_b32 s5, s5, s7
; %bb.177:                              ;   in Loop: Header=BB33_124 Depth=1
	s_or_b32 exec_lo, exec_lo, s6
	v_dual_mov_b32 v14, s1 :: v_dual_mov_b32 v13, s0
	s_and_saveexec_b32 s0, s5
; %bb.178:                              ;   in Loop: Header=BB33_124 Depth=1
	v_lshrrev_b32_e32 v7, 24, v7
	s_delay_alu instid0(VALU_DEP_1)
	v_and_or_b32 v13, 0x80, v7, v2
; %bb.179:                              ;   in Loop: Header=BB33_124 Depth=1
	s_or_b32 exec_lo, exec_lo, s0
.LBB33_180:                             ;   in Loop: Header=BB33_124 Depth=1
	s_delay_alu instid0(SALU_CYCLE_1) | instskip(SKIP_2) | instid1(VALU_DEP_1)
	s_or_b32 exec_lo, exec_lo, s4
	v_and_b32_e32 v2, 0xffff0000, v3
	s_mov_b32 s4, exec_lo
	v_div_scale_f32 v3, null, v18, v18, v2
	s_delay_alu instid0(VALU_DEP_1) | instskip(SKIP_2) | instid1(VALU_DEP_1)
	v_rcp_f32_e32 v7, v3
	s_waitcnt_depctr 0xfff
	v_fma_f32 v10, -v3, v7, 1.0
	v_fmac_f32_e32 v7, v10, v7
	v_div_scale_f32 v10, vcc_lo, v2, v18, v2
	s_delay_alu instid0(VALU_DEP_1) | instskip(NEXT) | instid1(VALU_DEP_1)
	v_mul_f32_e32 v14, v10, v7
	v_fma_f32 v20, -v3, v14, v10
	s_delay_alu instid0(VALU_DEP_1) | instskip(NEXT) | instid1(VALU_DEP_1)
	v_fmac_f32_e32 v14, v20, v7
	v_fma_f32 v3, -v3, v14, v10
	s_delay_alu instid0(VALU_DEP_1) | instskip(NEXT) | instid1(VALU_DEP_1)
	v_div_fmas_f32 v3, v3, v7, v14
	v_div_fixup_f32 v2, v3, v18, v2
	s_delay_alu instid0(VALU_DEP_1) | instskip(NEXT) | instid1(VALU_DEP_1)
	v_maxmin_f32 v3, v2, v16, v19
	v_and_b32_e32 v2, 0x7fffffff, v3
	s_delay_alu instid0(VALU_DEP_1)
	v_cmpx_gt_u32_e32 0x43800000, v2
	s_cbranch_execz .LBB33_123
; %bb.181:                              ;   in Loop: Header=BB33_124 Depth=1
	s_mov_b32 s5, 0
	s_mov_b32 s0, exec_lo
                                        ; implicit-def: $vgpr7
	v_cmpx_lt_u32_e32 0x3bffffff, v2
	s_xor_b32 s0, exec_lo, s0
; %bb.182:                              ;   in Loop: Header=BB33_124 Depth=1
	v_bfe_u32 v1, v3, 20, 1
	s_mov_b32 s5, exec_lo
	s_delay_alu instid0(VALU_DEP_1) | instskip(NEXT) | instid1(VALU_DEP_1)
	v_add3_u32 v1, v3, v1, 0x487ffff
	v_lshrrev_b32_e32 v7, 20, v1
; %bb.183:                              ;   in Loop: Header=BB33_124 Depth=1
	s_or_saveexec_b32 s6, s0
                                        ; implicit-def: $sgpr0_sgpr1
	s_delay_alu instid0(SALU_CYCLE_1)
	s_xor_b32 exec_lo, exec_lo, s6
; %bb.184:                              ;   in Loop: Header=BB33_124 Depth=1
	v_add_f32_e64 v1, 0x46000000, |v3|
	s_and_not1_b32 s5, s5, exec_lo
	s_mov_b64 s[0:1], 0
	s_delay_alu instid0(VALU_DEP_1) | instskip(NEXT) | instid1(VALU_DEP_1)
	v_and_b32_e32 v7, 0xff, v1
	v_cmp_ne_u32_e32 vcc_lo, 0, v7
	s_and_b32 s7, vcc_lo, exec_lo
	s_delay_alu instid0(SALU_CYCLE_1)
	s_or_b32 s5, s5, s7
; %bb.185:                              ;   in Loop: Header=BB33_124 Depth=1
	s_or_b32 exec_lo, exec_lo, s6
	v_dual_mov_b32 v2, s1 :: v_dual_mov_b32 v1, s0
	s_and_saveexec_b32 s0, s5
	s_cbranch_execz .LBB33_122
; %bb.186:                              ;   in Loop: Header=BB33_124 Depth=1
	v_lshrrev_b32_e32 v1, 24, v3
	s_delay_alu instid0(VALU_DEP_1)
	v_and_or_b32 v1, 0x80, v1, v7
	s_branch .LBB33_122
.LBB33_187:
	s_nop 0
	s_sendmsg sendmsg(MSG_DEALLOC_VGPRS)
	s_endpgm
.LBB33_188:
	v_bfe_u32 v1, v0, 20, 1
	s_mov_b32 s2, exec_lo
	s_delay_alu instid0(VALU_DEP_1) | instskip(NEXT) | instid1(VALU_DEP_1)
	v_add3_u32 v1, v0, v1, 0x487ffff
	v_lshrrev_b32_e32 v1, 20, v1
	s_or_saveexec_b32 s3, s3
                                        ; implicit-def: $sgpr4
	s_delay_alu instid0(SALU_CYCLE_1)
	s_xor_b32 exec_lo, exec_lo, s3
	s_cbranch_execz .LBB33_29
.LBB33_189:
	v_add_f32_e64 v1, 0x46000000, |v0|
	s_and_not1_b32 s2, s2, exec_lo
	s_mov_b32 s4, 0
	s_delay_alu instid0(VALU_DEP_1) | instskip(NEXT) | instid1(VALU_DEP_1)
	v_and_b32_e32 v1, 0xff, v1
	v_cmp_ne_u32_e32 vcc_lo, 0, v1
	s_and_b32 s5, vcc_lo, exec_lo
	s_delay_alu instid0(SALU_CYCLE_1)
	s_or_b32 s2, s2, s5
	s_or_b32 exec_lo, exec_lo, s3
	v_mov_b32_e32 v2, s4
	s_and_saveexec_b32 s3, s2
	s_cbranch_execnz .LBB33_30
	s_branch .LBB33_31
	.section	.rodata,"a",@progbits
	.p2align	6, 0x0
	.amdhsa_kernel _Z33per_token_group_quant_8bit_kernelIN3c108BFloat16ENS0_15Float8_e4m3fnuzELb1ELb0EfEvPKT_PvPT3_iiifffii
		.amdhsa_group_segment_fixed_size 0
		.amdhsa_private_segment_fixed_size 0
		.amdhsa_kernarg_size 56
		.amdhsa_user_sgpr_count 15
		.amdhsa_user_sgpr_dispatch_ptr 0
		.amdhsa_user_sgpr_queue_ptr 0
		.amdhsa_user_sgpr_kernarg_segment_ptr 1
		.amdhsa_user_sgpr_dispatch_id 0
		.amdhsa_user_sgpr_private_segment_size 0
		.amdhsa_wavefront_size32 1
		.amdhsa_uses_dynamic_stack 0
		.amdhsa_enable_private_segment 0
		.amdhsa_system_sgpr_workgroup_id_x 1
		.amdhsa_system_sgpr_workgroup_id_y 0
		.amdhsa_system_sgpr_workgroup_id_z 0
		.amdhsa_system_sgpr_workgroup_info 0
		.amdhsa_system_vgpr_workitem_id 0
		.amdhsa_next_free_vgpr 38
		.amdhsa_next_free_sgpr 17
		.amdhsa_reserve_vcc 1
		.amdhsa_float_round_mode_32 0
		.amdhsa_float_round_mode_16_64 0
		.amdhsa_float_denorm_mode_32 3
		.amdhsa_float_denorm_mode_16_64 3
		.amdhsa_dx10_clamp 1
		.amdhsa_ieee_mode 1
		.amdhsa_fp16_overflow 0
		.amdhsa_workgroup_processor_mode 1
		.amdhsa_memory_ordered 1
		.amdhsa_forward_progress 0
		.amdhsa_shared_vgpr_count 0
		.amdhsa_exception_fp_ieee_invalid_op 0
		.amdhsa_exception_fp_denorm_src 0
		.amdhsa_exception_fp_ieee_div_zero 0
		.amdhsa_exception_fp_ieee_overflow 0
		.amdhsa_exception_fp_ieee_underflow 0
		.amdhsa_exception_fp_ieee_inexact 0
		.amdhsa_exception_int_div_zero 0
	.end_amdhsa_kernel
	.section	.text._Z33per_token_group_quant_8bit_kernelIN3c108BFloat16ENS0_15Float8_e4m3fnuzELb1ELb0EfEvPKT_PvPT3_iiifffii,"axG",@progbits,_Z33per_token_group_quant_8bit_kernelIN3c108BFloat16ENS0_15Float8_e4m3fnuzELb1ELb0EfEvPKT_PvPT3_iiifffii,comdat
.Lfunc_end33:
	.size	_Z33per_token_group_quant_8bit_kernelIN3c108BFloat16ENS0_15Float8_e4m3fnuzELb1ELb0EfEvPKT_PvPT3_iiifffii, .Lfunc_end33-_Z33per_token_group_quant_8bit_kernelIN3c108BFloat16ENS0_15Float8_e4m3fnuzELb1ELb0EfEvPKT_PvPT3_iiifffii
                                        ; -- End function
	.section	.AMDGPU.csdata,"",@progbits
; Kernel info:
; codeLenInByte = 10016
; NumSgprs: 19
; NumVgprs: 38
; ScratchSize: 0
; MemoryBound: 0
; FloatMode: 240
; IeeeMode: 1
; LDSByteSize: 0 bytes/workgroup (compile time only)
; SGPRBlocks: 2
; VGPRBlocks: 4
; NumSGPRsForWavesPerEU: 19
; NumVGPRsForWavesPerEU: 38
; Occupancy: 16
; WaveLimiterHint : 0
; COMPUTE_PGM_RSRC2:SCRATCH_EN: 0
; COMPUTE_PGM_RSRC2:USER_SGPR: 15
; COMPUTE_PGM_RSRC2:TRAP_HANDLER: 0
; COMPUTE_PGM_RSRC2:TGID_X_EN: 1
; COMPUTE_PGM_RSRC2:TGID_Y_EN: 0
; COMPUTE_PGM_RSRC2:TGID_Z_EN: 0
; COMPUTE_PGM_RSRC2:TIDIG_COMP_CNT: 0
	.section	.text._Z33per_token_group_quant_8bit_kernelIN3c108BFloat16ENS0_15Float8_e4m3fnuzELb0ELb1EfEvPKT_PvPT3_iiifffii,"axG",@progbits,_Z33per_token_group_quant_8bit_kernelIN3c108BFloat16ENS0_15Float8_e4m3fnuzELb0ELb1EfEvPKT_PvPT3_iiifffii,comdat
	.protected	_Z33per_token_group_quant_8bit_kernelIN3c108BFloat16ENS0_15Float8_e4m3fnuzELb0ELb1EfEvPKT_PvPT3_iiifffii ; -- Begin function _Z33per_token_group_quant_8bit_kernelIN3c108BFloat16ENS0_15Float8_e4m3fnuzELb0ELb1EfEvPKT_PvPT3_iiifffii
	.globl	_Z33per_token_group_quant_8bit_kernelIN3c108BFloat16ENS0_15Float8_e4m3fnuzELb0ELb1EfEvPKT_PvPT3_iiifffii
	.p2align	8
	.type	_Z33per_token_group_quant_8bit_kernelIN3c108BFloat16ENS0_15Float8_e4m3fnuzELb0ELb1EfEvPKT_PvPT3_iiifffii,@function
_Z33per_token_group_quant_8bit_kernelIN3c108BFloat16ENS0_15Float8_e4m3fnuzELb0ELb1EfEvPKT_PvPT3_iiifffii: ; @_Z33per_token_group_quant_8bit_kernelIN3c108BFloat16ENS0_15Float8_e4m3fnuzELb0ELb1EfEvPKT_PvPT3_iiifffii
; %bb.0:
	s_clause 0x1
	s_load_b128 s[4:7], s[0:1], 0x20
	s_load_b32 s10, s[0:1], 0x18
	v_lshrrev_b32_e32 v3, 4, v0
	v_and_b32_e32 v17, 15, v0
	s_waitcnt lgkmcnt(0)
	s_mul_i32 s15, s15, s4
	s_ashr_i32 s4, s10, 31
	v_add_co_u32 v1, s2, s15, v3
	s_delay_alu instid0(VALU_DEP_1) | instskip(SKIP_1) | instid1(VALU_DEP_2)
	v_add_co_ci_u32_e64 v2, null, 0, 0, s2
	s_load_b64 s[2:3], s[0:1], 0x0
	v_mul_lo_u32 v7, v1, s4
	v_mad_u64_u32 v[4:5], null, v1, s10, 0
	s_delay_alu instid0(VALU_DEP_3) | instskip(SKIP_2) | instid1(SALU_CYCLE_1)
	v_mul_lo_u32 v6, v2, s10
	v_mul_lo_u32 v19, v3, s10
	s_and_b32 s8, s10, 7
                                        ; implicit-def: $vgpr3
	s_cmp_eq_u32 s8, 0
	s_cselect_b32 s4, -1, 0
	s_cmp_lg_u32 s8, 0
	s_delay_alu instid0(VALU_DEP_2) | instskip(NEXT) | instid1(VALU_DEP_2)
	v_add3_u32 v5, v5, v7, v6
	v_lshl_add_u32 v0, v19, 1, 0
	s_cselect_b32 s8, -1, 0
	s_delay_alu instid0(VALU_DEP_2) | instskip(SKIP_1) | instid1(VALU_DEP_1)
	v_lshlrev_b64 v[6:7], 1, v[4:5]
	s_waitcnt lgkmcnt(0)
	v_add_co_u32 v8, vcc_lo, s2, v6
	v_mov_b32_e32 v11, 0
	s_delay_alu instid0(VALU_DEP_3) | instskip(NEXT) | instid1(VALU_DEP_3)
	v_add_co_ci_u32_e32 v9, vcc_lo, s3, v7, vcc_lo
	v_and_b32_e32 v10, 15, v8
	s_delay_alu instid0(VALU_DEP_1) | instskip(SKIP_1) | instid1(SALU_CYCLE_1)
	v_cmp_ne_u64_e32 vcc_lo, 0, v[10:11]
	s_or_b32 s8, s8, vcc_lo
	s_and_saveexec_b32 s9, s8
	s_delay_alu instid0(SALU_CYCLE_1)
	s_xor_b32 s8, exec_lo, s9
	s_cbranch_execz .LBB34_12
; %bb.1:
	v_sub_nc_u32_e32 v3, 0, v8
	s_mov_b32 s9, exec_lo
	s_delay_alu instid0(VALU_DEP_1) | instskip(NEXT) | instid1(VALU_DEP_1)
	v_bfe_u32 v3, v3, 1, 3
	v_min_i32_e32 v10, s10, v3
	v_mov_b32_e32 v3, s5
	s_delay_alu instid0(VALU_DEP_2)
	v_cmpx_gt_i32_e64 v10, v17
	s_cbranch_execz .LBB34_3
; %bb.2:
	v_lshlrev_b32_e32 v3, 1, v17
	v_max_f32_e64 v11, s5, s5
	s_delay_alu instid0(VALU_DEP_2) | instskip(SKIP_4) | instid1(VALU_DEP_1)
	v_add_co_u32 v8, vcc_lo, v8, v3
	v_add_co_ci_u32_e32 v9, vcc_lo, 0, v9, vcc_lo
	global_load_u16 v8, v[8:9], off
	s_waitcnt vmcnt(0)
	v_lshlrev_b32_e32 v9, 16, v8
	v_max_f32_e64 v9, |v9|, |v9|
	s_delay_alu instid0(VALU_DEP_1)
	v_dual_max_f32 v3, v11, v9 :: v_dual_add_nc_u32 v12, v0, v3
	ds_store_b16 v12, v8
.LBB34_3:
	s_or_b32 exec_lo, exec_lo, s9
	v_sub_nc_u32_e32 v12, s10, v10
	v_ashrrev_i32_e32 v11, 31, v10
	v_lshlrev_b32_e32 v13, 1, v10
	s_mov_b32 s9, exec_lo
	s_delay_alu instid0(VALU_DEP_3) | instskip(NEXT) | instid1(VALU_DEP_1)
	v_ashrrev_i32_e32 v8, 31, v12
	v_lshrrev_b32_e32 v8, 29, v8
	s_delay_alu instid0(VALU_DEP_1) | instskip(NEXT) | instid1(VALU_DEP_1)
	v_add_nc_u32_e32 v8, v12, v8
	v_ashrrev_i32_e32 v14, 3, v8
	v_lshlrev_b64 v[8:9], 1, v[10:11]
	s_delay_alu instid0(VALU_DEP_2)
	v_cmpx_gt_i32_e64 v14, v17
	s_cbranch_execz .LBB34_7
; %bb.4:
	v_lshlrev_b32_e32 v10, 4, v17
	s_mov_b32 s11, 0
	s_delay_alu instid0(VALU_DEP_1) | instskip(SKIP_2) | instid1(VALU_DEP_3)
	v_add_co_u32 v11, vcc_lo, v6, v10
	v_add_co_ci_u32_e32 v15, vcc_lo, 0, v7, vcc_lo
	v_lshl_add_u32 v10, v19, 1, v10
	v_add_co_u32 v11, vcc_lo, v11, v8
	s_delay_alu instid0(VALU_DEP_3) | instskip(NEXT) | instid1(VALU_DEP_2)
	v_add_co_ci_u32_e32 v15, vcc_lo, v15, v9, vcc_lo
	v_add_co_u32 v11, vcc_lo, v11, s2
	s_delay_alu instid0(VALU_DEP_2) | instskip(SKIP_1) | instid1(VALU_DEP_3)
	v_add_co_ci_u32_e32 v16, vcc_lo, s3, v15, vcc_lo
	v_add3_u32 v15, v10, v13, 0
	v_add_co_u32 v10, vcc_lo, v11, 8
	s_delay_alu instid0(VALU_DEP_3)
	v_add_co_ci_u32_e32 v11, vcc_lo, 0, v16, vcc_lo
	v_mov_b32_e32 v16, v17
	s_set_inst_prefetch_distance 0x1
	.p2align	6
.LBB34_5:                               ; =>This Inner Loop Header: Depth=1
	global_load_b128 v[20:23], v[10:11], off offset:-8
	v_add_nc_u32_e32 v16, 16, v16
	v_add_co_u32 v10, vcc_lo, 0x100, v10
	v_add_co_ci_u32_e32 v11, vcc_lo, 0, v11, vcc_lo
	s_delay_alu instid0(VALU_DEP_3)
	v_cmp_ge_i32_e32 vcc_lo, v16, v14
	s_or_b32 s11, vcc_lo, s11
	s_waitcnt vmcnt(0)
	v_lshlrev_b32_e32 v18, 16, v20
	v_and_b32_e32 v24, 0xffff0000, v20
	v_lshlrev_b32_e32 v25, 16, v21
	v_and_b32_e32 v26, 0xffff0000, v21
	ds_store_b128 v15, v[20:23]
	v_add_nc_u32_e32 v15, 0x100, v15
	v_max3_f32 v3, v3, |v18|, |v24|
	v_lshlrev_b32_e32 v18, 16, v22
	v_and_b32_e32 v24, 0xffff0000, v22
	s_delay_alu instid0(VALU_DEP_3) | instskip(SKIP_2) | instid1(VALU_DEP_3)
	v_max3_f32 v3, v3, |v25|, |v26|
	v_lshlrev_b32_e32 v25, 16, v23
	v_and_b32_e32 v26, 0xffff0000, v23
	v_max3_f32 v3, v3, |v18|, |v24|
	s_delay_alu instid0(VALU_DEP_1)
	v_max3_f32 v3, v3, |v25|, |v26|
	s_and_not1_b32 exec_lo, exec_lo, s11
	s_cbranch_execnz .LBB34_5
; %bb.6:
	s_set_inst_prefetch_distance 0x2
	s_or_b32 exec_lo, exec_lo, s11
.LBB34_7:
	s_delay_alu instid0(SALU_CYCLE_1) | instskip(SKIP_2) | instid1(VALU_DEP_1)
	s_or_b32 exec_lo, exec_lo, s9
	v_lshl_add_u32 v10, v14, 3, v17
	s_mov_b32 s9, exec_lo
	v_cmpx_lt_i32_e64 v10, v12
	s_cbranch_execz .LBB34_11
; %bb.8:
	v_ashrrev_i32_e32 v11, 31, v10
	v_lshlrev_b32_e32 v18, 4, v14
	v_add_co_u32 v6, vcc_lo, v6, v8
	v_lshlrev_b32_e32 v16, 1, v19
	s_delay_alu instid0(VALU_DEP_4) | instskip(SKIP_2) | instid1(VALU_DEP_4)
	v_lshlrev_b64 v[14:15], 1, v[10:11]
	v_add_co_ci_u32_e32 v7, vcc_lo, v7, v9, vcc_lo
	v_lshlrev_b32_e32 v20, 1, v17
	v_add3_u32 v8, v16, v18, v13
	s_mov_b32 s11, 0
	s_delay_alu instid0(VALU_DEP_4) | instskip(SKIP_1) | instid1(VALU_DEP_3)
	v_add_co_u32 v6, vcc_lo, v6, v14
	v_add_co_ci_u32_e32 v7, vcc_lo, v7, v15, vcc_lo
	v_add3_u32 v8, v8, v20, 0
	s_delay_alu instid0(VALU_DEP_3) | instskip(NEXT) | instid1(VALU_DEP_3)
	v_add_co_u32 v6, vcc_lo, s2, v6
	v_add_co_ci_u32_e32 v7, vcc_lo, s3, v7, vcc_lo
	.p2align	6
.LBB34_9:                               ; =>This Inner Loop Header: Depth=1
	global_load_u16 v9, v[6:7], off
	v_dual_max_f32 v3, v3, v3 :: v_dual_add_nc_u32 v10, 16, v10
	v_add_co_u32 v6, vcc_lo, v6, 32
	v_add_co_ci_u32_e32 v7, vcc_lo, 0, v7, vcc_lo
	s_delay_alu instid0(VALU_DEP_3)
	v_cmp_ge_i32_e32 vcc_lo, v10, v12
	s_or_b32 s11, vcc_lo, s11
	s_waitcnt vmcnt(0)
	v_lshlrev_b32_e32 v11, 16, v9
	ds_store_b16 v8, v9
	v_max_f32_e64 v11, |v11|, |v11|
	s_delay_alu instid0(VALU_DEP_1)
	v_dual_max_f32 v3, v3, v11 :: v_dual_add_nc_u32 v8, 32, v8
	s_and_not1_b32 exec_lo, exec_lo, s11
	s_cbranch_execnz .LBB34_9
; %bb.10:
	s_or_b32 exec_lo, exec_lo, s11
.LBB34_11:
	s_delay_alu instid0(SALU_CYCLE_1)
	s_or_b32 exec_lo, exec_lo, s9
                                        ; implicit-def: $vgpr6_vgpr7
.LBB34_12:
	s_and_not1_saveexec_b32 s8, s8
	s_cbranch_execz .LBB34_18
; %bb.13:
	v_mov_b32_e32 v3, s5
	s_ashr_i32 s11, s10, 3
	s_mov_b32 s9, exec_lo
	v_cmpx_gt_i32_e64 s11, v17
	s_cbranch_execz .LBB34_17
; %bb.14:
	v_dual_mov_b32 v3, s5 :: v_dual_lshlrev_b32 v8, 4, v17
	v_lshlrev_b32_e32 v9, 1, v19
	s_delay_alu instid0(VALU_DEP_2) | instskip(SKIP_1) | instid1(VALU_DEP_3)
	v_add_co_u32 v6, vcc_lo, v6, v8
	v_add_co_ci_u32_e32 v7, vcc_lo, 0, v7, vcc_lo
	v_add3_u32 v8, v9, v8, 0
	s_delay_alu instid0(VALU_DEP_3) | instskip(NEXT) | instid1(VALU_DEP_3)
	v_add_co_u32 v6, vcc_lo, v6, s2
	v_add_co_ci_u32_e32 v7, vcc_lo, s3, v7, vcc_lo
	v_mov_b32_e32 v9, v17
	s_delay_alu instid0(VALU_DEP_3) | instskip(NEXT) | instid1(VALU_DEP_3)
	v_add_co_u32 v6, vcc_lo, v6, 8
	v_add_co_ci_u32_e32 v7, vcc_lo, 0, v7, vcc_lo
	s_mov_b32 s2, 0
	s_set_inst_prefetch_distance 0x1
	.p2align	6
.LBB34_15:                              ; =>This Inner Loop Header: Depth=1
	global_load_b128 v[10:13], v[6:7], off offset:-8
	v_add_nc_u32_e32 v9, 16, v9
	v_add_co_u32 v6, vcc_lo, 0x100, v6
	v_add_co_ci_u32_e32 v7, vcc_lo, 0, v7, vcc_lo
	s_delay_alu instid0(VALU_DEP_3)
	v_cmp_le_i32_e32 vcc_lo, s11, v9
	s_or_b32 s2, vcc_lo, s2
	s_waitcnt vmcnt(0)
	v_lshlrev_b32_e32 v14, 16, v10
	v_and_b32_e32 v15, 0xffff0000, v10
	v_lshlrev_b32_e32 v16, 16, v11
	v_and_b32_e32 v18, 0xffff0000, v11
	ds_store_b128 v8, v[10:13]
	v_add_nc_u32_e32 v8, 0x100, v8
	v_max3_f32 v3, v3, |v14|, |v15|
	v_lshlrev_b32_e32 v14, 16, v12
	v_and_b32_e32 v15, 0xffff0000, v12
	s_delay_alu instid0(VALU_DEP_3) | instskip(SKIP_2) | instid1(VALU_DEP_3)
	v_max3_f32 v3, v3, |v16|, |v18|
	v_lshlrev_b32_e32 v16, 16, v13
	v_and_b32_e32 v18, 0xffff0000, v13
	v_max3_f32 v3, v3, |v14|, |v15|
	s_delay_alu instid0(VALU_DEP_1)
	v_max3_f32 v3, v3, |v16|, |v18|
	s_and_not1_b32 exec_lo, exec_lo, s2
	s_cbranch_execnz .LBB34_15
; %bb.16:
	s_set_inst_prefetch_distance 0x2
	s_or_b32 exec_lo, exec_lo, s2
.LBB34_17:
	s_delay_alu instid0(SALU_CYCLE_1)
	s_or_b32 exec_lo, exec_lo, s9
.LBB34_18:
	s_delay_alu instid0(SALU_CYCLE_1) | instskip(SKIP_3) | instid1(VALU_DEP_1)
	s_or_b32 exec_lo, exec_lo, s8
	v_mbcnt_lo_u32_b32 v6, -1, 0
	s_load_b64 s[8:9], s[0:1], 0x8
	s_mov_b32 s2, exec_lo
	v_xor_b32_e32 v8, 8, v6
	v_and_b32_e32 v7, 16, v6
	v_xor_b32_e32 v9, 4, v6
	s_delay_alu instid0(VALU_DEP_2) | instskip(NEXT) | instid1(VALU_DEP_1)
	v_add_nc_u32_e32 v7, 16, v7
	v_cmp_lt_i32_e32 vcc_lo, v8, v7
	v_cndmask_b32_e32 v8, v6, v8, vcc_lo
	s_delay_alu instid0(VALU_DEP_1) | instskip(SKIP_4) | instid1(VALU_DEP_2)
	v_lshlrev_b32_e32 v8, 2, v8
	ds_bpermute_b32 v8, v8, v3
	s_waitcnt lgkmcnt(0)
	v_dual_max_f32 v3, v3, v3 :: v_dual_max_f32 v8, v8, v8
	v_cmp_lt_i32_e32 vcc_lo, v9, v7
	v_max_f32_e32 v3, v3, v8
	v_cndmask_b32_e32 v9, v6, v9, vcc_lo
	s_delay_alu instid0(VALU_DEP_1) | instskip(SKIP_2) | instid1(VALU_DEP_1)
	v_lshlrev_b32_e32 v9, 2, v9
	ds_bpermute_b32 v8, v9, v3
	v_xor_b32_e32 v9, 2, v6
	v_cmp_lt_i32_e32 vcc_lo, v9, v7
	v_cndmask_b32_e32 v9, v6, v9, vcc_lo
	s_waitcnt lgkmcnt(0)
	s_delay_alu instid0(VALU_DEP_1) | instskip(NEXT) | instid1(VALU_DEP_1)
	v_dual_max_f32 v8, v8, v8 :: v_dual_lshlrev_b32 v9, 2, v9
	v_max_f32_e32 v3, v3, v8
	ds_bpermute_b32 v8, v9, v3
	v_xor_b32_e32 v9, 1, v6
	s_delay_alu instid0(VALU_DEP_1) | instskip(SKIP_2) | instid1(VALU_DEP_1)
	v_cmp_lt_i32_e32 vcc_lo, v9, v7
	v_cndmask_b32_e32 v6, v6, v9, vcc_lo
	s_waitcnt lgkmcnt(0)
	v_dual_max_f32 v7, v8, v8 :: v_dual_lshlrev_b32 v6, 2, v6
	s_delay_alu instid0(VALU_DEP_1) | instskip(SKIP_3) | instid1(VALU_DEP_1)
	v_max_f32_e32 v3, v3, v7
	ds_bpermute_b32 v6, v6, v3
	s_waitcnt lgkmcnt(0)
	v_max_f32_e32 v6, v6, v6
	v_max_f32_e32 v3, v3, v6
	s_delay_alu instid0(VALU_DEP_1) | instskip(SKIP_1) | instid1(VALU_DEP_2)
	v_div_scale_f32 v6, null, s7, s7, v3
	v_div_scale_f32 v9, vcc_lo, v3, s7, v3
	v_rcp_f32_e32 v7, v6
	s_waitcnt_depctr 0xfff
	v_fma_f32 v8, -v6, v7, 1.0
	s_delay_alu instid0(VALU_DEP_1) | instskip(NEXT) | instid1(VALU_DEP_1)
	v_fmac_f32_e32 v7, v8, v7
	v_mul_f32_e32 v8, v9, v7
	s_delay_alu instid0(VALU_DEP_1) | instskip(NEXT) | instid1(VALU_DEP_1)
	v_fma_f32 v10, -v6, v8, v9
	v_fmac_f32_e32 v8, v10, v7
	s_delay_alu instid0(VALU_DEP_1) | instskip(NEXT) | instid1(VALU_DEP_1)
	v_fma_f32 v6, -v6, v8, v9
	v_div_fmas_f32 v6, v6, v7, v8
	s_delay_alu instid0(VALU_DEP_1) | instskip(NEXT) | instid1(VALU_DEP_1)
	v_div_fixup_f32 v3, v6, s7, v3
	v_max_f32_e64 v3, 0x2edbe6ff, |v3|
	s_delay_alu instid0(VALU_DEP_1) | instskip(SKIP_1) | instid1(VALU_DEP_1)
	v_cmp_gt_f32_e32 vcc_lo, 0x800000, v3
	v_cndmask_b32_e64 v6, 1.0, 0x4f800000, vcc_lo
	v_mul_f32_e32 v3, v3, v6
	v_cndmask_b32_e64 v6, 0, 0x42000000, vcc_lo
	s_delay_alu instid0(VALU_DEP_2) | instskip(SKIP_2) | instid1(VALU_DEP_1)
	v_log_f32_e32 v3, v3
	s_waitcnt_depctr 0xfff
	v_sub_f32_e32 v3, v3, v6
	v_ceil_f32_e32 v3, v3
	s_delay_alu instid0(VALU_DEP_1) | instskip(SKIP_1) | instid1(VALU_DEP_1)
	v_cmp_gt_f32_e32 vcc_lo, 0xc2fc0000, v3
	v_cndmask_b32_e64 v6, 0, 0x42800000, vcc_lo
	v_add_f32_e32 v3, v3, v6
	v_cndmask_b32_e64 v6, 1.0, 0x1f800000, vcc_lo
	s_delay_alu instid0(VALU_DEP_2)
	v_exp_f32_e32 v3, v3
	s_waitcnt_depctr 0xfff
	v_mul_f32_e32 v18, v3, v6
	v_cmpx_eq_u32_e32 0, v17
	s_cbranch_execz .LBB34_20
; %bb.19:
	s_load_b64 s[0:1], s[0:1], 0x10
	v_lshlrev_b64 v[1:2], 2, v[1:2]
	s_waitcnt lgkmcnt(0)
	s_delay_alu instid0(VALU_DEP_1) | instskip(NEXT) | instid1(VALU_DEP_2)
	v_add_co_u32 v1, vcc_lo, s0, v1
	v_add_co_ci_u32_e32 v2, vcc_lo, s1, v2, vcc_lo
	global_store_b32 v[1:2], v18, off
.LBB34_20:
	s_or_b32 exec_lo, exec_lo, s2
	v_dual_mov_b32 v2, 0 :: v_dual_and_b32 v1, 15, v0
	s_xor_b32 s0, s4, -1
	s_waitcnt_vscnt null, 0x0
	s_barrier
	buffer_gl0_inv
	v_cmp_ne_u64_e32 vcc_lo, 0, v[1:2]
	s_or_b32 s0, s0, vcc_lo
	s_delay_alu instid0(SALU_CYCLE_1) | instskip(NEXT) | instid1(SALU_CYCLE_1)
	s_and_saveexec_b32 s1, s0
	s_xor_b32 s11, exec_lo, s1
	s_cbranch_execz .LBB34_115
; %bb.21:
	v_sub_nc_u32_e32 v1, 0, v0
	v_add_co_u32 v24, vcc_lo, s8, v4
	v_add_co_ci_u32_e32 v25, vcc_lo, s9, v5, vcc_lo
	s_delay_alu instid0(VALU_DEP_3) | instskip(SKIP_1) | instid1(VALU_DEP_1)
	v_bfe_u32 v1, v1, 1, 3
	s_mov_b32 s0, exec_lo
	v_min_i32_e32 v21, s10, v1
	s_delay_alu instid0(VALU_DEP_1)
	v_cmpx_gt_i32_e64 v21, v17
	s_cbranch_execz .LBB34_29
; %bb.22:
	v_lshl_add_u32 v0, v17, 1, v0
	s_mov_b32 s1, exec_lo
	ds_load_u16 v0, v0
	s_waitcnt lgkmcnt(0)
	v_lshlrev_b32_e32 v0, 16, v0
	s_delay_alu instid0(VALU_DEP_1) | instskip(SKIP_1) | instid1(VALU_DEP_2)
	v_div_scale_f32 v1, null, v18, v18, v0
	v_div_scale_f32 v6, vcc_lo, v0, v18, v0
	v_rcp_f32_e32 v2, v1
	s_waitcnt_depctr 0xfff
	v_fma_f32 v3, -v1, v2, 1.0
	s_delay_alu instid0(VALU_DEP_1) | instskip(NEXT) | instid1(VALU_DEP_1)
	v_fmac_f32_e32 v2, v3, v2
	v_mul_f32_e32 v3, v6, v2
	s_delay_alu instid0(VALU_DEP_1) | instskip(NEXT) | instid1(VALU_DEP_1)
	v_fma_f32 v7, -v1, v3, v6
	v_fmac_f32_e32 v3, v7, v2
	s_delay_alu instid0(VALU_DEP_1) | instskip(NEXT) | instid1(VALU_DEP_1)
	v_fma_f32 v1, -v1, v3, v6
	v_div_fmas_f32 v1, v1, v2, v3
	v_max_f32_e64 v2, s6, s6
	v_max_f32_e64 v3, s7, s7
	s_delay_alu instid0(VALU_DEP_3) | instskip(NEXT) | instid1(VALU_DEP_1)
	v_div_fixup_f32 v0, v1, v18, v0
	v_maxmin_f32 v0, v0, v2, v3
	v_mov_b32_e32 v2, 0x80
	s_delay_alu instid0(VALU_DEP_2) | instskip(NEXT) | instid1(VALU_DEP_1)
	v_and_b32_e32 v1, 0x7fffffff, v0
	v_cmpx_gt_u32_e32 0x43800000, v1
	s_cbranch_execz .LBB34_28
; %bb.23:
	v_cmp_lt_u32_e32 vcc_lo, 0x3bffffff, v1
	s_mov_b32 s2, 0
                                        ; implicit-def: $vgpr1
	s_and_saveexec_b32 s3, vcc_lo
	s_delay_alu instid0(SALU_CYCLE_1)
	s_xor_b32 s3, exec_lo, s3
	s_cbranch_execnz .LBB34_184
; %bb.24:
	s_or_saveexec_b32 s3, s3
                                        ; implicit-def: $sgpr4
	s_delay_alu instid0(SALU_CYCLE_1)
	s_xor_b32 exec_lo, exec_lo, s3
	s_cbranch_execnz .LBB34_185
.LBB34_25:
	s_or_b32 exec_lo, exec_lo, s3
	v_mov_b32_e32 v2, s4
	s_and_saveexec_b32 s3, s2
.LBB34_26:
	v_lshrrev_b32_e32 v0, 24, v0
	s_delay_alu instid0(VALU_DEP_1)
	v_and_or_b32 v2, 0x80, v0, v1
.LBB34_27:
	s_or_b32 exec_lo, exec_lo, s3
.LBB34_28:
	s_delay_alu instid0(SALU_CYCLE_1)
	s_or_b32 exec_lo, exec_lo, s1
	v_add_co_u32 v0, vcc_lo, v24, v17
	v_add_co_ci_u32_e32 v1, vcc_lo, 0, v25, vcc_lo
	global_store_b8 v[0:1], v2, off
.LBB34_29:
	s_or_b32 exec_lo, exec_lo, s0
	v_sub_nc_u32_e32 v20, s10, v21
	v_ashrrev_i32_e32 v22, 31, v21
	v_lshlrev_b32_e32 v23, 1, v21
	s_mov_b32 s2, exec_lo
	s_delay_alu instid0(VALU_DEP_3) | instskip(NEXT) | instid1(VALU_DEP_1)
	v_ashrrev_i32_e32 v0, 31, v20
	v_lshrrev_b32_e32 v0, 29, v0
	s_delay_alu instid0(VALU_DEP_1) | instskip(NEXT) | instid1(VALU_DEP_1)
	v_add_nc_u32_e32 v0, v20, v0
	v_ashrrev_i32_e32 v26, 3, v0
	s_delay_alu instid0(VALU_DEP_1)
	v_cmpx_gt_i32_e64 v26, v17
	s_cbranch_execz .LBB34_96
; %bb.30:
	v_lshlrev_b32_e32 v0, 4, v17
	v_dual_mov_b32 v30, v17 :: v_dual_lshlrev_b32 v1, 3, v17
	v_add_co_u32 v2, vcc_lo, v21, v4
	v_add_co_ci_u32_e32 v3, vcc_lo, v22, v5, vcc_lo
	s_delay_alu instid0(VALU_DEP_4) | instskip(SKIP_1) | instid1(VALU_DEP_4)
	v_lshl_add_u32 v0, v19, 1, v0
	v_lshlrev_b32_e32 v6, 1, v21
	v_add_co_u32 v1, vcc_lo, v2, v1
	s_delay_alu instid0(VALU_DEP_4) | instskip(NEXT) | instid1(VALU_DEP_3)
	v_add_co_ci_u32_e32 v2, vcc_lo, 0, v3, vcc_lo
	v_add3_u32 v27, v0, v6, 0
	s_delay_alu instid0(VALU_DEP_3) | instskip(NEXT) | instid1(VALU_DEP_3)
	v_add_co_u32 v6, vcc_lo, s8, v1
	v_add_co_ci_u32_e32 v7, vcc_lo, s9, v2, vcc_lo
	v_max_f32_e64 v28, s6, s6
	v_max_f32_e64 v29, s7, s7
	s_mov_b32 s3, 0
	s_branch .LBB34_33
.LBB34_31:                              ;   in Loop: Header=BB34_33 Depth=1
	s_or_b32 exec_lo, exec_lo, s0
.LBB34_32:                              ;   in Loop: Header=BB34_33 Depth=1
	s_delay_alu instid0(SALU_CYCLE_1)
	s_or_b32 exec_lo, exec_lo, s4
	v_lshlrev_b32_e32 v2, 16, v15
	v_lshlrev_b32_e32 v3, 16, v13
	v_lshlrev_b32_e32 v1, 24, v1
	v_lshlrev_b32_e32 v9, 8, v14
	v_lshlrev_b32_e32 v8, 8, v8
	v_and_b32_e32 v2, 0xff0000, v2
	v_perm_b32 v3, v11, v3, 0x4020c0c
	v_and_b32_e32 v0, 0xff, v0
	v_and_b32_e32 v10, 0xff, v10
	;; [unrolled: 1-line block ×3, first 2 shown]
	v_or_b32_e32 v1, v1, v2
	v_and_or_b32 v2, 0xff00, v8, v3
	v_add_nc_u32_e32 v30, 16, v30
	v_add_nc_u32_e32 v27, 0x100, v27
	s_delay_alu instid0(VALU_DEP_4) | instskip(NEXT) | instid1(VALU_DEP_4)
	v_or3_b32 v1, v1, v9, v0
	v_or_b32_e32 v0, v2, v10
	s_delay_alu instid0(VALU_DEP_4) | instskip(SKIP_2) | instid1(VALU_DEP_1)
	v_cmp_ge_i32_e32 vcc_lo, v30, v26
	global_store_b64 v[6:7], v[0:1], off
	v_add_co_u32 v6, s0, 0x80, v6
	v_add_co_ci_u32_e64 v7, s0, 0, v7, s0
	s_or_b32 s3, vcc_lo, s3
	s_delay_alu instid0(SALU_CYCLE_1)
	s_and_not1_b32 exec_lo, exec_lo, s3
	s_cbranch_execz .LBB34_96
.LBB34_33:                              ; =>This Inner Loop Header: Depth=1
	ds_load_b128 v[0:3], v27
	s_mov_b32 s4, exec_lo
	s_waitcnt lgkmcnt(0)
	v_lshlrev_b32_e32 v8, 16, v0
	s_delay_alu instid0(VALU_DEP_1) | instskip(SKIP_1) | instid1(VALU_DEP_2)
	v_div_scale_f32 v9, null, v18, v18, v8
	v_div_scale_f32 v12, vcc_lo, v8, v18, v8
	v_rcp_f32_e32 v10, v9
	s_waitcnt_depctr 0xfff
	v_fma_f32 v11, -v9, v10, 1.0
	s_delay_alu instid0(VALU_DEP_1) | instskip(NEXT) | instid1(VALU_DEP_1)
	v_fmac_f32_e32 v10, v11, v10
	v_mul_f32_e32 v11, v12, v10
	s_delay_alu instid0(VALU_DEP_1) | instskip(NEXT) | instid1(VALU_DEP_1)
	v_fma_f32 v13, -v9, v11, v12
	v_fmac_f32_e32 v11, v13, v10
	s_delay_alu instid0(VALU_DEP_1) | instskip(NEXT) | instid1(VALU_DEP_1)
	v_fma_f32 v9, -v9, v11, v12
	v_div_fmas_f32 v9, v9, v10, v11
	s_delay_alu instid0(VALU_DEP_1) | instskip(NEXT) | instid1(VALU_DEP_1)
	v_div_fixup_f32 v8, v9, v18, v8
	v_maxmin_f32 v12, v8, v28, v29
	v_mov_b32_e32 v8, 0x80
	v_mov_b32_e32 v9, 0
	s_delay_alu instid0(VALU_DEP_3) | instskip(NEXT) | instid1(VALU_DEP_2)
	v_and_b32_e32 v13, 0x7fffffff, v12
	v_dual_mov_b32 v11, v9 :: v_dual_mov_b32 v10, v8
	s_delay_alu instid0(VALU_DEP_2)
	v_cmpx_gt_u32_e32 0x43800000, v13
	s_cbranch_execz .LBB34_41
; %bb.34:                               ;   in Loop: Header=BB34_33 Depth=1
	s_mov_b32 s5, 0
	s_mov_b32 s0, exec_lo
                                        ; implicit-def: $vgpr9
	v_cmpx_lt_u32_e32 0x3bffffff, v13
	s_xor_b32 s0, exec_lo, s0
; %bb.35:                               ;   in Loop: Header=BB34_33 Depth=1
	v_bfe_u32 v9, v12, 20, 1
	s_mov_b32 s5, exec_lo
	s_delay_alu instid0(VALU_DEP_1) | instskip(NEXT) | instid1(VALU_DEP_1)
	v_add3_u32 v9, v12, v9, 0x487ffff
	v_lshrrev_b32_e32 v9, 20, v9
; %bb.36:                               ;   in Loop: Header=BB34_33 Depth=1
	s_or_saveexec_b32 s12, s0
                                        ; implicit-def: $sgpr0_sgpr1
	s_delay_alu instid0(SALU_CYCLE_1)
	s_xor_b32 exec_lo, exec_lo, s12
; %bb.37:                               ;   in Loop: Header=BB34_33 Depth=1
	v_add_f32_e64 v9, 0x46000000, |v12|
	s_and_not1_b32 s5, s5, exec_lo
	s_mov_b64 s[0:1], 0
	s_delay_alu instid0(VALU_DEP_1) | instskip(NEXT) | instid1(VALU_DEP_1)
	v_and_b32_e32 v9, 0xff, v9
	v_cmp_ne_u32_e32 vcc_lo, 0, v9
	s_and_b32 s13, vcc_lo, exec_lo
	s_delay_alu instid0(SALU_CYCLE_1)
	s_or_b32 s5, s5, s13
; %bb.38:                               ;   in Loop: Header=BB34_33 Depth=1
	s_or_b32 exec_lo, exec_lo, s12
	v_dual_mov_b32 v11, s1 :: v_dual_mov_b32 v10, s0
	s_and_saveexec_b32 s0, s5
; %bb.39:                               ;   in Loop: Header=BB34_33 Depth=1
	v_lshrrev_b32_e32 v10, 24, v12
	s_delay_alu instid0(VALU_DEP_1)
	v_and_or_b32 v10, 0x80, v10, v9
; %bb.40:                               ;   in Loop: Header=BB34_33 Depth=1
	s_or_b32 exec_lo, exec_lo, s0
.LBB34_41:                              ;   in Loop: Header=BB34_33 Depth=1
	s_delay_alu instid0(SALU_CYCLE_1) | instskip(SKIP_2) | instid1(VALU_DEP_1)
	s_or_b32 exec_lo, exec_lo, s4
	v_and_b32_e32 v0, 0xffff0000, v0
	s_mov_b32 s4, exec_lo
	v_div_scale_f32 v9, null, v18, v18, v0
	s_delay_alu instid0(VALU_DEP_1) | instskip(SKIP_2) | instid1(VALU_DEP_1)
	v_rcp_f32_e32 v11, v9
	s_waitcnt_depctr 0xfff
	v_fma_f32 v12, -v9, v11, 1.0
	v_fmac_f32_e32 v11, v12, v11
	v_div_scale_f32 v12, vcc_lo, v0, v18, v0
	s_delay_alu instid0(VALU_DEP_1) | instskip(NEXT) | instid1(VALU_DEP_1)
	v_mul_f32_e32 v13, v12, v11
	v_fma_f32 v14, -v9, v13, v12
	s_delay_alu instid0(VALU_DEP_1) | instskip(NEXT) | instid1(VALU_DEP_1)
	v_fmac_f32_e32 v13, v14, v11
	v_fma_f32 v9, -v9, v13, v12
	s_delay_alu instid0(VALU_DEP_1) | instskip(NEXT) | instid1(VALU_DEP_1)
	v_div_fmas_f32 v9, v9, v11, v13
	v_div_fixup_f32 v0, v9, v18, v0
	s_delay_alu instid0(VALU_DEP_1) | instskip(NEXT) | instid1(VALU_DEP_1)
	v_maxmin_f32 v0, v0, v28, v29
	v_and_b32_e32 v9, 0x7fffffff, v0
	s_delay_alu instid0(VALU_DEP_1)
	v_cmpx_gt_u32_e32 0x43800000, v9
	s_cbranch_execz .LBB34_49
; %bb.42:                               ;   in Loop: Header=BB34_33 Depth=1
	s_mov_b32 s5, 0
	s_mov_b32 s0, exec_lo
                                        ; implicit-def: $vgpr11
	v_cmpx_lt_u32_e32 0x3bffffff, v9
	s_xor_b32 s0, exec_lo, s0
; %bb.43:                               ;   in Loop: Header=BB34_33 Depth=1
	v_bfe_u32 v8, v0, 20, 1
	s_mov_b32 s5, exec_lo
	s_delay_alu instid0(VALU_DEP_1) | instskip(NEXT) | instid1(VALU_DEP_1)
	v_add3_u32 v8, v0, v8, 0x487ffff
	v_lshrrev_b32_e32 v11, 20, v8
; %bb.44:                               ;   in Loop: Header=BB34_33 Depth=1
	s_or_saveexec_b32 s12, s0
                                        ; implicit-def: $sgpr0_sgpr1
	s_delay_alu instid0(SALU_CYCLE_1)
	s_xor_b32 exec_lo, exec_lo, s12
; %bb.45:                               ;   in Loop: Header=BB34_33 Depth=1
	v_add_f32_e64 v8, 0x46000000, |v0|
	s_and_not1_b32 s5, s5, exec_lo
	s_mov_b64 s[0:1], 0
	s_delay_alu instid0(VALU_DEP_1) | instskip(NEXT) | instid1(VALU_DEP_1)
	v_and_b32_e32 v11, 0xff, v8
	v_cmp_ne_u32_e32 vcc_lo, 0, v11
	s_and_b32 s13, vcc_lo, exec_lo
	s_delay_alu instid0(SALU_CYCLE_1)
	s_or_b32 s5, s5, s13
; %bb.46:                               ;   in Loop: Header=BB34_33 Depth=1
	s_or_b32 exec_lo, exec_lo, s12
	v_dual_mov_b32 v9, s1 :: v_dual_mov_b32 v8, s0
	s_and_saveexec_b32 s0, s5
; %bb.47:                               ;   in Loop: Header=BB34_33 Depth=1
	v_lshrrev_b32_e32 v0, 24, v0
	s_delay_alu instid0(VALU_DEP_1)
	v_and_or_b32 v8, 0x80, v0, v11
; %bb.48:                               ;   in Loop: Header=BB34_33 Depth=1
	s_or_b32 exec_lo, exec_lo, s0
.LBB34_49:                              ;   in Loop: Header=BB34_33 Depth=1
	s_delay_alu instid0(SALU_CYCLE_1) | instskip(SKIP_2) | instid1(VALU_DEP_1)
	s_or_b32 exec_lo, exec_lo, s4
	v_lshlrev_b32_e32 v0, 16, v1
	s_mov_b32 s4, exec_lo
	v_div_scale_f32 v9, null, v18, v18, v0
	s_delay_alu instid0(VALU_DEP_1) | instskip(SKIP_2) | instid1(VALU_DEP_1)
	v_rcp_f32_e32 v11, v9
	s_waitcnt_depctr 0xfff
	v_fma_f32 v12, -v9, v11, 1.0
	v_fmac_f32_e32 v11, v12, v11
	v_div_scale_f32 v13, vcc_lo, v0, v18, v0
	s_delay_alu instid0(VALU_DEP_1) | instskip(NEXT) | instid1(VALU_DEP_1)
	v_mul_f32_e32 v12, v13, v11
	v_fma_f32 v14, -v9, v12, v13
	s_delay_alu instid0(VALU_DEP_1) | instskip(NEXT) | instid1(VALU_DEP_1)
	v_fmac_f32_e32 v12, v14, v11
	v_fma_f32 v9, -v9, v12, v13
	s_delay_alu instid0(VALU_DEP_1) | instskip(SKIP_2) | instid1(VALU_DEP_3)
	v_div_fmas_f32 v9, v9, v11, v12
	v_mov_b32_e32 v11, 0x80
	v_mov_b32_e32 v12, 0
	v_div_fixup_f32 v0, v9, v18, v0
	s_delay_alu instid0(VALU_DEP_2) | instskip(NEXT) | instid1(VALU_DEP_2)
	v_dual_mov_b32 v14, v12 :: v_dual_mov_b32 v13, v11
	v_maxmin_f32 v0, v0, v28, v29
	s_delay_alu instid0(VALU_DEP_1) | instskip(NEXT) | instid1(VALU_DEP_1)
	v_and_b32_e32 v9, 0x7fffffff, v0
	v_cmpx_gt_u32_e32 0x43800000, v9
	s_cbranch_execz .LBB34_57
; %bb.50:                               ;   in Loop: Header=BB34_33 Depth=1
	v_cmp_lt_u32_e32 vcc_lo, 0x3bffffff, v9
	s_mov_b32 s5, 0
                                        ; implicit-def: $vgpr9
	s_and_saveexec_b32 s0, vcc_lo
	s_delay_alu instid0(SALU_CYCLE_1)
	s_xor_b32 s0, exec_lo, s0
; %bb.51:                               ;   in Loop: Header=BB34_33 Depth=1
	v_bfe_u32 v9, v0, 20, 1
	s_mov_b32 s5, exec_lo
	s_delay_alu instid0(VALU_DEP_1) | instskip(NEXT) | instid1(VALU_DEP_1)
	v_add3_u32 v9, v0, v9, 0x487ffff
	v_lshrrev_b32_e32 v9, 20, v9
; %bb.52:                               ;   in Loop: Header=BB34_33 Depth=1
	s_or_saveexec_b32 s12, s0
                                        ; implicit-def: $sgpr0_sgpr1
	s_delay_alu instid0(SALU_CYCLE_1)
	s_xor_b32 exec_lo, exec_lo, s12
; %bb.53:                               ;   in Loop: Header=BB34_33 Depth=1
	v_add_f32_e64 v9, 0x46000000, |v0|
	s_and_not1_b32 s5, s5, exec_lo
	s_mov_b64 s[0:1], 0
	s_delay_alu instid0(VALU_DEP_1) | instskip(NEXT) | instid1(VALU_DEP_1)
	v_and_b32_e32 v9, 0xff, v9
	v_cmp_ne_u32_e32 vcc_lo, 0, v9
	s_and_b32 s13, vcc_lo, exec_lo
	s_delay_alu instid0(SALU_CYCLE_1)
	s_or_b32 s5, s5, s13
; %bb.54:                               ;   in Loop: Header=BB34_33 Depth=1
	s_or_b32 exec_lo, exec_lo, s12
	v_dual_mov_b32 v14, s1 :: v_dual_mov_b32 v13, s0
	s_and_saveexec_b32 s0, s5
; %bb.55:                               ;   in Loop: Header=BB34_33 Depth=1
	v_lshrrev_b32_e32 v0, 24, v0
	s_delay_alu instid0(VALU_DEP_1)
	v_and_or_b32 v13, 0x80, v0, v9
; %bb.56:                               ;   in Loop: Header=BB34_33 Depth=1
	s_or_b32 exec_lo, exec_lo, s0
.LBB34_57:                              ;   in Loop: Header=BB34_33 Depth=1
	s_delay_alu instid0(SALU_CYCLE_1) | instskip(SKIP_2) | instid1(VALU_DEP_1)
	s_or_b32 exec_lo, exec_lo, s4
	v_and_b32_e32 v0, 0xffff0000, v1
	s_mov_b32 s4, exec_lo
	v_div_scale_f32 v1, null, v18, v18, v0
	s_delay_alu instid0(VALU_DEP_1) | instskip(SKIP_2) | instid1(VALU_DEP_1)
	v_rcp_f32_e32 v9, v1
	s_waitcnt_depctr 0xfff
	v_fma_f32 v12, -v1, v9, 1.0
	v_fmac_f32_e32 v9, v12, v9
	v_div_scale_f32 v12, vcc_lo, v0, v18, v0
	s_delay_alu instid0(VALU_DEP_1) | instskip(NEXT) | instid1(VALU_DEP_1)
	v_mul_f32_e32 v14, v12, v9
	v_fma_f32 v15, -v1, v14, v12
	s_delay_alu instid0(VALU_DEP_1) | instskip(NEXT) | instid1(VALU_DEP_1)
	v_fmac_f32_e32 v14, v15, v9
	v_fma_f32 v1, -v1, v14, v12
	s_delay_alu instid0(VALU_DEP_1) | instskip(NEXT) | instid1(VALU_DEP_1)
	v_div_fmas_f32 v1, v1, v9, v14
	v_div_fixup_f32 v0, v1, v18, v0
	s_delay_alu instid0(VALU_DEP_1) | instskip(NEXT) | instid1(VALU_DEP_1)
	v_maxmin_f32 v0, v0, v28, v29
	v_and_b32_e32 v1, 0x7fffffff, v0
	s_delay_alu instid0(VALU_DEP_1)
	v_cmpx_gt_u32_e32 0x43800000, v1
	s_cbranch_execz .LBB34_65
; %bb.58:                               ;   in Loop: Header=BB34_33 Depth=1
	v_cmp_lt_u32_e32 vcc_lo, 0x3bffffff, v1
	s_mov_b32 s5, 0
                                        ; implicit-def: $vgpr1
	s_and_saveexec_b32 s0, vcc_lo
	s_delay_alu instid0(SALU_CYCLE_1)
	s_xor_b32 s0, exec_lo, s0
; %bb.59:                               ;   in Loop: Header=BB34_33 Depth=1
	v_bfe_u32 v1, v0, 20, 1
	s_mov_b32 s5, exec_lo
	s_delay_alu instid0(VALU_DEP_1) | instskip(NEXT) | instid1(VALU_DEP_1)
	v_add3_u32 v1, v0, v1, 0x487ffff
	v_lshrrev_b32_e32 v1, 20, v1
; %bb.60:                               ;   in Loop: Header=BB34_33 Depth=1
	s_or_saveexec_b32 s12, s0
                                        ; implicit-def: $sgpr0_sgpr1
	s_delay_alu instid0(SALU_CYCLE_1)
	s_xor_b32 exec_lo, exec_lo, s12
; %bb.61:                               ;   in Loop: Header=BB34_33 Depth=1
	v_add_f32_e64 v1, 0x46000000, |v0|
	s_and_not1_b32 s5, s5, exec_lo
	s_mov_b64 s[0:1], 0
	s_delay_alu instid0(VALU_DEP_1) | instskip(NEXT) | instid1(VALU_DEP_1)
	v_and_b32_e32 v1, 0xff, v1
	v_cmp_ne_u32_e32 vcc_lo, 0, v1
	s_and_b32 s13, vcc_lo, exec_lo
	s_delay_alu instid0(SALU_CYCLE_1)
	s_or_b32 s5, s5, s13
; %bb.62:                               ;   in Loop: Header=BB34_33 Depth=1
	s_or_b32 exec_lo, exec_lo, s12
	v_dual_mov_b32 v12, s1 :: v_dual_mov_b32 v11, s0
	s_and_saveexec_b32 s0, s5
; %bb.63:                               ;   in Loop: Header=BB34_33 Depth=1
	v_lshrrev_b32_e32 v0, 24, v0
	s_delay_alu instid0(VALU_DEP_1)
	v_and_or_b32 v11, 0x80, v0, v1
; %bb.64:                               ;   in Loop: Header=BB34_33 Depth=1
	s_or_b32 exec_lo, exec_lo, s0
.LBB34_65:                              ;   in Loop: Header=BB34_33 Depth=1
	s_delay_alu instid0(SALU_CYCLE_1) | instskip(SKIP_2) | instid1(VALU_DEP_1)
	s_or_b32 exec_lo, exec_lo, s4
	v_lshlrev_b32_e32 v0, 16, v2
	s_mov_b32 s4, exec_lo
	v_div_scale_f32 v1, null, v18, v18, v0
	s_delay_alu instid0(VALU_DEP_1) | instskip(SKIP_2) | instid1(VALU_DEP_1)
	v_rcp_f32_e32 v9, v1
	s_waitcnt_depctr 0xfff
	v_fma_f32 v12, -v1, v9, 1.0
	v_fmac_f32_e32 v9, v12, v9
	v_div_scale_f32 v14, vcc_lo, v0, v18, v0
	s_delay_alu instid0(VALU_DEP_1) | instskip(NEXT) | instid1(VALU_DEP_1)
	v_mul_f32_e32 v12, v14, v9
	v_fma_f32 v15, -v1, v12, v14
	s_delay_alu instid0(VALU_DEP_1) | instskip(NEXT) | instid1(VALU_DEP_1)
	v_fmac_f32_e32 v12, v15, v9
	v_fma_f32 v1, -v1, v12, v14
	v_mov_b32_e32 v14, 0x80
	v_mov_b32_e32 v15, 0
	s_delay_alu instid0(VALU_DEP_3) | instskip(NEXT) | instid1(VALU_DEP_1)
	v_div_fmas_f32 v1, v1, v9, v12
	v_div_fixup_f32 v0, v1, v18, v0
	s_delay_alu instid0(VALU_DEP_1) | instskip(NEXT) | instid1(VALU_DEP_4)
	v_maxmin_f32 v9, v0, v28, v29
	v_dual_mov_b32 v0, v14 :: v_dual_mov_b32 v1, v15
	s_delay_alu instid0(VALU_DEP_2) | instskip(NEXT) | instid1(VALU_DEP_1)
	v_and_b32_e32 v12, 0x7fffffff, v9
	v_cmpx_gt_u32_e32 0x43800000, v12
	s_cbranch_execz .LBB34_73
; %bb.66:                               ;   in Loop: Header=BB34_33 Depth=1
	v_cmp_lt_u32_e32 vcc_lo, 0x3bffffff, v12
	s_mov_b32 s5, 0
                                        ; implicit-def: $vgpr12
	s_and_saveexec_b32 s0, vcc_lo
	s_delay_alu instid0(SALU_CYCLE_1)
	s_xor_b32 s0, exec_lo, s0
; %bb.67:                               ;   in Loop: Header=BB34_33 Depth=1
	v_bfe_u32 v0, v9, 20, 1
	s_mov_b32 s5, exec_lo
	s_delay_alu instid0(VALU_DEP_1) | instskip(NEXT) | instid1(VALU_DEP_1)
	v_add3_u32 v0, v9, v0, 0x487ffff
	v_lshrrev_b32_e32 v12, 20, v0
; %bb.68:                               ;   in Loop: Header=BB34_33 Depth=1
	s_or_saveexec_b32 s12, s0
                                        ; implicit-def: $sgpr0_sgpr1
	s_delay_alu instid0(SALU_CYCLE_1)
	s_xor_b32 exec_lo, exec_lo, s12
; %bb.69:                               ;   in Loop: Header=BB34_33 Depth=1
	v_add_f32_e64 v0, 0x46000000, |v9|
	s_and_not1_b32 s5, s5, exec_lo
	s_mov_b64 s[0:1], 0
	s_delay_alu instid0(VALU_DEP_1) | instskip(NEXT) | instid1(VALU_DEP_1)
	v_and_b32_e32 v12, 0xff, v0
	v_cmp_ne_u32_e32 vcc_lo, 0, v12
	s_and_b32 s13, vcc_lo, exec_lo
	s_delay_alu instid0(SALU_CYCLE_1)
	s_or_b32 s5, s5, s13
; %bb.70:                               ;   in Loop: Header=BB34_33 Depth=1
	s_or_b32 exec_lo, exec_lo, s12
	v_dual_mov_b32 v0, s0 :: v_dual_mov_b32 v1, s1
	s_and_saveexec_b32 s0, s5
; %bb.71:                               ;   in Loop: Header=BB34_33 Depth=1
	v_lshrrev_b32_e32 v0, 24, v9
	s_delay_alu instid0(VALU_DEP_1)
	v_and_or_b32 v0, 0x80, v0, v12
; %bb.72:                               ;   in Loop: Header=BB34_33 Depth=1
	s_or_b32 exec_lo, exec_lo, s0
.LBB34_73:                              ;   in Loop: Header=BB34_33 Depth=1
	s_delay_alu instid0(SALU_CYCLE_1) | instskip(SKIP_2) | instid1(VALU_DEP_1)
	s_or_b32 exec_lo, exec_lo, s4
	v_and_b32_e32 v1, 0xffff0000, v2
	s_mov_b32 s4, exec_lo
	v_div_scale_f32 v2, null, v18, v18, v1
	s_delay_alu instid0(VALU_DEP_1) | instskip(SKIP_2) | instid1(VALU_DEP_1)
	v_rcp_f32_e32 v9, v2
	s_waitcnt_depctr 0xfff
	v_fma_f32 v12, -v2, v9, 1.0
	v_fmac_f32_e32 v9, v12, v9
	v_div_scale_f32 v12, vcc_lo, v1, v18, v1
	s_delay_alu instid0(VALU_DEP_1) | instskip(NEXT) | instid1(VALU_DEP_1)
	v_mul_f32_e32 v15, v12, v9
	v_fma_f32 v16, -v2, v15, v12
	s_delay_alu instid0(VALU_DEP_1) | instskip(NEXT) | instid1(VALU_DEP_1)
	v_fmac_f32_e32 v15, v16, v9
	v_fma_f32 v2, -v2, v15, v12
	s_delay_alu instid0(VALU_DEP_1) | instskip(NEXT) | instid1(VALU_DEP_1)
	v_div_fmas_f32 v2, v2, v9, v15
	v_div_fixup_f32 v1, v2, v18, v1
	s_delay_alu instid0(VALU_DEP_1) | instskip(NEXT) | instid1(VALU_DEP_1)
	v_maxmin_f32 v1, v1, v28, v29
	v_and_b32_e32 v2, 0x7fffffff, v1
	s_delay_alu instid0(VALU_DEP_1)
	v_cmpx_gt_u32_e32 0x43800000, v2
	s_cbranch_execz .LBB34_81
; %bb.74:                               ;   in Loop: Header=BB34_33 Depth=1
	v_cmp_lt_u32_e32 vcc_lo, 0x3bffffff, v2
	s_mov_b32 s5, 0
                                        ; implicit-def: $vgpr2
	s_and_saveexec_b32 s0, vcc_lo
	s_delay_alu instid0(SALU_CYCLE_1)
	s_xor_b32 s0, exec_lo, s0
; %bb.75:                               ;   in Loop: Header=BB34_33 Depth=1
	v_bfe_u32 v2, v1, 20, 1
	s_mov_b32 s5, exec_lo
	s_delay_alu instid0(VALU_DEP_1) | instskip(NEXT) | instid1(VALU_DEP_1)
	v_add3_u32 v2, v1, v2, 0x487ffff
	v_lshrrev_b32_e32 v2, 20, v2
; %bb.76:                               ;   in Loop: Header=BB34_33 Depth=1
	s_or_saveexec_b32 s12, s0
                                        ; implicit-def: $sgpr0_sgpr1
	s_delay_alu instid0(SALU_CYCLE_1)
	s_xor_b32 exec_lo, exec_lo, s12
; %bb.77:                               ;   in Loop: Header=BB34_33 Depth=1
	v_add_f32_e64 v2, 0x46000000, |v1|
	s_and_not1_b32 s5, s5, exec_lo
	s_mov_b64 s[0:1], 0
	s_delay_alu instid0(VALU_DEP_1) | instskip(NEXT) | instid1(VALU_DEP_1)
	v_and_b32_e32 v2, 0xff, v2
	v_cmp_ne_u32_e32 vcc_lo, 0, v2
	s_and_b32 s13, vcc_lo, exec_lo
	s_delay_alu instid0(SALU_CYCLE_1)
	s_or_b32 s5, s5, s13
; %bb.78:                               ;   in Loop: Header=BB34_33 Depth=1
	s_or_b32 exec_lo, exec_lo, s12
	v_dual_mov_b32 v15, s1 :: v_dual_mov_b32 v14, s0
	s_and_saveexec_b32 s0, s5
; %bb.79:                               ;   in Loop: Header=BB34_33 Depth=1
	v_lshrrev_b32_e32 v1, 24, v1
	s_delay_alu instid0(VALU_DEP_1)
	v_and_or_b32 v14, 0x80, v1, v2
; %bb.80:                               ;   in Loop: Header=BB34_33 Depth=1
	s_or_b32 exec_lo, exec_lo, s0
.LBB34_81:                              ;   in Loop: Header=BB34_33 Depth=1
	s_delay_alu instid0(SALU_CYCLE_1) | instskip(SKIP_2) | instid1(VALU_DEP_1)
	s_or_b32 exec_lo, exec_lo, s4
	v_lshlrev_b32_e32 v1, 16, v3
	s_mov_b32 s4, exec_lo
	v_div_scale_f32 v2, null, v18, v18, v1
	v_div_scale_f32 v15, vcc_lo, v1, v18, v1
	s_delay_alu instid0(VALU_DEP_2) | instskip(SKIP_2) | instid1(VALU_DEP_1)
	v_rcp_f32_e32 v9, v2
	s_waitcnt_depctr 0xfff
	v_fma_f32 v12, -v2, v9, 1.0
	v_fmac_f32_e32 v9, v12, v9
	s_delay_alu instid0(VALU_DEP_1) | instskip(NEXT) | instid1(VALU_DEP_1)
	v_mul_f32_e32 v12, v15, v9
	v_fma_f32 v16, -v2, v12, v15
	s_delay_alu instid0(VALU_DEP_1) | instskip(NEXT) | instid1(VALU_DEP_1)
	v_fmac_f32_e32 v12, v16, v9
	v_fma_f32 v2, -v2, v12, v15
	s_delay_alu instid0(VALU_DEP_1) | instskip(NEXT) | instid1(VALU_DEP_1)
	v_div_fmas_f32 v2, v2, v9, v12
	v_div_fixup_f32 v1, v2, v18, v1
	s_delay_alu instid0(VALU_DEP_1) | instskip(SKIP_2) | instid1(VALU_DEP_3)
	v_maxmin_f32 v9, v1, v28, v29
	v_mov_b32_e32 v1, 0x80
	v_mov_b32_e32 v2, 0
	v_and_b32_e32 v12, 0x7fffffff, v9
	s_delay_alu instid0(VALU_DEP_2) | instskip(NEXT) | instid1(VALU_DEP_2)
	v_dual_mov_b32 v16, v2 :: v_dual_mov_b32 v15, v1
	v_cmpx_gt_u32_e32 0x43800000, v12
	s_cbranch_execz .LBB34_89
; %bb.82:                               ;   in Loop: Header=BB34_33 Depth=1
	s_mov_b32 s5, 0
	s_mov_b32 s0, exec_lo
                                        ; implicit-def: $vgpr2
	v_cmpx_lt_u32_e32 0x3bffffff, v12
	s_xor_b32 s0, exec_lo, s0
; %bb.83:                               ;   in Loop: Header=BB34_33 Depth=1
	v_bfe_u32 v2, v9, 20, 1
	s_mov_b32 s5, exec_lo
	s_delay_alu instid0(VALU_DEP_1) | instskip(NEXT) | instid1(VALU_DEP_1)
	v_add3_u32 v2, v9, v2, 0x487ffff
	v_lshrrev_b32_e32 v2, 20, v2
; %bb.84:                               ;   in Loop: Header=BB34_33 Depth=1
	s_or_saveexec_b32 s12, s0
                                        ; implicit-def: $sgpr0_sgpr1
	s_delay_alu instid0(SALU_CYCLE_1)
	s_xor_b32 exec_lo, exec_lo, s12
; %bb.85:                               ;   in Loop: Header=BB34_33 Depth=1
	v_add_f32_e64 v2, 0x46000000, |v9|
	s_and_not1_b32 s5, s5, exec_lo
	s_mov_b64 s[0:1], 0
	s_delay_alu instid0(VALU_DEP_1) | instskip(NEXT) | instid1(VALU_DEP_1)
	v_and_b32_e32 v2, 0xff, v2
	v_cmp_ne_u32_e32 vcc_lo, 0, v2
	s_and_b32 s13, vcc_lo, exec_lo
	s_delay_alu instid0(SALU_CYCLE_1)
	s_or_b32 s5, s5, s13
; %bb.86:                               ;   in Loop: Header=BB34_33 Depth=1
	s_or_b32 exec_lo, exec_lo, s12
	v_dual_mov_b32 v16, s1 :: v_dual_mov_b32 v15, s0
	s_and_saveexec_b32 s0, s5
; %bb.87:                               ;   in Loop: Header=BB34_33 Depth=1
	v_lshrrev_b32_e32 v9, 24, v9
	s_delay_alu instid0(VALU_DEP_1)
	v_and_or_b32 v15, 0x80, v9, v2
; %bb.88:                               ;   in Loop: Header=BB34_33 Depth=1
	s_or_b32 exec_lo, exec_lo, s0
.LBB34_89:                              ;   in Loop: Header=BB34_33 Depth=1
	s_delay_alu instid0(SALU_CYCLE_1) | instskip(SKIP_2) | instid1(VALU_DEP_1)
	s_or_b32 exec_lo, exec_lo, s4
	v_and_b32_e32 v2, 0xffff0000, v3
	s_mov_b32 s4, exec_lo
	v_div_scale_f32 v3, null, v18, v18, v2
	s_delay_alu instid0(VALU_DEP_1) | instskip(SKIP_2) | instid1(VALU_DEP_1)
	v_rcp_f32_e32 v9, v3
	s_waitcnt_depctr 0xfff
	v_fma_f32 v12, -v3, v9, 1.0
	v_fmac_f32_e32 v9, v12, v9
	v_div_scale_f32 v12, vcc_lo, v2, v18, v2
	s_delay_alu instid0(VALU_DEP_1) | instskip(NEXT) | instid1(VALU_DEP_1)
	v_mul_f32_e32 v16, v12, v9
	v_fma_f32 v31, -v3, v16, v12
	s_delay_alu instid0(VALU_DEP_1) | instskip(NEXT) | instid1(VALU_DEP_1)
	v_fmac_f32_e32 v16, v31, v9
	v_fma_f32 v3, -v3, v16, v12
	s_delay_alu instid0(VALU_DEP_1) | instskip(NEXT) | instid1(VALU_DEP_1)
	v_div_fmas_f32 v3, v3, v9, v16
	v_div_fixup_f32 v2, v3, v18, v2
	s_delay_alu instid0(VALU_DEP_1) | instskip(NEXT) | instid1(VALU_DEP_1)
	v_maxmin_f32 v3, v2, v28, v29
	v_and_b32_e32 v2, 0x7fffffff, v3
	s_delay_alu instid0(VALU_DEP_1)
	v_cmpx_gt_u32_e32 0x43800000, v2
	s_cbranch_execz .LBB34_32
; %bb.90:                               ;   in Loop: Header=BB34_33 Depth=1
	s_mov_b32 s5, 0
	s_mov_b32 s0, exec_lo
                                        ; implicit-def: $vgpr9
	v_cmpx_lt_u32_e32 0x3bffffff, v2
	s_xor_b32 s0, exec_lo, s0
; %bb.91:                               ;   in Loop: Header=BB34_33 Depth=1
	v_bfe_u32 v1, v3, 20, 1
	s_mov_b32 s5, exec_lo
	s_delay_alu instid0(VALU_DEP_1) | instskip(NEXT) | instid1(VALU_DEP_1)
	v_add3_u32 v1, v3, v1, 0x487ffff
	v_lshrrev_b32_e32 v9, 20, v1
; %bb.92:                               ;   in Loop: Header=BB34_33 Depth=1
	s_or_saveexec_b32 s12, s0
                                        ; implicit-def: $sgpr0_sgpr1
	s_delay_alu instid0(SALU_CYCLE_1)
	s_xor_b32 exec_lo, exec_lo, s12
; %bb.93:                               ;   in Loop: Header=BB34_33 Depth=1
	v_add_f32_e64 v1, 0x46000000, |v3|
	s_and_not1_b32 s5, s5, exec_lo
	s_mov_b64 s[0:1], 0
	s_delay_alu instid0(VALU_DEP_1) | instskip(NEXT) | instid1(VALU_DEP_1)
	v_and_b32_e32 v9, 0xff, v1
	v_cmp_ne_u32_e32 vcc_lo, 0, v9
	s_and_b32 s13, vcc_lo, exec_lo
	s_delay_alu instid0(SALU_CYCLE_1)
	s_or_b32 s5, s5, s13
; %bb.94:                               ;   in Loop: Header=BB34_33 Depth=1
	s_or_b32 exec_lo, exec_lo, s12
	v_dual_mov_b32 v2, s1 :: v_dual_mov_b32 v1, s0
	s_and_saveexec_b32 s0, s5
	s_cbranch_execz .LBB34_31
; %bb.95:                               ;   in Loop: Header=BB34_33 Depth=1
	v_lshrrev_b32_e32 v1, 24, v3
	s_delay_alu instid0(VALU_DEP_1)
	v_and_or_b32 v1, 0x80, v1, v9
	s_branch .LBB34_31
.LBB34_96:
	s_or_b32 exec_lo, exec_lo, s2
	v_lshlrev_b32_e32 v2, 3, v26
	s_mov_b32 s12, exec_lo
	s_delay_alu instid0(VALU_DEP_1) | instskip(NEXT) | instid1(VALU_DEP_1)
	v_add_nc_u32_e32 v0, v2, v17
	v_cmpx_lt_i32_e64 v0, v20
	s_cbranch_execz .LBB34_114
; %bb.97:
	v_add_nc_u32_e32 v1, 16, v0
	s_mov_b32 s0, 0
	s_mov_b32 s1, exec_lo
	s_delay_alu instid0(VALU_DEP_1) | instskip(NEXT) | instid1(VALU_DEP_1)
	v_max_i32_e32 v3, v1, v20
	v_xad_u32 v3, v17, -1, v3
	s_delay_alu instid0(VALU_DEP_1) | instskip(NEXT) | instid1(VALU_DEP_1)
	v_sub_nc_u32_e32 v2, v3, v2
                                        ; implicit-def: $vgpr3
	v_cmpx_lt_u32_e32 15, v2
	s_xor_b32 s13, exec_lo, s1
	s_cbranch_execnz .LBB34_100
; %bb.98:
	s_and_not1_saveexec_b32 s1, s13
	s_cbranch_execnz .LBB34_103
.LBB34_99:
	s_or_b32 exec_lo, exec_lo, s1
	s_delay_alu instid0(SALU_CYCLE_1)
	s_and_b32 exec_lo, exec_lo, s0
	s_cbranch_execnz .LBB34_104
	s_branch .LBB34_114
.LBB34_100:
	v_lshrrev_b32_e32 v2, 4, v2
	v_dual_mov_b32 v10, v18 :: v_dual_lshlrev_b32 v3, 1, v19
	v_lshlrev_b32_e32 v23, 1, v21
	v_add_co_u32 v8, vcc_lo, v24, v21
	s_delay_alu instid0(VALU_DEP_4)
	v_add_nc_u32_e32 v6, 1, v2
	s_mov_b32 s0, s6
	s_mov_b32 s1, s6
	;; [unrolled: 1-line block ×4, first 2 shown]
	v_and_b32_e32 v7, 0x1ffffffe, v6
	v_lshlrev_b32_e32 v11, 4, v26
	v_add_co_ci_u32_e32 v9, vcc_lo, v25, v22, vcc_lo
	v_max_f32_e64 v12, s0, s0
	s_delay_alu instid0(VALU_DEP_4) | instskip(NEXT) | instid1(VALU_DEP_4)
	v_mov_b32_e32 v16, v7
	v_add3_u32 v2, v3, v11, v23
	v_lshlrev_b32_e32 v11, 1, v17
	v_max_f32_e64 v13, s1, s1
	v_max_f32_e64 v14, s3, s3
	v_max_f32_e64 v15, s2, s2
	s_mov_b32 s14, 0
	v_add3_u32 v11, v2, v11, 0
	v_mov_b32_e32 v2, v1
	v_mov_b32_e32 v1, v0
.LBB34_101:                             ; =>This Inner Loop Header: Depth=1
	ds_load_u16 v17, v11
	ds_load_u16 v19, v11 offset:32
	v_ashrrev_i32_e32 v25, 31, v1
	v_add_co_u32 v24, vcc_lo, v8, v1
	v_ashrrev_i32_e32 v27, 31, v2
	v_dual_mov_b32 v26, v2 :: v_dual_add_nc_u32 v1, 32, v1
	s_delay_alu instid0(VALU_DEP_4) | instskip(SKIP_1) | instid1(VALU_DEP_3)
	v_add_co_ci_u32_e32 v25, vcc_lo, v9, v25, vcc_lo
	v_add_nc_u32_e32 v11, 64, v11
	v_add_co_u32 v26, s0, v8, v26
	s_delay_alu instid0(VALU_DEP_1) | instskip(SKIP_2) | instid1(VALU_DEP_1)
	v_add_co_ci_u32_e64 v27, s0, v9, v27, s0
	s_waitcnt lgkmcnt(0)
	v_lshlrev_b32_e32 v19, 16, v19
	v_div_scale_f32 v29, null, v10, v10, v19
	v_div_scale_f32 v33, s1, v19, v10, v19
	s_delay_alu instid0(VALU_DEP_2) | instskip(SKIP_2) | instid1(VALU_DEP_1)
	v_rcp_f32_e32 v32, v29
	s_waitcnt_depctr 0xfff
	v_fma_f32 v35, -v29, v32, 1.0
	v_dual_fmac_f32 v32, v35, v32 :: v_dual_lshlrev_b32 v17, 16, v17
	s_delay_alu instid0(VALU_DEP_1) | instskip(SKIP_1) | instid1(VALU_DEP_3)
	v_div_scale_f32 v28, null, v18, v18, v17
	v_div_scale_f32 v30, vcc_lo, v17, v18, v17
	v_mul_f32_e32 v35, v33, v32
	s_delay_alu instid0(VALU_DEP_3) | instskip(NEXT) | instid1(VALU_DEP_1)
	v_rcp_f32_e32 v31, v28
	v_fma_f32 v37, -v29, v35, v33
	s_delay_alu instid0(VALU_DEP_1) | instskip(SKIP_4) | instid1(VALU_DEP_3)
	v_fmac_f32_e32 v35, v37, v32
	s_waitcnt_depctr 0xfff
	v_fma_f32 v34, -v28, v31, 1.0
	v_add_nc_u32_e32 v2, 32, v2
	v_fma_f32 v29, -v29, v35, v33
	v_fmac_f32_e32 v31, v34, v31
	s_delay_alu instid0(VALU_DEP_1) | instskip(NEXT) | instid1(VALU_DEP_1)
	v_mul_f32_e32 v34, v30, v31
	v_fma_f32 v36, -v28, v34, v30
	s_delay_alu instid0(VALU_DEP_1) | instskip(NEXT) | instid1(VALU_DEP_1)
	v_fmac_f32_e32 v34, v36, v31
	v_fma_f32 v28, -v28, v34, v30
	s_delay_alu instid0(VALU_DEP_1) | instskip(SKIP_2) | instid1(VALU_DEP_2)
	v_div_fmas_f32 v28, v28, v31, v34
	s_mov_b32 vcc_lo, s1
	v_div_fmas_f32 v29, v29, v32, v35
	v_div_fixup_f32 v17, v28, v18, v17
	s_delay_alu instid0(VALU_DEP_2) | instskip(NEXT) | instid1(VALU_DEP_2)
	v_div_fixup_f32 v19, v29, v10, v19
	v_maxmin_f32 v17, v17, v12, v15
	s_delay_alu instid0(VALU_DEP_2) | instskip(NEXT) | instid1(VALU_DEP_2)
	v_maxmin_f32 v19, v19, v13, v14
	v_bfe_u32 v29, v17, 20, 1
	v_and_b32_e32 v28, 0x7fffffff, v17
	v_add_f32_e64 v30, 0x46000000, |v17|
	s_delay_alu instid0(VALU_DEP_4)
	v_bfe_u32 v33, v19, 20, 1
	v_and_b32_e32 v32, 0x7fffffff, v19
	v_lshrrev_b32_e32 v31, 24, v17
	v_add3_u32 v17, v17, v29, 0x487ffff
	v_add_f32_e64 v34, 0x46000000, |v19|
	v_lshrrev_b32_e32 v35, 24, v19
	v_add3_u32 v19, v19, v33, 0x487ffff
	v_cmp_gt_u32_e32 vcc_lo, 0x43800000, v28
	v_cmp_gt_u32_e64 s1, 0x3c000000, v28
	v_cmp_gt_u32_e64 s2, 0x43800000, v32
	;; [unrolled: 1-line block ×3, first 2 shown]
	v_lshrrev_b32_e32 v17, 20, v17
	v_lshrrev_b32_e32 v19, 20, v19
	s_xor_b32 s4, s1, vcc_lo
	v_and_b32_e32 v28, 0xff, v30
	s_xor_b32 s5, s3, s2
	v_cndmask_b32_e64 v17, v30, v17, s4
	v_cndmask_b32_e64 v19, v34, v19, s5
	v_and_b32_e32 v29, 0xff, v34
	v_cmp_eq_u32_e64 s0, 0, v28
	s_delay_alu instid0(VALU_DEP_4) | instskip(NEXT) | instid1(VALU_DEP_4)
	v_and_or_b32 v17, 0x80, v31, v17
	v_and_or_b32 v19, 0x80, v35, v19
	v_add_nc_u32_e32 v16, -2, v16
	v_cmp_eq_u32_e64 s4, 0, v29
	s_and_b32 s0, s1, s0
	v_cndmask_b32_e32 v17, 0xffffff80, v17, vcc_lo
	v_cndmask_b32_e64 v19, 0xffffff80, v19, s2
	v_cmp_eq_u32_e32 vcc_lo, 0, v16
	s_and_b32 s1, s3, s4
	s_delay_alu instid0(VALU_DEP_3) | instskip(NEXT) | instid1(VALU_DEP_3)
	v_cndmask_b32_e64 v17, v17, 0, s0
	v_cndmask_b32_e64 v19, v19, 0, s1
	s_or_b32 s14, vcc_lo, s14
	s_clause 0x1
	global_store_b8 v[24:25], v17, off
	global_store_b8 v[26:27], v19, off
	s_and_not1_b32 exec_lo, exec_lo, s14
	s_cbranch_execnz .LBB34_101
; %bb.102:
	s_or_b32 exec_lo, exec_lo, s14
	v_cmp_ne_u32_e32 vcc_lo, v6, v7
	v_lshl_add_u32 v0, v7, 4, v0
                                        ; implicit-def: $vgpr19
	s_and_b32 s0, vcc_lo, exec_lo
	s_and_not1_saveexec_b32 s1, s13
	s_cbranch_execz .LBB34_99
.LBB34_103:
	v_lshlrev_b32_e32 v3, 1, v19
	s_or_b32 s0, s0, exec_lo
	s_or_b32 exec_lo, exec_lo, s1
	s_delay_alu instid0(SALU_CYCLE_1)
	s_and_b32 exec_lo, exec_lo, s0
	s_cbranch_execz .LBB34_114
.LBB34_104:
	v_add_co_u32 v1, vcc_lo, v21, v4
	v_add_co_ci_u32_e32 v2, vcc_lo, v22, v5, vcc_lo
	v_ashrrev_i32_e32 v4, 31, v0
	s_delay_alu instid0(VALU_DEP_3) | instskip(SKIP_2) | instid1(VALU_DEP_4)
	v_add_co_u32 v1, vcc_lo, v1, v0
	v_lshl_add_u32 v3, v0, 1, v3
	v_max_f32_e64 v5, s7, s7
	v_add_co_ci_u32_e32 v2, vcc_lo, v2, v4, vcc_lo
	s_delay_alu instid0(VALU_DEP_4) | instskip(NEXT) | instid1(VALU_DEP_4)
	v_add_co_u32 v1, vcc_lo, s8, v1
	v_add3_u32 v3, v3, v23, 0
	s_delay_alu instid0(VALU_DEP_3)
	v_add_co_ci_u32_e32 v2, vcc_lo, s9, v2, vcc_lo
	v_max_f32_e64 v4, s6, s6
	s_mov_b32 s1, 0
	s_branch .LBB34_107
.LBB34_105:                             ;   in Loop: Header=BB34_107 Depth=1
	s_or_b32 exec_lo, exec_lo, s3
.LBB34_106:                             ;   in Loop: Header=BB34_107 Depth=1
	s_delay_alu instid0(SALU_CYCLE_1)
	s_or_b32 exec_lo, exec_lo, s0
	v_add_nc_u32_e32 v0, 16, v0
	global_store_b8 v[1:2], v8, off
	v_add_co_u32 v1, s0, v1, 16
	v_add_nc_u32_e32 v3, 32, v3
	v_cmp_ge_i32_e32 vcc_lo, v0, v20
	v_add_co_ci_u32_e64 v2, s0, 0, v2, s0
	s_or_b32 s1, vcc_lo, s1
	s_delay_alu instid0(SALU_CYCLE_1)
	s_and_not1_b32 exec_lo, exec_lo, s1
	s_cbranch_execz .LBB34_114
.LBB34_107:                             ; =>This Inner Loop Header: Depth=1
	ds_load_u16 v6, v3
	s_mov_b32 s0, exec_lo
	s_waitcnt lgkmcnt(0)
	v_lshlrev_b32_e32 v6, 16, v6
	s_delay_alu instid0(VALU_DEP_1) | instskip(SKIP_1) | instid1(VALU_DEP_2)
	v_div_scale_f32 v7, null, v18, v18, v6
	v_div_scale_f32 v10, vcc_lo, v6, v18, v6
	v_rcp_f32_e32 v8, v7
	s_waitcnt_depctr 0xfff
	v_fma_f32 v9, -v7, v8, 1.0
	s_delay_alu instid0(VALU_DEP_1) | instskip(NEXT) | instid1(VALU_DEP_1)
	v_fmac_f32_e32 v8, v9, v8
	v_mul_f32_e32 v9, v10, v8
	s_delay_alu instid0(VALU_DEP_1) | instskip(NEXT) | instid1(VALU_DEP_1)
	v_fma_f32 v11, -v7, v9, v10
	v_fmac_f32_e32 v9, v11, v8
	s_delay_alu instid0(VALU_DEP_1) | instskip(NEXT) | instid1(VALU_DEP_1)
	v_fma_f32 v7, -v7, v9, v10
	v_div_fmas_f32 v7, v7, v8, v9
	v_mov_b32_e32 v8, 0x80
	s_delay_alu instid0(VALU_DEP_2) | instskip(NEXT) | instid1(VALU_DEP_1)
	v_div_fixup_f32 v6, v7, v18, v6
	v_maxmin_f32 v6, v6, v4, v5
	s_delay_alu instid0(VALU_DEP_1) | instskip(NEXT) | instid1(VALU_DEP_1)
	v_and_b32_e32 v7, 0x7fffffff, v6
	v_cmpx_gt_u32_e32 0x43800000, v7
	s_cbranch_execz .LBB34_106
; %bb.108:                              ;   in Loop: Header=BB34_107 Depth=1
	v_cmp_lt_u32_e32 vcc_lo, 0x3bffffff, v7
	s_mov_b32 s2, 0
                                        ; implicit-def: $vgpr7
	s_and_saveexec_b32 s3, vcc_lo
	s_delay_alu instid0(SALU_CYCLE_1)
	s_xor_b32 s3, exec_lo, s3
	s_cbranch_execnz .LBB34_111
; %bb.109:                              ;   in Loop: Header=BB34_107 Depth=1
	s_or_saveexec_b32 s3, s3
                                        ; implicit-def: $sgpr4
	s_delay_alu instid0(SALU_CYCLE_1)
	s_xor_b32 exec_lo, exec_lo, s3
	s_cbranch_execnz .LBB34_112
.LBB34_110:                             ;   in Loop: Header=BB34_107 Depth=1
	s_or_b32 exec_lo, exec_lo, s3
	v_mov_b32_e32 v8, s4
	s_and_saveexec_b32 s3, s2
	s_cbranch_execz .LBB34_105
	s_branch .LBB34_113
.LBB34_111:                             ;   in Loop: Header=BB34_107 Depth=1
	v_bfe_u32 v7, v6, 20, 1
	s_mov_b32 s2, exec_lo
	s_delay_alu instid0(VALU_DEP_1) | instskip(NEXT) | instid1(VALU_DEP_1)
	v_add3_u32 v7, v6, v7, 0x487ffff
	v_lshrrev_b32_e32 v7, 20, v7
	s_or_saveexec_b32 s3, s3
                                        ; implicit-def: $sgpr4
	s_delay_alu instid0(SALU_CYCLE_1)
	s_xor_b32 exec_lo, exec_lo, s3
	s_cbranch_execz .LBB34_110
.LBB34_112:                             ;   in Loop: Header=BB34_107 Depth=1
	v_add_f32_e64 v7, 0x46000000, |v6|
	s_and_not1_b32 s2, s2, exec_lo
	s_mov_b32 s4, 0
	s_delay_alu instid0(VALU_DEP_1) | instskip(NEXT) | instid1(VALU_DEP_1)
	v_and_b32_e32 v7, 0xff, v7
	v_cmp_ne_u32_e32 vcc_lo, 0, v7
	s_and_b32 s5, vcc_lo, exec_lo
	s_delay_alu instid0(SALU_CYCLE_1)
	s_or_b32 s2, s2, s5
	s_or_b32 exec_lo, exec_lo, s3
	v_mov_b32_e32 v8, s4
	s_and_saveexec_b32 s3, s2
	s_cbranch_execz .LBB34_105
.LBB34_113:                             ;   in Loop: Header=BB34_107 Depth=1
	v_lshrrev_b32_e32 v6, 24, v6
	s_delay_alu instid0(VALU_DEP_1)
	v_and_or_b32 v8, 0x80, v6, v7
	s_branch .LBB34_105
.LBB34_114:
	s_or_b32 exec_lo, exec_lo, s12
                                        ; implicit-def: $vgpr17
                                        ; implicit-def: $vgpr18
                                        ; implicit-def: $vgpr19
                                        ; implicit-def: $vgpr4_vgpr5
.LBB34_115:
	s_and_not1_saveexec_b32 s0, s11
	s_cbranch_execz .LBB34_183
; %bb.116:
	s_ashr_i32 s2, s10, 3
	s_mov_b32 s0, exec_lo
	v_cmpx_gt_i32_e64 s2, v17
	s_cbranch_execz .LBB34_183
; %bb.117:
	v_lshlrev_b32_e32 v0, 3, v17
	v_lshlrev_b32_e32 v1, 1, v19
	;; [unrolled: 1-line block ×3, first 2 shown]
	v_max_f32_e64 v16, s6, s6
	v_max_f32_e64 v19, s7, s7
	v_add_co_u32 v0, vcc_lo, v4, v0
	v_add_co_ci_u32_e32 v3, vcc_lo, 0, v5, vcc_lo
	v_add3_u32 v15, v1, v2, 0
	s_delay_alu instid0(VALU_DEP_3) | instskip(NEXT) | instid1(VALU_DEP_3)
	v_add_co_u32 v4, vcc_lo, s8, v0
	v_add_co_ci_u32_e32 v5, vcc_lo, s9, v3, vcc_lo
	s_mov_b32 s3, 0
	s_branch .LBB34_120
.LBB34_118:                             ;   in Loop: Header=BB34_120 Depth=1
	s_or_b32 exec_lo, exec_lo, s0
.LBB34_119:                             ;   in Loop: Header=BB34_120 Depth=1
	s_delay_alu instid0(SALU_CYCLE_1)
	s_or_b32 exec_lo, exec_lo, s4
	v_lshlrev_b32_e32 v2, 16, v13
	v_lshlrev_b32_e32 v3, 16, v11
	;; [unrolled: 1-line block ×5, first 2 shown]
	v_and_b32_e32 v2, 0xff0000, v2
	v_perm_b32 v3, v9, v3, 0x4020c0c
	v_and_b32_e32 v0, 0xff, v0
	v_and_b32_e32 v8, 0xff, v8
	;; [unrolled: 1-line block ×3, first 2 shown]
	v_or_b32_e32 v1, v1, v2
	v_and_or_b32 v2, 0xff00, v6, v3
	v_add_nc_u32_e32 v17, 16, v17
	v_add_nc_u32_e32 v15, 0x100, v15
	s_delay_alu instid0(VALU_DEP_4) | instskip(NEXT) | instid1(VALU_DEP_4)
	v_or3_b32 v1, v1, v7, v0
	v_or_b32_e32 v0, v2, v8
	s_delay_alu instid0(VALU_DEP_4) | instskip(SKIP_2) | instid1(VALU_DEP_1)
	v_cmp_le_i32_e32 vcc_lo, s2, v17
	global_store_b64 v[4:5], v[0:1], off
	v_add_co_u32 v4, s0, 0x80, v4
	v_add_co_ci_u32_e64 v5, s0, 0, v5, s0
	s_or_b32 s3, vcc_lo, s3
	s_delay_alu instid0(SALU_CYCLE_1)
	s_and_not1_b32 exec_lo, exec_lo, s3
	s_cbranch_execz .LBB34_183
.LBB34_120:                             ; =>This Inner Loop Header: Depth=1
	ds_load_b128 v[0:3], v15
	s_mov_b32 s4, exec_lo
	s_waitcnt lgkmcnt(0)
	v_lshlrev_b32_e32 v6, 16, v0
	s_delay_alu instid0(VALU_DEP_1) | instskip(SKIP_1) | instid1(VALU_DEP_2)
	v_div_scale_f32 v7, null, v18, v18, v6
	v_div_scale_f32 v10, vcc_lo, v6, v18, v6
	v_rcp_f32_e32 v8, v7
	s_waitcnt_depctr 0xfff
	v_fma_f32 v9, -v7, v8, 1.0
	s_delay_alu instid0(VALU_DEP_1) | instskip(NEXT) | instid1(VALU_DEP_1)
	v_fmac_f32_e32 v8, v9, v8
	v_mul_f32_e32 v9, v10, v8
	s_delay_alu instid0(VALU_DEP_1) | instskip(NEXT) | instid1(VALU_DEP_1)
	v_fma_f32 v11, -v7, v9, v10
	v_fmac_f32_e32 v9, v11, v8
	s_delay_alu instid0(VALU_DEP_1) | instskip(NEXT) | instid1(VALU_DEP_1)
	v_fma_f32 v7, -v7, v9, v10
	v_div_fmas_f32 v7, v7, v8, v9
	s_delay_alu instid0(VALU_DEP_1) | instskip(NEXT) | instid1(VALU_DEP_1)
	v_div_fixup_f32 v6, v7, v18, v6
	v_maxmin_f32 v10, v6, v16, v19
	v_mov_b32_e32 v6, 0x80
	v_mov_b32_e32 v7, 0
	s_delay_alu instid0(VALU_DEP_3) | instskip(NEXT) | instid1(VALU_DEP_2)
	v_and_b32_e32 v11, 0x7fffffff, v10
	v_dual_mov_b32 v9, v7 :: v_dual_mov_b32 v8, v6
	s_delay_alu instid0(VALU_DEP_2)
	v_cmpx_gt_u32_e32 0x43800000, v11
	s_cbranch_execz .LBB34_128
; %bb.121:                              ;   in Loop: Header=BB34_120 Depth=1
	s_mov_b32 s5, 0
	s_mov_b32 s0, exec_lo
                                        ; implicit-def: $vgpr7
	v_cmpx_lt_u32_e32 0x3bffffff, v11
	s_xor_b32 s0, exec_lo, s0
; %bb.122:                              ;   in Loop: Header=BB34_120 Depth=1
	v_bfe_u32 v7, v10, 20, 1
	s_mov_b32 s5, exec_lo
	s_delay_alu instid0(VALU_DEP_1) | instskip(NEXT) | instid1(VALU_DEP_1)
	v_add3_u32 v7, v10, v7, 0x487ffff
	v_lshrrev_b32_e32 v7, 20, v7
; %bb.123:                              ;   in Loop: Header=BB34_120 Depth=1
	s_or_saveexec_b32 s6, s0
                                        ; implicit-def: $sgpr0_sgpr1
	s_delay_alu instid0(SALU_CYCLE_1)
	s_xor_b32 exec_lo, exec_lo, s6
; %bb.124:                              ;   in Loop: Header=BB34_120 Depth=1
	v_add_f32_e64 v7, 0x46000000, |v10|
	s_and_not1_b32 s5, s5, exec_lo
	s_mov_b64 s[0:1], 0
	s_delay_alu instid0(VALU_DEP_1) | instskip(NEXT) | instid1(VALU_DEP_1)
	v_and_b32_e32 v7, 0xff, v7
	v_cmp_ne_u32_e32 vcc_lo, 0, v7
	s_and_b32 s7, vcc_lo, exec_lo
	s_delay_alu instid0(SALU_CYCLE_1)
	s_or_b32 s5, s5, s7
; %bb.125:                              ;   in Loop: Header=BB34_120 Depth=1
	s_or_b32 exec_lo, exec_lo, s6
	v_dual_mov_b32 v9, s1 :: v_dual_mov_b32 v8, s0
	s_and_saveexec_b32 s0, s5
; %bb.126:                              ;   in Loop: Header=BB34_120 Depth=1
	v_lshrrev_b32_e32 v8, 24, v10
	s_delay_alu instid0(VALU_DEP_1)
	v_and_or_b32 v8, 0x80, v8, v7
; %bb.127:                              ;   in Loop: Header=BB34_120 Depth=1
	s_or_b32 exec_lo, exec_lo, s0
.LBB34_128:                             ;   in Loop: Header=BB34_120 Depth=1
	s_delay_alu instid0(SALU_CYCLE_1) | instskip(SKIP_2) | instid1(VALU_DEP_1)
	s_or_b32 exec_lo, exec_lo, s4
	v_and_b32_e32 v0, 0xffff0000, v0
	s_mov_b32 s4, exec_lo
	v_div_scale_f32 v7, null, v18, v18, v0
	s_delay_alu instid0(VALU_DEP_1) | instskip(SKIP_2) | instid1(VALU_DEP_1)
	v_rcp_f32_e32 v9, v7
	s_waitcnt_depctr 0xfff
	v_fma_f32 v10, -v7, v9, 1.0
	v_fmac_f32_e32 v9, v10, v9
	v_div_scale_f32 v10, vcc_lo, v0, v18, v0
	s_delay_alu instid0(VALU_DEP_1) | instskip(NEXT) | instid1(VALU_DEP_1)
	v_mul_f32_e32 v11, v10, v9
	v_fma_f32 v12, -v7, v11, v10
	s_delay_alu instid0(VALU_DEP_1) | instskip(NEXT) | instid1(VALU_DEP_1)
	v_fmac_f32_e32 v11, v12, v9
	v_fma_f32 v7, -v7, v11, v10
	s_delay_alu instid0(VALU_DEP_1) | instskip(NEXT) | instid1(VALU_DEP_1)
	v_div_fmas_f32 v7, v7, v9, v11
	v_div_fixup_f32 v0, v7, v18, v0
	s_delay_alu instid0(VALU_DEP_1) | instskip(NEXT) | instid1(VALU_DEP_1)
	v_maxmin_f32 v0, v0, v16, v19
	v_and_b32_e32 v7, 0x7fffffff, v0
	s_delay_alu instid0(VALU_DEP_1)
	v_cmpx_gt_u32_e32 0x43800000, v7
	s_cbranch_execz .LBB34_136
; %bb.129:                              ;   in Loop: Header=BB34_120 Depth=1
	s_mov_b32 s5, 0
	s_mov_b32 s0, exec_lo
                                        ; implicit-def: $vgpr9
	v_cmpx_lt_u32_e32 0x3bffffff, v7
	s_xor_b32 s0, exec_lo, s0
; %bb.130:                              ;   in Loop: Header=BB34_120 Depth=1
	v_bfe_u32 v6, v0, 20, 1
	s_mov_b32 s5, exec_lo
	s_delay_alu instid0(VALU_DEP_1) | instskip(NEXT) | instid1(VALU_DEP_1)
	v_add3_u32 v6, v0, v6, 0x487ffff
	v_lshrrev_b32_e32 v9, 20, v6
; %bb.131:                              ;   in Loop: Header=BB34_120 Depth=1
	s_or_saveexec_b32 s6, s0
                                        ; implicit-def: $sgpr0_sgpr1
	s_delay_alu instid0(SALU_CYCLE_1)
	s_xor_b32 exec_lo, exec_lo, s6
; %bb.132:                              ;   in Loop: Header=BB34_120 Depth=1
	v_add_f32_e64 v6, 0x46000000, |v0|
	s_and_not1_b32 s5, s5, exec_lo
	s_mov_b64 s[0:1], 0
	s_delay_alu instid0(VALU_DEP_1) | instskip(NEXT) | instid1(VALU_DEP_1)
	v_and_b32_e32 v9, 0xff, v6
	v_cmp_ne_u32_e32 vcc_lo, 0, v9
	s_and_b32 s7, vcc_lo, exec_lo
	s_delay_alu instid0(SALU_CYCLE_1)
	s_or_b32 s5, s5, s7
; %bb.133:                              ;   in Loop: Header=BB34_120 Depth=1
	s_or_b32 exec_lo, exec_lo, s6
	v_dual_mov_b32 v7, s1 :: v_dual_mov_b32 v6, s0
	s_and_saveexec_b32 s0, s5
; %bb.134:                              ;   in Loop: Header=BB34_120 Depth=1
	v_lshrrev_b32_e32 v0, 24, v0
	s_delay_alu instid0(VALU_DEP_1)
	v_and_or_b32 v6, 0x80, v0, v9
; %bb.135:                              ;   in Loop: Header=BB34_120 Depth=1
	s_or_b32 exec_lo, exec_lo, s0
.LBB34_136:                             ;   in Loop: Header=BB34_120 Depth=1
	s_delay_alu instid0(SALU_CYCLE_1) | instskip(SKIP_2) | instid1(VALU_DEP_1)
	s_or_b32 exec_lo, exec_lo, s4
	v_lshlrev_b32_e32 v0, 16, v1
	s_mov_b32 s4, exec_lo
	v_div_scale_f32 v7, null, v18, v18, v0
	v_div_scale_f32 v11, vcc_lo, v0, v18, v0
	s_delay_alu instid0(VALU_DEP_2) | instskip(SKIP_2) | instid1(VALU_DEP_1)
	v_rcp_f32_e32 v9, v7
	s_waitcnt_depctr 0xfff
	v_fma_f32 v10, -v7, v9, 1.0
	v_fmac_f32_e32 v9, v10, v9
	s_delay_alu instid0(VALU_DEP_1) | instskip(NEXT) | instid1(VALU_DEP_1)
	v_mul_f32_e32 v10, v11, v9
	v_fma_f32 v12, -v7, v10, v11
	s_delay_alu instid0(VALU_DEP_1) | instskip(NEXT) | instid1(VALU_DEP_1)
	v_fmac_f32_e32 v10, v12, v9
	v_fma_f32 v7, -v7, v10, v11
	s_delay_alu instid0(VALU_DEP_1) | instskip(SKIP_2) | instid1(VALU_DEP_3)
	v_div_fmas_f32 v7, v7, v9, v10
	v_mov_b32_e32 v9, 0x80
	v_mov_b32_e32 v10, 0
	v_div_fixup_f32 v0, v7, v18, v0
	s_delay_alu instid0(VALU_DEP_2) | instskip(NEXT) | instid1(VALU_DEP_2)
	v_dual_mov_b32 v12, v10 :: v_dual_mov_b32 v11, v9
	v_maxmin_f32 v0, v0, v16, v19
	s_delay_alu instid0(VALU_DEP_1) | instskip(NEXT) | instid1(VALU_DEP_1)
	v_and_b32_e32 v7, 0x7fffffff, v0
	v_cmpx_gt_u32_e32 0x43800000, v7
	s_cbranch_execz .LBB34_144
; %bb.137:                              ;   in Loop: Header=BB34_120 Depth=1
	v_cmp_lt_u32_e32 vcc_lo, 0x3bffffff, v7
	s_mov_b32 s5, 0
                                        ; implicit-def: $vgpr7
	s_and_saveexec_b32 s0, vcc_lo
	s_delay_alu instid0(SALU_CYCLE_1)
	s_xor_b32 s0, exec_lo, s0
; %bb.138:                              ;   in Loop: Header=BB34_120 Depth=1
	v_bfe_u32 v7, v0, 20, 1
	s_mov_b32 s5, exec_lo
	s_delay_alu instid0(VALU_DEP_1) | instskip(NEXT) | instid1(VALU_DEP_1)
	v_add3_u32 v7, v0, v7, 0x487ffff
	v_lshrrev_b32_e32 v7, 20, v7
; %bb.139:                              ;   in Loop: Header=BB34_120 Depth=1
	s_or_saveexec_b32 s6, s0
                                        ; implicit-def: $sgpr0_sgpr1
	s_delay_alu instid0(SALU_CYCLE_1)
	s_xor_b32 exec_lo, exec_lo, s6
; %bb.140:                              ;   in Loop: Header=BB34_120 Depth=1
	v_add_f32_e64 v7, 0x46000000, |v0|
	s_and_not1_b32 s5, s5, exec_lo
	s_mov_b64 s[0:1], 0
	s_delay_alu instid0(VALU_DEP_1) | instskip(NEXT) | instid1(VALU_DEP_1)
	v_and_b32_e32 v7, 0xff, v7
	v_cmp_ne_u32_e32 vcc_lo, 0, v7
	s_and_b32 s7, vcc_lo, exec_lo
	s_delay_alu instid0(SALU_CYCLE_1)
	s_or_b32 s5, s5, s7
; %bb.141:                              ;   in Loop: Header=BB34_120 Depth=1
	s_or_b32 exec_lo, exec_lo, s6
	v_dual_mov_b32 v12, s1 :: v_dual_mov_b32 v11, s0
	s_and_saveexec_b32 s0, s5
; %bb.142:                              ;   in Loop: Header=BB34_120 Depth=1
	v_lshrrev_b32_e32 v0, 24, v0
	s_delay_alu instid0(VALU_DEP_1)
	v_and_or_b32 v11, 0x80, v0, v7
; %bb.143:                              ;   in Loop: Header=BB34_120 Depth=1
	s_or_b32 exec_lo, exec_lo, s0
.LBB34_144:                             ;   in Loop: Header=BB34_120 Depth=1
	s_delay_alu instid0(SALU_CYCLE_1) | instskip(SKIP_2) | instid1(VALU_DEP_1)
	s_or_b32 exec_lo, exec_lo, s4
	v_and_b32_e32 v0, 0xffff0000, v1
	s_mov_b32 s4, exec_lo
	v_div_scale_f32 v1, null, v18, v18, v0
	s_delay_alu instid0(VALU_DEP_1) | instskip(SKIP_2) | instid1(VALU_DEP_1)
	v_rcp_f32_e32 v7, v1
	s_waitcnt_depctr 0xfff
	v_fma_f32 v10, -v1, v7, 1.0
	v_fmac_f32_e32 v7, v10, v7
	v_div_scale_f32 v10, vcc_lo, v0, v18, v0
	s_delay_alu instid0(VALU_DEP_1) | instskip(NEXT) | instid1(VALU_DEP_1)
	v_mul_f32_e32 v12, v10, v7
	v_fma_f32 v13, -v1, v12, v10
	s_delay_alu instid0(VALU_DEP_1) | instskip(NEXT) | instid1(VALU_DEP_1)
	v_fmac_f32_e32 v12, v13, v7
	v_fma_f32 v1, -v1, v12, v10
	s_delay_alu instid0(VALU_DEP_1) | instskip(NEXT) | instid1(VALU_DEP_1)
	v_div_fmas_f32 v1, v1, v7, v12
	v_div_fixup_f32 v0, v1, v18, v0
	s_delay_alu instid0(VALU_DEP_1) | instskip(NEXT) | instid1(VALU_DEP_1)
	v_maxmin_f32 v0, v0, v16, v19
	v_and_b32_e32 v1, 0x7fffffff, v0
	s_delay_alu instid0(VALU_DEP_1)
	v_cmpx_gt_u32_e32 0x43800000, v1
	s_cbranch_execz .LBB34_152
; %bb.145:                              ;   in Loop: Header=BB34_120 Depth=1
	v_cmp_lt_u32_e32 vcc_lo, 0x3bffffff, v1
	s_mov_b32 s5, 0
                                        ; implicit-def: $vgpr1
	s_and_saveexec_b32 s0, vcc_lo
	s_delay_alu instid0(SALU_CYCLE_1)
	s_xor_b32 s0, exec_lo, s0
; %bb.146:                              ;   in Loop: Header=BB34_120 Depth=1
	v_bfe_u32 v1, v0, 20, 1
	s_mov_b32 s5, exec_lo
	s_delay_alu instid0(VALU_DEP_1) | instskip(NEXT) | instid1(VALU_DEP_1)
	v_add3_u32 v1, v0, v1, 0x487ffff
	v_lshrrev_b32_e32 v1, 20, v1
; %bb.147:                              ;   in Loop: Header=BB34_120 Depth=1
	s_or_saveexec_b32 s6, s0
                                        ; implicit-def: $sgpr0_sgpr1
	s_delay_alu instid0(SALU_CYCLE_1)
	s_xor_b32 exec_lo, exec_lo, s6
; %bb.148:                              ;   in Loop: Header=BB34_120 Depth=1
	v_add_f32_e64 v1, 0x46000000, |v0|
	s_and_not1_b32 s5, s5, exec_lo
	s_mov_b64 s[0:1], 0
	s_delay_alu instid0(VALU_DEP_1) | instskip(NEXT) | instid1(VALU_DEP_1)
	v_and_b32_e32 v1, 0xff, v1
	v_cmp_ne_u32_e32 vcc_lo, 0, v1
	s_and_b32 s7, vcc_lo, exec_lo
	s_delay_alu instid0(SALU_CYCLE_1)
	s_or_b32 s5, s5, s7
; %bb.149:                              ;   in Loop: Header=BB34_120 Depth=1
	s_or_b32 exec_lo, exec_lo, s6
	v_dual_mov_b32 v10, s1 :: v_dual_mov_b32 v9, s0
	s_and_saveexec_b32 s0, s5
; %bb.150:                              ;   in Loop: Header=BB34_120 Depth=1
	v_lshrrev_b32_e32 v0, 24, v0
	s_delay_alu instid0(VALU_DEP_1)
	v_and_or_b32 v9, 0x80, v0, v1
; %bb.151:                              ;   in Loop: Header=BB34_120 Depth=1
	s_or_b32 exec_lo, exec_lo, s0
.LBB34_152:                             ;   in Loop: Header=BB34_120 Depth=1
	s_delay_alu instid0(SALU_CYCLE_1) | instskip(SKIP_2) | instid1(VALU_DEP_1)
	s_or_b32 exec_lo, exec_lo, s4
	v_lshlrev_b32_e32 v0, 16, v2
	s_mov_b32 s4, exec_lo
	v_div_scale_f32 v1, null, v18, v18, v0
	s_delay_alu instid0(VALU_DEP_1) | instskip(SKIP_2) | instid1(VALU_DEP_1)
	v_rcp_f32_e32 v7, v1
	s_waitcnt_depctr 0xfff
	v_fma_f32 v10, -v1, v7, 1.0
	v_fmac_f32_e32 v7, v10, v7
	v_div_scale_f32 v12, vcc_lo, v0, v18, v0
	s_delay_alu instid0(VALU_DEP_1) | instskip(NEXT) | instid1(VALU_DEP_1)
	v_mul_f32_e32 v10, v12, v7
	v_fma_f32 v13, -v1, v10, v12
	s_delay_alu instid0(VALU_DEP_1) | instskip(NEXT) | instid1(VALU_DEP_1)
	v_fmac_f32_e32 v10, v13, v7
	v_fma_f32 v1, -v1, v10, v12
	v_mov_b32_e32 v12, 0x80
	v_mov_b32_e32 v13, 0
	s_delay_alu instid0(VALU_DEP_3) | instskip(NEXT) | instid1(VALU_DEP_1)
	v_div_fmas_f32 v1, v1, v7, v10
	v_div_fixup_f32 v0, v1, v18, v0
	s_delay_alu instid0(VALU_DEP_1) | instskip(NEXT) | instid1(VALU_DEP_4)
	v_maxmin_f32 v7, v0, v16, v19
	v_dual_mov_b32 v0, v12 :: v_dual_mov_b32 v1, v13
	s_delay_alu instid0(VALU_DEP_2) | instskip(NEXT) | instid1(VALU_DEP_1)
	v_and_b32_e32 v10, 0x7fffffff, v7
	v_cmpx_gt_u32_e32 0x43800000, v10
	s_cbranch_execz .LBB34_160
; %bb.153:                              ;   in Loop: Header=BB34_120 Depth=1
	v_cmp_lt_u32_e32 vcc_lo, 0x3bffffff, v10
	s_mov_b32 s5, 0
                                        ; implicit-def: $vgpr10
	s_and_saveexec_b32 s0, vcc_lo
	s_delay_alu instid0(SALU_CYCLE_1)
	s_xor_b32 s0, exec_lo, s0
; %bb.154:                              ;   in Loop: Header=BB34_120 Depth=1
	v_bfe_u32 v0, v7, 20, 1
	s_mov_b32 s5, exec_lo
	s_delay_alu instid0(VALU_DEP_1) | instskip(NEXT) | instid1(VALU_DEP_1)
	v_add3_u32 v0, v7, v0, 0x487ffff
	v_lshrrev_b32_e32 v10, 20, v0
; %bb.155:                              ;   in Loop: Header=BB34_120 Depth=1
	s_or_saveexec_b32 s6, s0
                                        ; implicit-def: $sgpr0_sgpr1
	s_delay_alu instid0(SALU_CYCLE_1)
	s_xor_b32 exec_lo, exec_lo, s6
; %bb.156:                              ;   in Loop: Header=BB34_120 Depth=1
	v_add_f32_e64 v0, 0x46000000, |v7|
	s_and_not1_b32 s5, s5, exec_lo
	s_mov_b64 s[0:1], 0
	s_delay_alu instid0(VALU_DEP_1) | instskip(NEXT) | instid1(VALU_DEP_1)
	v_and_b32_e32 v10, 0xff, v0
	v_cmp_ne_u32_e32 vcc_lo, 0, v10
	s_and_b32 s7, vcc_lo, exec_lo
	s_delay_alu instid0(SALU_CYCLE_1)
	s_or_b32 s5, s5, s7
; %bb.157:                              ;   in Loop: Header=BB34_120 Depth=1
	s_or_b32 exec_lo, exec_lo, s6
	v_dual_mov_b32 v0, s0 :: v_dual_mov_b32 v1, s1
	s_and_saveexec_b32 s0, s5
; %bb.158:                              ;   in Loop: Header=BB34_120 Depth=1
	v_lshrrev_b32_e32 v0, 24, v7
	s_delay_alu instid0(VALU_DEP_1)
	v_and_or_b32 v0, 0x80, v0, v10
; %bb.159:                              ;   in Loop: Header=BB34_120 Depth=1
	s_or_b32 exec_lo, exec_lo, s0
.LBB34_160:                             ;   in Loop: Header=BB34_120 Depth=1
	s_delay_alu instid0(SALU_CYCLE_1) | instskip(SKIP_2) | instid1(VALU_DEP_1)
	s_or_b32 exec_lo, exec_lo, s4
	v_and_b32_e32 v1, 0xffff0000, v2
	s_mov_b32 s4, exec_lo
	v_div_scale_f32 v2, null, v18, v18, v1
	s_delay_alu instid0(VALU_DEP_1) | instskip(SKIP_2) | instid1(VALU_DEP_1)
	v_rcp_f32_e32 v7, v2
	s_waitcnt_depctr 0xfff
	v_fma_f32 v10, -v2, v7, 1.0
	v_fmac_f32_e32 v7, v10, v7
	v_div_scale_f32 v10, vcc_lo, v1, v18, v1
	s_delay_alu instid0(VALU_DEP_1) | instskip(NEXT) | instid1(VALU_DEP_1)
	v_mul_f32_e32 v13, v10, v7
	v_fma_f32 v14, -v2, v13, v10
	s_delay_alu instid0(VALU_DEP_1) | instskip(NEXT) | instid1(VALU_DEP_1)
	v_fmac_f32_e32 v13, v14, v7
	v_fma_f32 v2, -v2, v13, v10
	s_delay_alu instid0(VALU_DEP_1) | instskip(NEXT) | instid1(VALU_DEP_1)
	v_div_fmas_f32 v2, v2, v7, v13
	v_div_fixup_f32 v1, v2, v18, v1
	s_delay_alu instid0(VALU_DEP_1) | instskip(NEXT) | instid1(VALU_DEP_1)
	v_maxmin_f32 v1, v1, v16, v19
	v_and_b32_e32 v2, 0x7fffffff, v1
	s_delay_alu instid0(VALU_DEP_1)
	v_cmpx_gt_u32_e32 0x43800000, v2
	s_cbranch_execz .LBB34_168
; %bb.161:                              ;   in Loop: Header=BB34_120 Depth=1
	v_cmp_lt_u32_e32 vcc_lo, 0x3bffffff, v2
	s_mov_b32 s5, 0
                                        ; implicit-def: $vgpr2
	s_and_saveexec_b32 s0, vcc_lo
	s_delay_alu instid0(SALU_CYCLE_1)
	s_xor_b32 s0, exec_lo, s0
; %bb.162:                              ;   in Loop: Header=BB34_120 Depth=1
	v_bfe_u32 v2, v1, 20, 1
	s_mov_b32 s5, exec_lo
	s_delay_alu instid0(VALU_DEP_1) | instskip(NEXT) | instid1(VALU_DEP_1)
	v_add3_u32 v2, v1, v2, 0x487ffff
	v_lshrrev_b32_e32 v2, 20, v2
; %bb.163:                              ;   in Loop: Header=BB34_120 Depth=1
	s_or_saveexec_b32 s6, s0
                                        ; implicit-def: $sgpr0_sgpr1
	s_delay_alu instid0(SALU_CYCLE_1)
	s_xor_b32 exec_lo, exec_lo, s6
; %bb.164:                              ;   in Loop: Header=BB34_120 Depth=1
	v_add_f32_e64 v2, 0x46000000, |v1|
	s_and_not1_b32 s5, s5, exec_lo
	s_mov_b64 s[0:1], 0
	s_delay_alu instid0(VALU_DEP_1) | instskip(NEXT) | instid1(VALU_DEP_1)
	v_and_b32_e32 v2, 0xff, v2
	v_cmp_ne_u32_e32 vcc_lo, 0, v2
	s_and_b32 s7, vcc_lo, exec_lo
	s_delay_alu instid0(SALU_CYCLE_1)
	s_or_b32 s5, s5, s7
; %bb.165:                              ;   in Loop: Header=BB34_120 Depth=1
	s_or_b32 exec_lo, exec_lo, s6
	v_dual_mov_b32 v13, s1 :: v_dual_mov_b32 v12, s0
	s_and_saveexec_b32 s0, s5
; %bb.166:                              ;   in Loop: Header=BB34_120 Depth=1
	v_lshrrev_b32_e32 v1, 24, v1
	s_delay_alu instid0(VALU_DEP_1)
	v_and_or_b32 v12, 0x80, v1, v2
; %bb.167:                              ;   in Loop: Header=BB34_120 Depth=1
	s_or_b32 exec_lo, exec_lo, s0
.LBB34_168:                             ;   in Loop: Header=BB34_120 Depth=1
	s_delay_alu instid0(SALU_CYCLE_1) | instskip(SKIP_2) | instid1(VALU_DEP_1)
	s_or_b32 exec_lo, exec_lo, s4
	v_lshlrev_b32_e32 v1, 16, v3
	s_mov_b32 s4, exec_lo
	v_div_scale_f32 v2, null, v18, v18, v1
	v_div_scale_f32 v13, vcc_lo, v1, v18, v1
	s_delay_alu instid0(VALU_DEP_2) | instskip(SKIP_2) | instid1(VALU_DEP_1)
	v_rcp_f32_e32 v7, v2
	s_waitcnt_depctr 0xfff
	v_fma_f32 v10, -v2, v7, 1.0
	v_fmac_f32_e32 v7, v10, v7
	s_delay_alu instid0(VALU_DEP_1) | instskip(NEXT) | instid1(VALU_DEP_1)
	v_mul_f32_e32 v10, v13, v7
	v_fma_f32 v14, -v2, v10, v13
	s_delay_alu instid0(VALU_DEP_1) | instskip(NEXT) | instid1(VALU_DEP_1)
	v_fmac_f32_e32 v10, v14, v7
	v_fma_f32 v2, -v2, v10, v13
	s_delay_alu instid0(VALU_DEP_1) | instskip(NEXT) | instid1(VALU_DEP_1)
	v_div_fmas_f32 v2, v2, v7, v10
	v_div_fixup_f32 v1, v2, v18, v1
	s_delay_alu instid0(VALU_DEP_1) | instskip(SKIP_2) | instid1(VALU_DEP_3)
	v_maxmin_f32 v7, v1, v16, v19
	v_mov_b32_e32 v1, 0x80
	v_mov_b32_e32 v2, 0
	v_and_b32_e32 v10, 0x7fffffff, v7
	s_delay_alu instid0(VALU_DEP_2) | instskip(NEXT) | instid1(VALU_DEP_2)
	v_dual_mov_b32 v14, v2 :: v_dual_mov_b32 v13, v1
	v_cmpx_gt_u32_e32 0x43800000, v10
	s_cbranch_execz .LBB34_176
; %bb.169:                              ;   in Loop: Header=BB34_120 Depth=1
	s_mov_b32 s5, 0
	s_mov_b32 s0, exec_lo
                                        ; implicit-def: $vgpr2
	v_cmpx_lt_u32_e32 0x3bffffff, v10
	s_xor_b32 s0, exec_lo, s0
; %bb.170:                              ;   in Loop: Header=BB34_120 Depth=1
	v_bfe_u32 v2, v7, 20, 1
	s_mov_b32 s5, exec_lo
	s_delay_alu instid0(VALU_DEP_1) | instskip(NEXT) | instid1(VALU_DEP_1)
	v_add3_u32 v2, v7, v2, 0x487ffff
	v_lshrrev_b32_e32 v2, 20, v2
; %bb.171:                              ;   in Loop: Header=BB34_120 Depth=1
	s_or_saveexec_b32 s6, s0
                                        ; implicit-def: $sgpr0_sgpr1
	s_delay_alu instid0(SALU_CYCLE_1)
	s_xor_b32 exec_lo, exec_lo, s6
; %bb.172:                              ;   in Loop: Header=BB34_120 Depth=1
	v_add_f32_e64 v2, 0x46000000, |v7|
	s_and_not1_b32 s5, s5, exec_lo
	s_mov_b64 s[0:1], 0
	s_delay_alu instid0(VALU_DEP_1) | instskip(NEXT) | instid1(VALU_DEP_1)
	v_and_b32_e32 v2, 0xff, v2
	v_cmp_ne_u32_e32 vcc_lo, 0, v2
	s_and_b32 s7, vcc_lo, exec_lo
	s_delay_alu instid0(SALU_CYCLE_1)
	s_or_b32 s5, s5, s7
; %bb.173:                              ;   in Loop: Header=BB34_120 Depth=1
	s_or_b32 exec_lo, exec_lo, s6
	v_dual_mov_b32 v14, s1 :: v_dual_mov_b32 v13, s0
	s_and_saveexec_b32 s0, s5
; %bb.174:                              ;   in Loop: Header=BB34_120 Depth=1
	v_lshrrev_b32_e32 v7, 24, v7
	s_delay_alu instid0(VALU_DEP_1)
	v_and_or_b32 v13, 0x80, v7, v2
; %bb.175:                              ;   in Loop: Header=BB34_120 Depth=1
	s_or_b32 exec_lo, exec_lo, s0
.LBB34_176:                             ;   in Loop: Header=BB34_120 Depth=1
	s_delay_alu instid0(SALU_CYCLE_1) | instskip(SKIP_2) | instid1(VALU_DEP_1)
	s_or_b32 exec_lo, exec_lo, s4
	v_and_b32_e32 v2, 0xffff0000, v3
	s_mov_b32 s4, exec_lo
	v_div_scale_f32 v3, null, v18, v18, v2
	s_delay_alu instid0(VALU_DEP_1) | instskip(SKIP_2) | instid1(VALU_DEP_1)
	v_rcp_f32_e32 v7, v3
	s_waitcnt_depctr 0xfff
	v_fma_f32 v10, -v3, v7, 1.0
	v_fmac_f32_e32 v7, v10, v7
	v_div_scale_f32 v10, vcc_lo, v2, v18, v2
	s_delay_alu instid0(VALU_DEP_1) | instskip(NEXT) | instid1(VALU_DEP_1)
	v_mul_f32_e32 v14, v10, v7
	v_fma_f32 v20, -v3, v14, v10
	s_delay_alu instid0(VALU_DEP_1) | instskip(NEXT) | instid1(VALU_DEP_1)
	v_fmac_f32_e32 v14, v20, v7
	v_fma_f32 v3, -v3, v14, v10
	s_delay_alu instid0(VALU_DEP_1) | instskip(NEXT) | instid1(VALU_DEP_1)
	v_div_fmas_f32 v3, v3, v7, v14
	v_div_fixup_f32 v2, v3, v18, v2
	s_delay_alu instid0(VALU_DEP_1) | instskip(NEXT) | instid1(VALU_DEP_1)
	v_maxmin_f32 v3, v2, v16, v19
	v_and_b32_e32 v2, 0x7fffffff, v3
	s_delay_alu instid0(VALU_DEP_1)
	v_cmpx_gt_u32_e32 0x43800000, v2
	s_cbranch_execz .LBB34_119
; %bb.177:                              ;   in Loop: Header=BB34_120 Depth=1
	s_mov_b32 s5, 0
	s_mov_b32 s0, exec_lo
                                        ; implicit-def: $vgpr7
	v_cmpx_lt_u32_e32 0x3bffffff, v2
	s_xor_b32 s0, exec_lo, s0
; %bb.178:                              ;   in Loop: Header=BB34_120 Depth=1
	v_bfe_u32 v1, v3, 20, 1
	s_mov_b32 s5, exec_lo
	s_delay_alu instid0(VALU_DEP_1) | instskip(NEXT) | instid1(VALU_DEP_1)
	v_add3_u32 v1, v3, v1, 0x487ffff
	v_lshrrev_b32_e32 v7, 20, v1
; %bb.179:                              ;   in Loop: Header=BB34_120 Depth=1
	s_or_saveexec_b32 s6, s0
                                        ; implicit-def: $sgpr0_sgpr1
	s_delay_alu instid0(SALU_CYCLE_1)
	s_xor_b32 exec_lo, exec_lo, s6
; %bb.180:                              ;   in Loop: Header=BB34_120 Depth=1
	v_add_f32_e64 v1, 0x46000000, |v3|
	s_and_not1_b32 s5, s5, exec_lo
	s_mov_b64 s[0:1], 0
	s_delay_alu instid0(VALU_DEP_1) | instskip(NEXT) | instid1(VALU_DEP_1)
	v_and_b32_e32 v7, 0xff, v1
	v_cmp_ne_u32_e32 vcc_lo, 0, v7
	s_and_b32 s7, vcc_lo, exec_lo
	s_delay_alu instid0(SALU_CYCLE_1)
	s_or_b32 s5, s5, s7
; %bb.181:                              ;   in Loop: Header=BB34_120 Depth=1
	s_or_b32 exec_lo, exec_lo, s6
	v_dual_mov_b32 v2, s1 :: v_dual_mov_b32 v1, s0
	s_and_saveexec_b32 s0, s5
	s_cbranch_execz .LBB34_118
; %bb.182:                              ;   in Loop: Header=BB34_120 Depth=1
	v_lshrrev_b32_e32 v1, 24, v3
	s_delay_alu instid0(VALU_DEP_1)
	v_and_or_b32 v1, 0x80, v1, v7
	s_branch .LBB34_118
.LBB34_183:
	s_nop 0
	s_sendmsg sendmsg(MSG_DEALLOC_VGPRS)
	s_endpgm
.LBB34_184:
	v_bfe_u32 v1, v0, 20, 1
	s_mov_b32 s2, exec_lo
	s_delay_alu instid0(VALU_DEP_1) | instskip(NEXT) | instid1(VALU_DEP_1)
	v_add3_u32 v1, v0, v1, 0x487ffff
	v_lshrrev_b32_e32 v1, 20, v1
	s_or_saveexec_b32 s3, s3
                                        ; implicit-def: $sgpr4
	s_delay_alu instid0(SALU_CYCLE_1)
	s_xor_b32 exec_lo, exec_lo, s3
	s_cbranch_execz .LBB34_25
.LBB34_185:
	v_add_f32_e64 v1, 0x46000000, |v0|
	s_and_not1_b32 s2, s2, exec_lo
	s_mov_b32 s4, 0
	s_delay_alu instid0(VALU_DEP_1) | instskip(NEXT) | instid1(VALU_DEP_1)
	v_and_b32_e32 v1, 0xff, v1
	v_cmp_ne_u32_e32 vcc_lo, 0, v1
	s_and_b32 s5, vcc_lo, exec_lo
	s_delay_alu instid0(SALU_CYCLE_1)
	s_or_b32 s2, s2, s5
	s_or_b32 exec_lo, exec_lo, s3
	v_mov_b32_e32 v2, s4
	s_and_saveexec_b32 s3, s2
	s_cbranch_execnz .LBB34_26
	s_branch .LBB34_27
	.section	.rodata,"a",@progbits
	.p2align	6, 0x0
	.amdhsa_kernel _Z33per_token_group_quant_8bit_kernelIN3c108BFloat16ENS0_15Float8_e4m3fnuzELb0ELb1EfEvPKT_PvPT3_iiifffii
		.amdhsa_group_segment_fixed_size 0
		.amdhsa_private_segment_fixed_size 0
		.amdhsa_kernarg_size 56
		.amdhsa_user_sgpr_count 15
		.amdhsa_user_sgpr_dispatch_ptr 0
		.amdhsa_user_sgpr_queue_ptr 0
		.amdhsa_user_sgpr_kernarg_segment_ptr 1
		.amdhsa_user_sgpr_dispatch_id 0
		.amdhsa_user_sgpr_private_segment_size 0
		.amdhsa_wavefront_size32 1
		.amdhsa_uses_dynamic_stack 0
		.amdhsa_enable_private_segment 0
		.amdhsa_system_sgpr_workgroup_id_x 1
		.amdhsa_system_sgpr_workgroup_id_y 0
		.amdhsa_system_sgpr_workgroup_id_z 0
		.amdhsa_system_sgpr_workgroup_info 0
		.amdhsa_system_vgpr_workitem_id 0
		.amdhsa_next_free_vgpr 38
		.amdhsa_next_free_sgpr 16
		.amdhsa_reserve_vcc 1
		.amdhsa_float_round_mode_32 0
		.amdhsa_float_round_mode_16_64 0
		.amdhsa_float_denorm_mode_32 3
		.amdhsa_float_denorm_mode_16_64 3
		.amdhsa_dx10_clamp 1
		.amdhsa_ieee_mode 1
		.amdhsa_fp16_overflow 0
		.amdhsa_workgroup_processor_mode 1
		.amdhsa_memory_ordered 1
		.amdhsa_forward_progress 0
		.amdhsa_shared_vgpr_count 0
		.amdhsa_exception_fp_ieee_invalid_op 0
		.amdhsa_exception_fp_denorm_src 0
		.amdhsa_exception_fp_ieee_div_zero 0
		.amdhsa_exception_fp_ieee_overflow 0
		.amdhsa_exception_fp_ieee_underflow 0
		.amdhsa_exception_fp_ieee_inexact 0
		.amdhsa_exception_int_div_zero 0
	.end_amdhsa_kernel
	.section	.text._Z33per_token_group_quant_8bit_kernelIN3c108BFloat16ENS0_15Float8_e4m3fnuzELb0ELb1EfEvPKT_PvPT3_iiifffii,"axG",@progbits,_Z33per_token_group_quant_8bit_kernelIN3c108BFloat16ENS0_15Float8_e4m3fnuzELb0ELb1EfEvPKT_PvPT3_iiifffii,comdat
.Lfunc_end34:
	.size	_Z33per_token_group_quant_8bit_kernelIN3c108BFloat16ENS0_15Float8_e4m3fnuzELb0ELb1EfEvPKT_PvPT3_iiifffii, .Lfunc_end34-_Z33per_token_group_quant_8bit_kernelIN3c108BFloat16ENS0_15Float8_e4m3fnuzELb0ELb1EfEvPKT_PvPT3_iiifffii
                                        ; -- End function
	.section	.AMDGPU.csdata,"",@progbits
; Kernel info:
; codeLenInByte = 9184
; NumSgprs: 18
; NumVgprs: 38
; ScratchSize: 0
; MemoryBound: 0
; FloatMode: 240
; IeeeMode: 1
; LDSByteSize: 0 bytes/workgroup (compile time only)
; SGPRBlocks: 2
; VGPRBlocks: 4
; NumSGPRsForWavesPerEU: 18
; NumVGPRsForWavesPerEU: 38
; Occupancy: 16
; WaveLimiterHint : 0
; COMPUTE_PGM_RSRC2:SCRATCH_EN: 0
; COMPUTE_PGM_RSRC2:USER_SGPR: 15
; COMPUTE_PGM_RSRC2:TRAP_HANDLER: 0
; COMPUTE_PGM_RSRC2:TGID_X_EN: 1
; COMPUTE_PGM_RSRC2:TGID_Y_EN: 0
; COMPUTE_PGM_RSRC2:TGID_Z_EN: 0
; COMPUTE_PGM_RSRC2:TIDIG_COMP_CNT: 0
	.section	.text._Z33per_token_group_quant_8bit_kernelIN3c108BFloat16ENS0_15Float8_e4m3fnuzELb0ELb0EfEvPKT_PvPT3_iiifffii,"axG",@progbits,_Z33per_token_group_quant_8bit_kernelIN3c108BFloat16ENS0_15Float8_e4m3fnuzELb0ELb0EfEvPKT_PvPT3_iiifffii,comdat
	.protected	_Z33per_token_group_quant_8bit_kernelIN3c108BFloat16ENS0_15Float8_e4m3fnuzELb0ELb0EfEvPKT_PvPT3_iiifffii ; -- Begin function _Z33per_token_group_quant_8bit_kernelIN3c108BFloat16ENS0_15Float8_e4m3fnuzELb0ELb0EfEvPKT_PvPT3_iiifffii
	.globl	_Z33per_token_group_quant_8bit_kernelIN3c108BFloat16ENS0_15Float8_e4m3fnuzELb0ELb0EfEvPKT_PvPT3_iiifffii
	.p2align	8
	.type	_Z33per_token_group_quant_8bit_kernelIN3c108BFloat16ENS0_15Float8_e4m3fnuzELb0ELb0EfEvPKT_PvPT3_iiifffii,@function
_Z33per_token_group_quant_8bit_kernelIN3c108BFloat16ENS0_15Float8_e4m3fnuzELb0ELb0EfEvPKT_PvPT3_iiifffii: ; @_Z33per_token_group_quant_8bit_kernelIN3c108BFloat16ENS0_15Float8_e4m3fnuzELb0ELb0EfEvPKT_PvPT3_iiifffii
; %bb.0:
	s_clause 0x1
	s_load_b128 s[4:7], s[0:1], 0x20
	s_load_b32 s10, s[0:1], 0x18
	v_lshrrev_b32_e32 v3, 4, v0
	v_and_b32_e32 v17, 15, v0
	s_waitcnt lgkmcnt(0)
	s_mul_i32 s15, s15, s4
	s_ashr_i32 s4, s10, 31
	v_add_co_u32 v1, s2, s15, v3
	s_delay_alu instid0(VALU_DEP_1) | instskip(SKIP_1) | instid1(VALU_DEP_2)
	v_add_co_ci_u32_e64 v2, null, 0, 0, s2
	s_load_b64 s[2:3], s[0:1], 0x0
	v_mul_lo_u32 v7, v1, s4
	v_mad_u64_u32 v[4:5], null, v1, s10, 0
	s_delay_alu instid0(VALU_DEP_3) | instskip(SKIP_2) | instid1(SALU_CYCLE_1)
	v_mul_lo_u32 v6, v2, s10
	v_mul_lo_u32 v19, v3, s10
	s_and_b32 s8, s10, 7
                                        ; implicit-def: $vgpr3
	s_cmp_eq_u32 s8, 0
	s_cselect_b32 s4, -1, 0
	s_cmp_lg_u32 s8, 0
	s_delay_alu instid0(VALU_DEP_2) | instskip(NEXT) | instid1(VALU_DEP_2)
	v_add3_u32 v5, v5, v7, v6
	v_lshl_add_u32 v0, v19, 1, 0
	s_cselect_b32 s8, -1, 0
	s_delay_alu instid0(VALU_DEP_2) | instskip(SKIP_1) | instid1(VALU_DEP_1)
	v_lshlrev_b64 v[6:7], 1, v[4:5]
	s_waitcnt lgkmcnt(0)
	v_add_co_u32 v8, vcc_lo, s2, v6
	v_mov_b32_e32 v11, 0
	s_delay_alu instid0(VALU_DEP_3) | instskip(NEXT) | instid1(VALU_DEP_3)
	v_add_co_ci_u32_e32 v9, vcc_lo, s3, v7, vcc_lo
	v_and_b32_e32 v10, 15, v8
	s_delay_alu instid0(VALU_DEP_1) | instskip(SKIP_1) | instid1(SALU_CYCLE_1)
	v_cmp_ne_u64_e32 vcc_lo, 0, v[10:11]
	s_or_b32 s8, s8, vcc_lo
	s_and_saveexec_b32 s9, s8
	s_delay_alu instid0(SALU_CYCLE_1)
	s_xor_b32 s8, exec_lo, s9
	s_cbranch_execz .LBB35_12
; %bb.1:
	v_sub_nc_u32_e32 v3, 0, v8
	s_mov_b32 s9, exec_lo
	s_delay_alu instid0(VALU_DEP_1) | instskip(NEXT) | instid1(VALU_DEP_1)
	v_bfe_u32 v3, v3, 1, 3
	v_min_i32_e32 v10, s10, v3
	v_mov_b32_e32 v3, s5
	s_delay_alu instid0(VALU_DEP_2)
	v_cmpx_gt_i32_e64 v10, v17
	s_cbranch_execz .LBB35_3
; %bb.2:
	v_lshlrev_b32_e32 v3, 1, v17
	v_max_f32_e64 v11, s5, s5
	s_delay_alu instid0(VALU_DEP_2) | instskip(SKIP_4) | instid1(VALU_DEP_1)
	v_add_co_u32 v8, vcc_lo, v8, v3
	v_add_co_ci_u32_e32 v9, vcc_lo, 0, v9, vcc_lo
	global_load_u16 v8, v[8:9], off
	s_waitcnt vmcnt(0)
	v_lshlrev_b32_e32 v9, 16, v8
	v_max_f32_e64 v9, |v9|, |v9|
	s_delay_alu instid0(VALU_DEP_1)
	v_dual_max_f32 v3, v11, v9 :: v_dual_add_nc_u32 v12, v0, v3
	ds_store_b16 v12, v8
.LBB35_3:
	s_or_b32 exec_lo, exec_lo, s9
	v_sub_nc_u32_e32 v12, s10, v10
	v_ashrrev_i32_e32 v11, 31, v10
	v_lshlrev_b32_e32 v13, 1, v10
	s_mov_b32 s9, exec_lo
	s_delay_alu instid0(VALU_DEP_3) | instskip(NEXT) | instid1(VALU_DEP_1)
	v_ashrrev_i32_e32 v8, 31, v12
	v_lshrrev_b32_e32 v8, 29, v8
	s_delay_alu instid0(VALU_DEP_1) | instskip(NEXT) | instid1(VALU_DEP_1)
	v_add_nc_u32_e32 v8, v12, v8
	v_ashrrev_i32_e32 v14, 3, v8
	v_lshlrev_b64 v[8:9], 1, v[10:11]
	s_delay_alu instid0(VALU_DEP_2)
	v_cmpx_gt_i32_e64 v14, v17
	s_cbranch_execz .LBB35_7
; %bb.4:
	v_lshlrev_b32_e32 v10, 4, v17
	s_mov_b32 s11, 0
	s_delay_alu instid0(VALU_DEP_1) | instskip(SKIP_2) | instid1(VALU_DEP_3)
	v_add_co_u32 v11, vcc_lo, v6, v10
	v_add_co_ci_u32_e32 v15, vcc_lo, 0, v7, vcc_lo
	v_lshl_add_u32 v10, v19, 1, v10
	v_add_co_u32 v11, vcc_lo, v11, v8
	s_delay_alu instid0(VALU_DEP_3) | instskip(NEXT) | instid1(VALU_DEP_2)
	v_add_co_ci_u32_e32 v15, vcc_lo, v15, v9, vcc_lo
	v_add_co_u32 v11, vcc_lo, v11, s2
	s_delay_alu instid0(VALU_DEP_2) | instskip(SKIP_1) | instid1(VALU_DEP_3)
	v_add_co_ci_u32_e32 v16, vcc_lo, s3, v15, vcc_lo
	v_add3_u32 v15, v10, v13, 0
	v_add_co_u32 v10, vcc_lo, v11, 8
	s_delay_alu instid0(VALU_DEP_3)
	v_add_co_ci_u32_e32 v11, vcc_lo, 0, v16, vcc_lo
	v_mov_b32_e32 v16, v17
	s_set_inst_prefetch_distance 0x1
	.p2align	6
.LBB35_5:                               ; =>This Inner Loop Header: Depth=1
	global_load_b128 v[20:23], v[10:11], off offset:-8
	v_add_nc_u32_e32 v16, 16, v16
	v_add_co_u32 v10, vcc_lo, 0x100, v10
	v_add_co_ci_u32_e32 v11, vcc_lo, 0, v11, vcc_lo
	s_delay_alu instid0(VALU_DEP_3)
	v_cmp_ge_i32_e32 vcc_lo, v16, v14
	s_or_b32 s11, vcc_lo, s11
	s_waitcnt vmcnt(0)
	v_lshlrev_b32_e32 v18, 16, v20
	v_and_b32_e32 v24, 0xffff0000, v20
	v_lshlrev_b32_e32 v25, 16, v21
	v_and_b32_e32 v26, 0xffff0000, v21
	ds_store_b128 v15, v[20:23]
	v_add_nc_u32_e32 v15, 0x100, v15
	v_max3_f32 v3, v3, |v18|, |v24|
	v_lshlrev_b32_e32 v18, 16, v22
	v_and_b32_e32 v24, 0xffff0000, v22
	s_delay_alu instid0(VALU_DEP_3) | instskip(SKIP_2) | instid1(VALU_DEP_3)
	v_max3_f32 v3, v3, |v25|, |v26|
	v_lshlrev_b32_e32 v25, 16, v23
	v_and_b32_e32 v26, 0xffff0000, v23
	v_max3_f32 v3, v3, |v18|, |v24|
	s_delay_alu instid0(VALU_DEP_1)
	v_max3_f32 v3, v3, |v25|, |v26|
	s_and_not1_b32 exec_lo, exec_lo, s11
	s_cbranch_execnz .LBB35_5
; %bb.6:
	s_set_inst_prefetch_distance 0x2
	s_or_b32 exec_lo, exec_lo, s11
.LBB35_7:
	s_delay_alu instid0(SALU_CYCLE_1) | instskip(SKIP_2) | instid1(VALU_DEP_1)
	s_or_b32 exec_lo, exec_lo, s9
	v_lshl_add_u32 v10, v14, 3, v17
	s_mov_b32 s9, exec_lo
	v_cmpx_lt_i32_e64 v10, v12
	s_cbranch_execz .LBB35_11
; %bb.8:
	v_ashrrev_i32_e32 v11, 31, v10
	v_lshlrev_b32_e32 v18, 4, v14
	v_add_co_u32 v6, vcc_lo, v6, v8
	v_lshlrev_b32_e32 v16, 1, v19
	s_delay_alu instid0(VALU_DEP_4) | instskip(SKIP_2) | instid1(VALU_DEP_4)
	v_lshlrev_b64 v[14:15], 1, v[10:11]
	v_add_co_ci_u32_e32 v7, vcc_lo, v7, v9, vcc_lo
	v_lshlrev_b32_e32 v20, 1, v17
	v_add3_u32 v8, v16, v18, v13
	s_mov_b32 s11, 0
	s_delay_alu instid0(VALU_DEP_4) | instskip(SKIP_1) | instid1(VALU_DEP_3)
	v_add_co_u32 v6, vcc_lo, v6, v14
	v_add_co_ci_u32_e32 v7, vcc_lo, v7, v15, vcc_lo
	v_add3_u32 v8, v8, v20, 0
	s_delay_alu instid0(VALU_DEP_3) | instskip(NEXT) | instid1(VALU_DEP_3)
	v_add_co_u32 v6, vcc_lo, s2, v6
	v_add_co_ci_u32_e32 v7, vcc_lo, s3, v7, vcc_lo
	.p2align	6
.LBB35_9:                               ; =>This Inner Loop Header: Depth=1
	global_load_u16 v9, v[6:7], off
	v_dual_max_f32 v3, v3, v3 :: v_dual_add_nc_u32 v10, 16, v10
	v_add_co_u32 v6, vcc_lo, v6, 32
	v_add_co_ci_u32_e32 v7, vcc_lo, 0, v7, vcc_lo
	s_delay_alu instid0(VALU_DEP_3)
	v_cmp_ge_i32_e32 vcc_lo, v10, v12
	s_or_b32 s11, vcc_lo, s11
	s_waitcnt vmcnt(0)
	v_lshlrev_b32_e32 v11, 16, v9
	ds_store_b16 v8, v9
	v_max_f32_e64 v11, |v11|, |v11|
	s_delay_alu instid0(VALU_DEP_1)
	v_dual_max_f32 v3, v3, v11 :: v_dual_add_nc_u32 v8, 32, v8
	s_and_not1_b32 exec_lo, exec_lo, s11
	s_cbranch_execnz .LBB35_9
; %bb.10:
	s_or_b32 exec_lo, exec_lo, s11
.LBB35_11:
	s_delay_alu instid0(SALU_CYCLE_1)
	s_or_b32 exec_lo, exec_lo, s9
                                        ; implicit-def: $vgpr6_vgpr7
.LBB35_12:
	s_and_not1_saveexec_b32 s8, s8
	s_cbranch_execz .LBB35_18
; %bb.13:
	v_mov_b32_e32 v3, s5
	s_ashr_i32 s11, s10, 3
	s_mov_b32 s9, exec_lo
	v_cmpx_gt_i32_e64 s11, v17
	s_cbranch_execz .LBB35_17
; %bb.14:
	v_dual_mov_b32 v3, s5 :: v_dual_lshlrev_b32 v8, 4, v17
	v_lshlrev_b32_e32 v9, 1, v19
	s_delay_alu instid0(VALU_DEP_2) | instskip(SKIP_1) | instid1(VALU_DEP_3)
	v_add_co_u32 v6, vcc_lo, v6, v8
	v_add_co_ci_u32_e32 v7, vcc_lo, 0, v7, vcc_lo
	v_add3_u32 v8, v9, v8, 0
	s_delay_alu instid0(VALU_DEP_3) | instskip(NEXT) | instid1(VALU_DEP_3)
	v_add_co_u32 v6, vcc_lo, v6, s2
	v_add_co_ci_u32_e32 v7, vcc_lo, s3, v7, vcc_lo
	v_mov_b32_e32 v9, v17
	s_delay_alu instid0(VALU_DEP_3) | instskip(NEXT) | instid1(VALU_DEP_3)
	v_add_co_u32 v6, vcc_lo, v6, 8
	v_add_co_ci_u32_e32 v7, vcc_lo, 0, v7, vcc_lo
	s_mov_b32 s2, 0
	s_set_inst_prefetch_distance 0x1
	.p2align	6
.LBB35_15:                              ; =>This Inner Loop Header: Depth=1
	global_load_b128 v[10:13], v[6:7], off offset:-8
	v_add_nc_u32_e32 v9, 16, v9
	v_add_co_u32 v6, vcc_lo, 0x100, v6
	v_add_co_ci_u32_e32 v7, vcc_lo, 0, v7, vcc_lo
	s_delay_alu instid0(VALU_DEP_3)
	v_cmp_le_i32_e32 vcc_lo, s11, v9
	s_or_b32 s2, vcc_lo, s2
	s_waitcnt vmcnt(0)
	v_lshlrev_b32_e32 v14, 16, v10
	v_and_b32_e32 v15, 0xffff0000, v10
	v_lshlrev_b32_e32 v16, 16, v11
	v_and_b32_e32 v18, 0xffff0000, v11
	ds_store_b128 v8, v[10:13]
	v_add_nc_u32_e32 v8, 0x100, v8
	v_max3_f32 v3, v3, |v14|, |v15|
	v_lshlrev_b32_e32 v14, 16, v12
	v_and_b32_e32 v15, 0xffff0000, v12
	s_delay_alu instid0(VALU_DEP_3) | instskip(SKIP_2) | instid1(VALU_DEP_3)
	v_max3_f32 v3, v3, |v16|, |v18|
	v_lshlrev_b32_e32 v16, 16, v13
	v_and_b32_e32 v18, 0xffff0000, v13
	v_max3_f32 v3, v3, |v14|, |v15|
	s_delay_alu instid0(VALU_DEP_1)
	v_max3_f32 v3, v3, |v16|, |v18|
	s_and_not1_b32 exec_lo, exec_lo, s2
	s_cbranch_execnz .LBB35_15
; %bb.16:
	s_set_inst_prefetch_distance 0x2
	s_or_b32 exec_lo, exec_lo, s2
.LBB35_17:
	s_delay_alu instid0(SALU_CYCLE_1)
	s_or_b32 exec_lo, exec_lo, s9
.LBB35_18:
	s_delay_alu instid0(SALU_CYCLE_1) | instskip(SKIP_3) | instid1(VALU_DEP_1)
	s_or_b32 exec_lo, exec_lo, s8
	v_mbcnt_lo_u32_b32 v6, -1, 0
	s_load_b64 s[8:9], s[0:1], 0x8
	s_mov_b32 s2, exec_lo
	v_xor_b32_e32 v8, 8, v6
	v_and_b32_e32 v7, 16, v6
	v_xor_b32_e32 v9, 4, v6
	s_delay_alu instid0(VALU_DEP_2) | instskip(NEXT) | instid1(VALU_DEP_1)
	v_add_nc_u32_e32 v7, 16, v7
	v_cmp_lt_i32_e32 vcc_lo, v8, v7
	v_cndmask_b32_e32 v8, v6, v8, vcc_lo
	s_delay_alu instid0(VALU_DEP_1) | instskip(SKIP_4) | instid1(VALU_DEP_2)
	v_lshlrev_b32_e32 v8, 2, v8
	ds_bpermute_b32 v8, v8, v3
	s_waitcnt lgkmcnt(0)
	v_dual_max_f32 v3, v3, v3 :: v_dual_max_f32 v8, v8, v8
	v_cmp_lt_i32_e32 vcc_lo, v9, v7
	v_max_f32_e32 v3, v3, v8
	v_cndmask_b32_e32 v9, v6, v9, vcc_lo
	s_delay_alu instid0(VALU_DEP_1) | instskip(SKIP_2) | instid1(VALU_DEP_1)
	v_lshlrev_b32_e32 v9, 2, v9
	ds_bpermute_b32 v8, v9, v3
	v_xor_b32_e32 v9, 2, v6
	v_cmp_lt_i32_e32 vcc_lo, v9, v7
	v_cndmask_b32_e32 v9, v6, v9, vcc_lo
	s_waitcnt lgkmcnt(0)
	s_delay_alu instid0(VALU_DEP_1) | instskip(NEXT) | instid1(VALU_DEP_1)
	v_dual_max_f32 v8, v8, v8 :: v_dual_lshlrev_b32 v9, 2, v9
	v_max_f32_e32 v3, v3, v8
	ds_bpermute_b32 v8, v9, v3
	v_xor_b32_e32 v9, 1, v6
	s_delay_alu instid0(VALU_DEP_1) | instskip(SKIP_2) | instid1(VALU_DEP_1)
	v_cmp_lt_i32_e32 vcc_lo, v9, v7
	v_cndmask_b32_e32 v6, v6, v9, vcc_lo
	s_waitcnt lgkmcnt(0)
	v_dual_max_f32 v7, v8, v8 :: v_dual_lshlrev_b32 v6, 2, v6
	s_delay_alu instid0(VALU_DEP_1) | instskip(SKIP_3) | instid1(VALU_DEP_1)
	v_max_f32_e32 v3, v3, v7
	ds_bpermute_b32 v6, v6, v3
	s_waitcnt lgkmcnt(0)
	v_max_f32_e32 v6, v6, v6
	v_max_f32_e32 v3, v3, v6
	s_delay_alu instid0(VALU_DEP_1) | instskip(SKIP_1) | instid1(VALU_DEP_2)
	v_div_scale_f32 v6, null, s7, s7, v3
	v_div_scale_f32 v9, vcc_lo, v3, s7, v3
	v_rcp_f32_e32 v7, v6
	s_waitcnt_depctr 0xfff
	v_fma_f32 v8, -v6, v7, 1.0
	s_delay_alu instid0(VALU_DEP_1) | instskip(NEXT) | instid1(VALU_DEP_1)
	v_fmac_f32_e32 v7, v8, v7
	v_mul_f32_e32 v8, v9, v7
	s_delay_alu instid0(VALU_DEP_1) | instskip(NEXT) | instid1(VALU_DEP_1)
	v_fma_f32 v10, -v6, v8, v9
	v_fmac_f32_e32 v8, v10, v7
	s_delay_alu instid0(VALU_DEP_1) | instskip(NEXT) | instid1(VALU_DEP_1)
	v_fma_f32 v6, -v6, v8, v9
	v_div_fmas_f32 v6, v6, v7, v8
	s_delay_alu instid0(VALU_DEP_1)
	v_div_fixup_f32 v18, v6, s7, v3
	v_cmpx_eq_u32_e32 0, v17
	s_cbranch_execz .LBB35_20
; %bb.19:
	s_load_b64 s[0:1], s[0:1], 0x10
	v_lshlrev_b64 v[1:2], 2, v[1:2]
	s_waitcnt lgkmcnt(0)
	s_delay_alu instid0(VALU_DEP_1) | instskip(NEXT) | instid1(VALU_DEP_2)
	v_add_co_u32 v1, vcc_lo, s0, v1
	v_add_co_ci_u32_e32 v2, vcc_lo, s1, v2, vcc_lo
	global_store_b32 v[1:2], v18, off
.LBB35_20:
	s_or_b32 exec_lo, exec_lo, s2
	v_dual_mov_b32 v2, 0 :: v_dual_and_b32 v1, 15, v0
	s_xor_b32 s0, s4, -1
	s_waitcnt_vscnt null, 0x0
	s_barrier
	buffer_gl0_inv
	v_cmp_ne_u64_e32 vcc_lo, 0, v[1:2]
	s_or_b32 s0, s0, vcc_lo
	s_delay_alu instid0(SALU_CYCLE_1) | instskip(NEXT) | instid1(SALU_CYCLE_1)
	s_and_saveexec_b32 s1, s0
	s_xor_b32 s11, exec_lo, s1
	s_cbranch_execz .LBB35_115
; %bb.21:
	v_sub_nc_u32_e32 v1, 0, v0
	v_add_co_u32 v24, vcc_lo, s8, v4
	v_add_co_ci_u32_e32 v25, vcc_lo, s9, v5, vcc_lo
	s_delay_alu instid0(VALU_DEP_3) | instskip(SKIP_1) | instid1(VALU_DEP_1)
	v_bfe_u32 v1, v1, 1, 3
	s_mov_b32 s0, exec_lo
	v_min_i32_e32 v21, s10, v1
	s_delay_alu instid0(VALU_DEP_1)
	v_cmpx_gt_i32_e64 v21, v17
	s_cbranch_execz .LBB35_29
; %bb.22:
	v_lshl_add_u32 v0, v17, 1, v0
	s_mov_b32 s1, exec_lo
	ds_load_u16 v0, v0
	s_waitcnt lgkmcnt(0)
	v_lshlrev_b32_e32 v0, 16, v0
	s_delay_alu instid0(VALU_DEP_1) | instskip(SKIP_1) | instid1(VALU_DEP_2)
	v_div_scale_f32 v1, null, v18, v18, v0
	v_div_scale_f32 v6, vcc_lo, v0, v18, v0
	v_rcp_f32_e32 v2, v1
	s_waitcnt_depctr 0xfff
	v_fma_f32 v3, -v1, v2, 1.0
	s_delay_alu instid0(VALU_DEP_1) | instskip(NEXT) | instid1(VALU_DEP_1)
	v_fmac_f32_e32 v2, v3, v2
	v_mul_f32_e32 v3, v6, v2
	s_delay_alu instid0(VALU_DEP_1) | instskip(NEXT) | instid1(VALU_DEP_1)
	v_fma_f32 v7, -v1, v3, v6
	v_fmac_f32_e32 v3, v7, v2
	s_delay_alu instid0(VALU_DEP_1) | instskip(NEXT) | instid1(VALU_DEP_1)
	v_fma_f32 v1, -v1, v3, v6
	v_div_fmas_f32 v1, v1, v2, v3
	v_max_f32_e64 v2, s6, s6
	v_max_f32_e64 v3, s7, s7
	s_delay_alu instid0(VALU_DEP_3) | instskip(NEXT) | instid1(VALU_DEP_1)
	v_div_fixup_f32 v0, v1, v18, v0
	v_maxmin_f32 v0, v0, v2, v3
	v_mov_b32_e32 v2, 0x80
	s_delay_alu instid0(VALU_DEP_2) | instskip(NEXT) | instid1(VALU_DEP_1)
	v_and_b32_e32 v1, 0x7fffffff, v0
	v_cmpx_gt_u32_e32 0x43800000, v1
	s_cbranch_execz .LBB35_28
; %bb.23:
	v_cmp_lt_u32_e32 vcc_lo, 0x3bffffff, v1
	s_mov_b32 s2, 0
                                        ; implicit-def: $vgpr1
	s_and_saveexec_b32 s3, vcc_lo
	s_delay_alu instid0(SALU_CYCLE_1)
	s_xor_b32 s3, exec_lo, s3
	s_cbranch_execnz .LBB35_184
; %bb.24:
	s_or_saveexec_b32 s3, s3
                                        ; implicit-def: $sgpr4
	s_delay_alu instid0(SALU_CYCLE_1)
	s_xor_b32 exec_lo, exec_lo, s3
	s_cbranch_execnz .LBB35_185
.LBB35_25:
	s_or_b32 exec_lo, exec_lo, s3
	v_mov_b32_e32 v2, s4
	s_and_saveexec_b32 s3, s2
.LBB35_26:
	v_lshrrev_b32_e32 v0, 24, v0
	s_delay_alu instid0(VALU_DEP_1)
	v_and_or_b32 v2, 0x80, v0, v1
.LBB35_27:
	s_or_b32 exec_lo, exec_lo, s3
.LBB35_28:
	s_delay_alu instid0(SALU_CYCLE_1)
	s_or_b32 exec_lo, exec_lo, s1
	v_add_co_u32 v0, vcc_lo, v24, v17
	v_add_co_ci_u32_e32 v1, vcc_lo, 0, v25, vcc_lo
	global_store_b8 v[0:1], v2, off
.LBB35_29:
	s_or_b32 exec_lo, exec_lo, s0
	v_sub_nc_u32_e32 v20, s10, v21
	v_ashrrev_i32_e32 v22, 31, v21
	v_lshlrev_b32_e32 v23, 1, v21
	s_mov_b32 s2, exec_lo
	s_delay_alu instid0(VALU_DEP_3) | instskip(NEXT) | instid1(VALU_DEP_1)
	v_ashrrev_i32_e32 v0, 31, v20
	v_lshrrev_b32_e32 v0, 29, v0
	s_delay_alu instid0(VALU_DEP_1) | instskip(NEXT) | instid1(VALU_DEP_1)
	v_add_nc_u32_e32 v0, v20, v0
	v_ashrrev_i32_e32 v26, 3, v0
	s_delay_alu instid0(VALU_DEP_1)
	v_cmpx_gt_i32_e64 v26, v17
	s_cbranch_execz .LBB35_96
; %bb.30:
	v_lshlrev_b32_e32 v0, 4, v17
	v_dual_mov_b32 v30, v17 :: v_dual_lshlrev_b32 v1, 3, v17
	v_add_co_u32 v2, vcc_lo, v21, v4
	v_add_co_ci_u32_e32 v3, vcc_lo, v22, v5, vcc_lo
	s_delay_alu instid0(VALU_DEP_4) | instskip(SKIP_1) | instid1(VALU_DEP_4)
	v_lshl_add_u32 v0, v19, 1, v0
	v_lshlrev_b32_e32 v6, 1, v21
	v_add_co_u32 v1, vcc_lo, v2, v1
	s_delay_alu instid0(VALU_DEP_4) | instskip(NEXT) | instid1(VALU_DEP_3)
	v_add_co_ci_u32_e32 v2, vcc_lo, 0, v3, vcc_lo
	v_add3_u32 v27, v0, v6, 0
	s_delay_alu instid0(VALU_DEP_3) | instskip(NEXT) | instid1(VALU_DEP_3)
	v_add_co_u32 v6, vcc_lo, s8, v1
	v_add_co_ci_u32_e32 v7, vcc_lo, s9, v2, vcc_lo
	v_max_f32_e64 v28, s6, s6
	v_max_f32_e64 v29, s7, s7
	s_mov_b32 s3, 0
	s_branch .LBB35_33
.LBB35_31:                              ;   in Loop: Header=BB35_33 Depth=1
	s_or_b32 exec_lo, exec_lo, s0
.LBB35_32:                              ;   in Loop: Header=BB35_33 Depth=1
	s_delay_alu instid0(SALU_CYCLE_1)
	s_or_b32 exec_lo, exec_lo, s4
	v_lshlrev_b32_e32 v2, 16, v15
	v_lshlrev_b32_e32 v3, 16, v13
	;; [unrolled: 1-line block ×5, first 2 shown]
	v_and_b32_e32 v2, 0xff0000, v2
	v_perm_b32 v3, v11, v3, 0x4020c0c
	v_and_b32_e32 v0, 0xff, v0
	v_and_b32_e32 v10, 0xff, v10
	;; [unrolled: 1-line block ×3, first 2 shown]
	v_or_b32_e32 v1, v1, v2
	v_and_or_b32 v2, 0xff00, v8, v3
	v_add_nc_u32_e32 v30, 16, v30
	v_add_nc_u32_e32 v27, 0x100, v27
	s_delay_alu instid0(VALU_DEP_4) | instskip(NEXT) | instid1(VALU_DEP_4)
	v_or3_b32 v1, v1, v9, v0
	v_or_b32_e32 v0, v2, v10
	s_delay_alu instid0(VALU_DEP_4) | instskip(SKIP_2) | instid1(VALU_DEP_1)
	v_cmp_ge_i32_e32 vcc_lo, v30, v26
	global_store_b64 v[6:7], v[0:1], off
	v_add_co_u32 v6, s0, 0x80, v6
	v_add_co_ci_u32_e64 v7, s0, 0, v7, s0
	s_or_b32 s3, vcc_lo, s3
	s_delay_alu instid0(SALU_CYCLE_1)
	s_and_not1_b32 exec_lo, exec_lo, s3
	s_cbranch_execz .LBB35_96
.LBB35_33:                              ; =>This Inner Loop Header: Depth=1
	ds_load_b128 v[0:3], v27
	s_mov_b32 s4, exec_lo
	s_waitcnt lgkmcnt(0)
	v_lshlrev_b32_e32 v8, 16, v0
	s_delay_alu instid0(VALU_DEP_1) | instskip(SKIP_1) | instid1(VALU_DEP_2)
	v_div_scale_f32 v9, null, v18, v18, v8
	v_div_scale_f32 v12, vcc_lo, v8, v18, v8
	v_rcp_f32_e32 v10, v9
	s_waitcnt_depctr 0xfff
	v_fma_f32 v11, -v9, v10, 1.0
	s_delay_alu instid0(VALU_DEP_1) | instskip(NEXT) | instid1(VALU_DEP_1)
	v_fmac_f32_e32 v10, v11, v10
	v_mul_f32_e32 v11, v12, v10
	s_delay_alu instid0(VALU_DEP_1) | instskip(NEXT) | instid1(VALU_DEP_1)
	v_fma_f32 v13, -v9, v11, v12
	v_fmac_f32_e32 v11, v13, v10
	s_delay_alu instid0(VALU_DEP_1) | instskip(NEXT) | instid1(VALU_DEP_1)
	v_fma_f32 v9, -v9, v11, v12
	v_div_fmas_f32 v9, v9, v10, v11
	s_delay_alu instid0(VALU_DEP_1) | instskip(NEXT) | instid1(VALU_DEP_1)
	v_div_fixup_f32 v8, v9, v18, v8
	v_maxmin_f32 v12, v8, v28, v29
	v_mov_b32_e32 v8, 0x80
	v_mov_b32_e32 v9, 0
	s_delay_alu instid0(VALU_DEP_3) | instskip(NEXT) | instid1(VALU_DEP_2)
	v_and_b32_e32 v13, 0x7fffffff, v12
	v_dual_mov_b32 v11, v9 :: v_dual_mov_b32 v10, v8
	s_delay_alu instid0(VALU_DEP_2)
	v_cmpx_gt_u32_e32 0x43800000, v13
	s_cbranch_execz .LBB35_41
; %bb.34:                               ;   in Loop: Header=BB35_33 Depth=1
	s_mov_b32 s5, 0
	s_mov_b32 s0, exec_lo
                                        ; implicit-def: $vgpr9
	v_cmpx_lt_u32_e32 0x3bffffff, v13
	s_xor_b32 s0, exec_lo, s0
; %bb.35:                               ;   in Loop: Header=BB35_33 Depth=1
	v_bfe_u32 v9, v12, 20, 1
	s_mov_b32 s5, exec_lo
	s_delay_alu instid0(VALU_DEP_1) | instskip(NEXT) | instid1(VALU_DEP_1)
	v_add3_u32 v9, v12, v9, 0x487ffff
	v_lshrrev_b32_e32 v9, 20, v9
; %bb.36:                               ;   in Loop: Header=BB35_33 Depth=1
	s_or_saveexec_b32 s12, s0
                                        ; implicit-def: $sgpr0_sgpr1
	s_delay_alu instid0(SALU_CYCLE_1)
	s_xor_b32 exec_lo, exec_lo, s12
; %bb.37:                               ;   in Loop: Header=BB35_33 Depth=1
	v_add_f32_e64 v9, 0x46000000, |v12|
	s_and_not1_b32 s5, s5, exec_lo
	s_mov_b64 s[0:1], 0
	s_delay_alu instid0(VALU_DEP_1) | instskip(NEXT) | instid1(VALU_DEP_1)
	v_and_b32_e32 v9, 0xff, v9
	v_cmp_ne_u32_e32 vcc_lo, 0, v9
	s_and_b32 s13, vcc_lo, exec_lo
	s_delay_alu instid0(SALU_CYCLE_1)
	s_or_b32 s5, s5, s13
; %bb.38:                               ;   in Loop: Header=BB35_33 Depth=1
	s_or_b32 exec_lo, exec_lo, s12
	v_dual_mov_b32 v11, s1 :: v_dual_mov_b32 v10, s0
	s_and_saveexec_b32 s0, s5
; %bb.39:                               ;   in Loop: Header=BB35_33 Depth=1
	v_lshrrev_b32_e32 v10, 24, v12
	s_delay_alu instid0(VALU_DEP_1)
	v_and_or_b32 v10, 0x80, v10, v9
; %bb.40:                               ;   in Loop: Header=BB35_33 Depth=1
	s_or_b32 exec_lo, exec_lo, s0
.LBB35_41:                              ;   in Loop: Header=BB35_33 Depth=1
	s_delay_alu instid0(SALU_CYCLE_1) | instskip(SKIP_2) | instid1(VALU_DEP_1)
	s_or_b32 exec_lo, exec_lo, s4
	v_and_b32_e32 v0, 0xffff0000, v0
	s_mov_b32 s4, exec_lo
	v_div_scale_f32 v9, null, v18, v18, v0
	s_delay_alu instid0(VALU_DEP_1) | instskip(SKIP_2) | instid1(VALU_DEP_1)
	v_rcp_f32_e32 v11, v9
	s_waitcnt_depctr 0xfff
	v_fma_f32 v12, -v9, v11, 1.0
	v_fmac_f32_e32 v11, v12, v11
	v_div_scale_f32 v12, vcc_lo, v0, v18, v0
	s_delay_alu instid0(VALU_DEP_1) | instskip(NEXT) | instid1(VALU_DEP_1)
	v_mul_f32_e32 v13, v12, v11
	v_fma_f32 v14, -v9, v13, v12
	s_delay_alu instid0(VALU_DEP_1) | instskip(NEXT) | instid1(VALU_DEP_1)
	v_fmac_f32_e32 v13, v14, v11
	v_fma_f32 v9, -v9, v13, v12
	s_delay_alu instid0(VALU_DEP_1) | instskip(NEXT) | instid1(VALU_DEP_1)
	v_div_fmas_f32 v9, v9, v11, v13
	v_div_fixup_f32 v0, v9, v18, v0
	s_delay_alu instid0(VALU_DEP_1) | instskip(NEXT) | instid1(VALU_DEP_1)
	v_maxmin_f32 v0, v0, v28, v29
	v_and_b32_e32 v9, 0x7fffffff, v0
	s_delay_alu instid0(VALU_DEP_1)
	v_cmpx_gt_u32_e32 0x43800000, v9
	s_cbranch_execz .LBB35_49
; %bb.42:                               ;   in Loop: Header=BB35_33 Depth=1
	s_mov_b32 s5, 0
	s_mov_b32 s0, exec_lo
                                        ; implicit-def: $vgpr11
	v_cmpx_lt_u32_e32 0x3bffffff, v9
	s_xor_b32 s0, exec_lo, s0
; %bb.43:                               ;   in Loop: Header=BB35_33 Depth=1
	v_bfe_u32 v8, v0, 20, 1
	s_mov_b32 s5, exec_lo
	s_delay_alu instid0(VALU_DEP_1) | instskip(NEXT) | instid1(VALU_DEP_1)
	v_add3_u32 v8, v0, v8, 0x487ffff
	v_lshrrev_b32_e32 v11, 20, v8
; %bb.44:                               ;   in Loop: Header=BB35_33 Depth=1
	s_or_saveexec_b32 s12, s0
                                        ; implicit-def: $sgpr0_sgpr1
	s_delay_alu instid0(SALU_CYCLE_1)
	s_xor_b32 exec_lo, exec_lo, s12
; %bb.45:                               ;   in Loop: Header=BB35_33 Depth=1
	v_add_f32_e64 v8, 0x46000000, |v0|
	s_and_not1_b32 s5, s5, exec_lo
	s_mov_b64 s[0:1], 0
	s_delay_alu instid0(VALU_DEP_1) | instskip(NEXT) | instid1(VALU_DEP_1)
	v_and_b32_e32 v11, 0xff, v8
	v_cmp_ne_u32_e32 vcc_lo, 0, v11
	s_and_b32 s13, vcc_lo, exec_lo
	s_delay_alu instid0(SALU_CYCLE_1)
	s_or_b32 s5, s5, s13
; %bb.46:                               ;   in Loop: Header=BB35_33 Depth=1
	s_or_b32 exec_lo, exec_lo, s12
	v_dual_mov_b32 v9, s1 :: v_dual_mov_b32 v8, s0
	s_and_saveexec_b32 s0, s5
; %bb.47:                               ;   in Loop: Header=BB35_33 Depth=1
	v_lshrrev_b32_e32 v0, 24, v0
	s_delay_alu instid0(VALU_DEP_1)
	v_and_or_b32 v8, 0x80, v0, v11
; %bb.48:                               ;   in Loop: Header=BB35_33 Depth=1
	s_or_b32 exec_lo, exec_lo, s0
.LBB35_49:                              ;   in Loop: Header=BB35_33 Depth=1
	s_delay_alu instid0(SALU_CYCLE_1) | instskip(SKIP_2) | instid1(VALU_DEP_1)
	s_or_b32 exec_lo, exec_lo, s4
	v_lshlrev_b32_e32 v0, 16, v1
	s_mov_b32 s4, exec_lo
	v_div_scale_f32 v9, null, v18, v18, v0
	s_delay_alu instid0(VALU_DEP_1) | instskip(SKIP_2) | instid1(VALU_DEP_1)
	v_rcp_f32_e32 v11, v9
	s_waitcnt_depctr 0xfff
	v_fma_f32 v12, -v9, v11, 1.0
	v_fmac_f32_e32 v11, v12, v11
	v_div_scale_f32 v13, vcc_lo, v0, v18, v0
	s_delay_alu instid0(VALU_DEP_1) | instskip(NEXT) | instid1(VALU_DEP_1)
	v_mul_f32_e32 v12, v13, v11
	v_fma_f32 v14, -v9, v12, v13
	s_delay_alu instid0(VALU_DEP_1) | instskip(NEXT) | instid1(VALU_DEP_1)
	v_fmac_f32_e32 v12, v14, v11
	v_fma_f32 v9, -v9, v12, v13
	s_delay_alu instid0(VALU_DEP_1) | instskip(SKIP_2) | instid1(VALU_DEP_3)
	v_div_fmas_f32 v9, v9, v11, v12
	v_mov_b32_e32 v11, 0x80
	v_mov_b32_e32 v12, 0
	v_div_fixup_f32 v0, v9, v18, v0
	s_delay_alu instid0(VALU_DEP_2) | instskip(NEXT) | instid1(VALU_DEP_2)
	v_dual_mov_b32 v14, v12 :: v_dual_mov_b32 v13, v11
	v_maxmin_f32 v0, v0, v28, v29
	s_delay_alu instid0(VALU_DEP_1) | instskip(NEXT) | instid1(VALU_DEP_1)
	v_and_b32_e32 v9, 0x7fffffff, v0
	v_cmpx_gt_u32_e32 0x43800000, v9
	s_cbranch_execz .LBB35_57
; %bb.50:                               ;   in Loop: Header=BB35_33 Depth=1
	v_cmp_lt_u32_e32 vcc_lo, 0x3bffffff, v9
	s_mov_b32 s5, 0
                                        ; implicit-def: $vgpr9
	s_and_saveexec_b32 s0, vcc_lo
	s_delay_alu instid0(SALU_CYCLE_1)
	s_xor_b32 s0, exec_lo, s0
; %bb.51:                               ;   in Loop: Header=BB35_33 Depth=1
	v_bfe_u32 v9, v0, 20, 1
	s_mov_b32 s5, exec_lo
	s_delay_alu instid0(VALU_DEP_1) | instskip(NEXT) | instid1(VALU_DEP_1)
	v_add3_u32 v9, v0, v9, 0x487ffff
	v_lshrrev_b32_e32 v9, 20, v9
; %bb.52:                               ;   in Loop: Header=BB35_33 Depth=1
	s_or_saveexec_b32 s12, s0
                                        ; implicit-def: $sgpr0_sgpr1
	s_delay_alu instid0(SALU_CYCLE_1)
	s_xor_b32 exec_lo, exec_lo, s12
; %bb.53:                               ;   in Loop: Header=BB35_33 Depth=1
	v_add_f32_e64 v9, 0x46000000, |v0|
	s_and_not1_b32 s5, s5, exec_lo
	s_mov_b64 s[0:1], 0
	s_delay_alu instid0(VALU_DEP_1) | instskip(NEXT) | instid1(VALU_DEP_1)
	v_and_b32_e32 v9, 0xff, v9
	v_cmp_ne_u32_e32 vcc_lo, 0, v9
	s_and_b32 s13, vcc_lo, exec_lo
	s_delay_alu instid0(SALU_CYCLE_1)
	s_or_b32 s5, s5, s13
; %bb.54:                               ;   in Loop: Header=BB35_33 Depth=1
	s_or_b32 exec_lo, exec_lo, s12
	v_dual_mov_b32 v14, s1 :: v_dual_mov_b32 v13, s0
	s_and_saveexec_b32 s0, s5
; %bb.55:                               ;   in Loop: Header=BB35_33 Depth=1
	v_lshrrev_b32_e32 v0, 24, v0
	s_delay_alu instid0(VALU_DEP_1)
	v_and_or_b32 v13, 0x80, v0, v9
; %bb.56:                               ;   in Loop: Header=BB35_33 Depth=1
	s_or_b32 exec_lo, exec_lo, s0
.LBB35_57:                              ;   in Loop: Header=BB35_33 Depth=1
	s_delay_alu instid0(SALU_CYCLE_1) | instskip(SKIP_2) | instid1(VALU_DEP_1)
	s_or_b32 exec_lo, exec_lo, s4
	v_and_b32_e32 v0, 0xffff0000, v1
	s_mov_b32 s4, exec_lo
	v_div_scale_f32 v1, null, v18, v18, v0
	s_delay_alu instid0(VALU_DEP_1) | instskip(SKIP_2) | instid1(VALU_DEP_1)
	v_rcp_f32_e32 v9, v1
	s_waitcnt_depctr 0xfff
	v_fma_f32 v12, -v1, v9, 1.0
	v_fmac_f32_e32 v9, v12, v9
	v_div_scale_f32 v12, vcc_lo, v0, v18, v0
	s_delay_alu instid0(VALU_DEP_1) | instskip(NEXT) | instid1(VALU_DEP_1)
	v_mul_f32_e32 v14, v12, v9
	v_fma_f32 v15, -v1, v14, v12
	s_delay_alu instid0(VALU_DEP_1) | instskip(NEXT) | instid1(VALU_DEP_1)
	v_fmac_f32_e32 v14, v15, v9
	v_fma_f32 v1, -v1, v14, v12
	s_delay_alu instid0(VALU_DEP_1) | instskip(NEXT) | instid1(VALU_DEP_1)
	v_div_fmas_f32 v1, v1, v9, v14
	v_div_fixup_f32 v0, v1, v18, v0
	s_delay_alu instid0(VALU_DEP_1) | instskip(NEXT) | instid1(VALU_DEP_1)
	v_maxmin_f32 v0, v0, v28, v29
	v_and_b32_e32 v1, 0x7fffffff, v0
	s_delay_alu instid0(VALU_DEP_1)
	v_cmpx_gt_u32_e32 0x43800000, v1
	s_cbranch_execz .LBB35_65
; %bb.58:                               ;   in Loop: Header=BB35_33 Depth=1
	v_cmp_lt_u32_e32 vcc_lo, 0x3bffffff, v1
	s_mov_b32 s5, 0
                                        ; implicit-def: $vgpr1
	s_and_saveexec_b32 s0, vcc_lo
	s_delay_alu instid0(SALU_CYCLE_1)
	s_xor_b32 s0, exec_lo, s0
; %bb.59:                               ;   in Loop: Header=BB35_33 Depth=1
	v_bfe_u32 v1, v0, 20, 1
	s_mov_b32 s5, exec_lo
	s_delay_alu instid0(VALU_DEP_1) | instskip(NEXT) | instid1(VALU_DEP_1)
	v_add3_u32 v1, v0, v1, 0x487ffff
	v_lshrrev_b32_e32 v1, 20, v1
; %bb.60:                               ;   in Loop: Header=BB35_33 Depth=1
	s_or_saveexec_b32 s12, s0
                                        ; implicit-def: $sgpr0_sgpr1
	s_delay_alu instid0(SALU_CYCLE_1)
	s_xor_b32 exec_lo, exec_lo, s12
; %bb.61:                               ;   in Loop: Header=BB35_33 Depth=1
	v_add_f32_e64 v1, 0x46000000, |v0|
	s_and_not1_b32 s5, s5, exec_lo
	s_mov_b64 s[0:1], 0
	s_delay_alu instid0(VALU_DEP_1) | instskip(NEXT) | instid1(VALU_DEP_1)
	v_and_b32_e32 v1, 0xff, v1
	v_cmp_ne_u32_e32 vcc_lo, 0, v1
	s_and_b32 s13, vcc_lo, exec_lo
	s_delay_alu instid0(SALU_CYCLE_1)
	s_or_b32 s5, s5, s13
; %bb.62:                               ;   in Loop: Header=BB35_33 Depth=1
	s_or_b32 exec_lo, exec_lo, s12
	v_dual_mov_b32 v12, s1 :: v_dual_mov_b32 v11, s0
	s_and_saveexec_b32 s0, s5
; %bb.63:                               ;   in Loop: Header=BB35_33 Depth=1
	v_lshrrev_b32_e32 v0, 24, v0
	s_delay_alu instid0(VALU_DEP_1)
	v_and_or_b32 v11, 0x80, v0, v1
; %bb.64:                               ;   in Loop: Header=BB35_33 Depth=1
	s_or_b32 exec_lo, exec_lo, s0
.LBB35_65:                              ;   in Loop: Header=BB35_33 Depth=1
	s_delay_alu instid0(SALU_CYCLE_1) | instskip(SKIP_2) | instid1(VALU_DEP_1)
	s_or_b32 exec_lo, exec_lo, s4
	v_lshlrev_b32_e32 v0, 16, v2
	s_mov_b32 s4, exec_lo
	v_div_scale_f32 v1, null, v18, v18, v0
	s_delay_alu instid0(VALU_DEP_1) | instskip(SKIP_2) | instid1(VALU_DEP_1)
	v_rcp_f32_e32 v9, v1
	s_waitcnt_depctr 0xfff
	v_fma_f32 v12, -v1, v9, 1.0
	v_fmac_f32_e32 v9, v12, v9
	v_div_scale_f32 v14, vcc_lo, v0, v18, v0
	s_delay_alu instid0(VALU_DEP_1) | instskip(NEXT) | instid1(VALU_DEP_1)
	v_mul_f32_e32 v12, v14, v9
	v_fma_f32 v15, -v1, v12, v14
	s_delay_alu instid0(VALU_DEP_1) | instskip(NEXT) | instid1(VALU_DEP_1)
	v_fmac_f32_e32 v12, v15, v9
	v_fma_f32 v1, -v1, v12, v14
	v_mov_b32_e32 v14, 0x80
	v_mov_b32_e32 v15, 0
	s_delay_alu instid0(VALU_DEP_3) | instskip(NEXT) | instid1(VALU_DEP_1)
	v_div_fmas_f32 v1, v1, v9, v12
	v_div_fixup_f32 v0, v1, v18, v0
	s_delay_alu instid0(VALU_DEP_1) | instskip(NEXT) | instid1(VALU_DEP_4)
	v_maxmin_f32 v9, v0, v28, v29
	v_dual_mov_b32 v0, v14 :: v_dual_mov_b32 v1, v15
	s_delay_alu instid0(VALU_DEP_2) | instskip(NEXT) | instid1(VALU_DEP_1)
	v_and_b32_e32 v12, 0x7fffffff, v9
	v_cmpx_gt_u32_e32 0x43800000, v12
	s_cbranch_execz .LBB35_73
; %bb.66:                               ;   in Loop: Header=BB35_33 Depth=1
	v_cmp_lt_u32_e32 vcc_lo, 0x3bffffff, v12
	s_mov_b32 s5, 0
                                        ; implicit-def: $vgpr12
	s_and_saveexec_b32 s0, vcc_lo
	s_delay_alu instid0(SALU_CYCLE_1)
	s_xor_b32 s0, exec_lo, s0
; %bb.67:                               ;   in Loop: Header=BB35_33 Depth=1
	v_bfe_u32 v0, v9, 20, 1
	s_mov_b32 s5, exec_lo
	s_delay_alu instid0(VALU_DEP_1) | instskip(NEXT) | instid1(VALU_DEP_1)
	v_add3_u32 v0, v9, v0, 0x487ffff
	v_lshrrev_b32_e32 v12, 20, v0
; %bb.68:                               ;   in Loop: Header=BB35_33 Depth=1
	s_or_saveexec_b32 s12, s0
                                        ; implicit-def: $sgpr0_sgpr1
	s_delay_alu instid0(SALU_CYCLE_1)
	s_xor_b32 exec_lo, exec_lo, s12
; %bb.69:                               ;   in Loop: Header=BB35_33 Depth=1
	v_add_f32_e64 v0, 0x46000000, |v9|
	s_and_not1_b32 s5, s5, exec_lo
	s_mov_b64 s[0:1], 0
	s_delay_alu instid0(VALU_DEP_1) | instskip(NEXT) | instid1(VALU_DEP_1)
	v_and_b32_e32 v12, 0xff, v0
	v_cmp_ne_u32_e32 vcc_lo, 0, v12
	s_and_b32 s13, vcc_lo, exec_lo
	s_delay_alu instid0(SALU_CYCLE_1)
	s_or_b32 s5, s5, s13
; %bb.70:                               ;   in Loop: Header=BB35_33 Depth=1
	s_or_b32 exec_lo, exec_lo, s12
	v_dual_mov_b32 v0, s0 :: v_dual_mov_b32 v1, s1
	s_and_saveexec_b32 s0, s5
; %bb.71:                               ;   in Loop: Header=BB35_33 Depth=1
	v_lshrrev_b32_e32 v0, 24, v9
	s_delay_alu instid0(VALU_DEP_1)
	v_and_or_b32 v0, 0x80, v0, v12
; %bb.72:                               ;   in Loop: Header=BB35_33 Depth=1
	s_or_b32 exec_lo, exec_lo, s0
.LBB35_73:                              ;   in Loop: Header=BB35_33 Depth=1
	s_delay_alu instid0(SALU_CYCLE_1) | instskip(SKIP_2) | instid1(VALU_DEP_1)
	s_or_b32 exec_lo, exec_lo, s4
	v_and_b32_e32 v1, 0xffff0000, v2
	s_mov_b32 s4, exec_lo
	v_div_scale_f32 v2, null, v18, v18, v1
	s_delay_alu instid0(VALU_DEP_1) | instskip(SKIP_2) | instid1(VALU_DEP_1)
	v_rcp_f32_e32 v9, v2
	s_waitcnt_depctr 0xfff
	v_fma_f32 v12, -v2, v9, 1.0
	v_fmac_f32_e32 v9, v12, v9
	v_div_scale_f32 v12, vcc_lo, v1, v18, v1
	s_delay_alu instid0(VALU_DEP_1) | instskip(NEXT) | instid1(VALU_DEP_1)
	v_mul_f32_e32 v15, v12, v9
	v_fma_f32 v16, -v2, v15, v12
	s_delay_alu instid0(VALU_DEP_1) | instskip(NEXT) | instid1(VALU_DEP_1)
	v_fmac_f32_e32 v15, v16, v9
	v_fma_f32 v2, -v2, v15, v12
	s_delay_alu instid0(VALU_DEP_1) | instskip(NEXT) | instid1(VALU_DEP_1)
	v_div_fmas_f32 v2, v2, v9, v15
	v_div_fixup_f32 v1, v2, v18, v1
	s_delay_alu instid0(VALU_DEP_1) | instskip(NEXT) | instid1(VALU_DEP_1)
	v_maxmin_f32 v1, v1, v28, v29
	v_and_b32_e32 v2, 0x7fffffff, v1
	s_delay_alu instid0(VALU_DEP_1)
	v_cmpx_gt_u32_e32 0x43800000, v2
	s_cbranch_execz .LBB35_81
; %bb.74:                               ;   in Loop: Header=BB35_33 Depth=1
	v_cmp_lt_u32_e32 vcc_lo, 0x3bffffff, v2
	s_mov_b32 s5, 0
                                        ; implicit-def: $vgpr2
	s_and_saveexec_b32 s0, vcc_lo
	s_delay_alu instid0(SALU_CYCLE_1)
	s_xor_b32 s0, exec_lo, s0
; %bb.75:                               ;   in Loop: Header=BB35_33 Depth=1
	v_bfe_u32 v2, v1, 20, 1
	s_mov_b32 s5, exec_lo
	s_delay_alu instid0(VALU_DEP_1) | instskip(NEXT) | instid1(VALU_DEP_1)
	v_add3_u32 v2, v1, v2, 0x487ffff
	v_lshrrev_b32_e32 v2, 20, v2
; %bb.76:                               ;   in Loop: Header=BB35_33 Depth=1
	s_or_saveexec_b32 s12, s0
                                        ; implicit-def: $sgpr0_sgpr1
	s_delay_alu instid0(SALU_CYCLE_1)
	s_xor_b32 exec_lo, exec_lo, s12
; %bb.77:                               ;   in Loop: Header=BB35_33 Depth=1
	v_add_f32_e64 v2, 0x46000000, |v1|
	s_and_not1_b32 s5, s5, exec_lo
	s_mov_b64 s[0:1], 0
	s_delay_alu instid0(VALU_DEP_1) | instskip(NEXT) | instid1(VALU_DEP_1)
	v_and_b32_e32 v2, 0xff, v2
	v_cmp_ne_u32_e32 vcc_lo, 0, v2
	s_and_b32 s13, vcc_lo, exec_lo
	s_delay_alu instid0(SALU_CYCLE_1)
	s_or_b32 s5, s5, s13
; %bb.78:                               ;   in Loop: Header=BB35_33 Depth=1
	s_or_b32 exec_lo, exec_lo, s12
	v_dual_mov_b32 v15, s1 :: v_dual_mov_b32 v14, s0
	s_and_saveexec_b32 s0, s5
; %bb.79:                               ;   in Loop: Header=BB35_33 Depth=1
	v_lshrrev_b32_e32 v1, 24, v1
	s_delay_alu instid0(VALU_DEP_1)
	v_and_or_b32 v14, 0x80, v1, v2
; %bb.80:                               ;   in Loop: Header=BB35_33 Depth=1
	s_or_b32 exec_lo, exec_lo, s0
.LBB35_81:                              ;   in Loop: Header=BB35_33 Depth=1
	s_delay_alu instid0(SALU_CYCLE_1) | instskip(SKIP_2) | instid1(VALU_DEP_1)
	s_or_b32 exec_lo, exec_lo, s4
	v_lshlrev_b32_e32 v1, 16, v3
	s_mov_b32 s4, exec_lo
	v_div_scale_f32 v2, null, v18, v18, v1
	v_div_scale_f32 v15, vcc_lo, v1, v18, v1
	s_delay_alu instid0(VALU_DEP_2) | instskip(SKIP_2) | instid1(VALU_DEP_1)
	v_rcp_f32_e32 v9, v2
	s_waitcnt_depctr 0xfff
	v_fma_f32 v12, -v2, v9, 1.0
	v_fmac_f32_e32 v9, v12, v9
	s_delay_alu instid0(VALU_DEP_1) | instskip(NEXT) | instid1(VALU_DEP_1)
	v_mul_f32_e32 v12, v15, v9
	v_fma_f32 v16, -v2, v12, v15
	s_delay_alu instid0(VALU_DEP_1) | instskip(NEXT) | instid1(VALU_DEP_1)
	v_fmac_f32_e32 v12, v16, v9
	v_fma_f32 v2, -v2, v12, v15
	s_delay_alu instid0(VALU_DEP_1) | instskip(NEXT) | instid1(VALU_DEP_1)
	v_div_fmas_f32 v2, v2, v9, v12
	v_div_fixup_f32 v1, v2, v18, v1
	s_delay_alu instid0(VALU_DEP_1) | instskip(SKIP_2) | instid1(VALU_DEP_3)
	v_maxmin_f32 v9, v1, v28, v29
	v_mov_b32_e32 v1, 0x80
	v_mov_b32_e32 v2, 0
	v_and_b32_e32 v12, 0x7fffffff, v9
	s_delay_alu instid0(VALU_DEP_2) | instskip(NEXT) | instid1(VALU_DEP_2)
	v_dual_mov_b32 v16, v2 :: v_dual_mov_b32 v15, v1
	v_cmpx_gt_u32_e32 0x43800000, v12
	s_cbranch_execz .LBB35_89
; %bb.82:                               ;   in Loop: Header=BB35_33 Depth=1
	s_mov_b32 s5, 0
	s_mov_b32 s0, exec_lo
                                        ; implicit-def: $vgpr2
	v_cmpx_lt_u32_e32 0x3bffffff, v12
	s_xor_b32 s0, exec_lo, s0
; %bb.83:                               ;   in Loop: Header=BB35_33 Depth=1
	v_bfe_u32 v2, v9, 20, 1
	s_mov_b32 s5, exec_lo
	s_delay_alu instid0(VALU_DEP_1) | instskip(NEXT) | instid1(VALU_DEP_1)
	v_add3_u32 v2, v9, v2, 0x487ffff
	v_lshrrev_b32_e32 v2, 20, v2
; %bb.84:                               ;   in Loop: Header=BB35_33 Depth=1
	s_or_saveexec_b32 s12, s0
                                        ; implicit-def: $sgpr0_sgpr1
	s_delay_alu instid0(SALU_CYCLE_1)
	s_xor_b32 exec_lo, exec_lo, s12
; %bb.85:                               ;   in Loop: Header=BB35_33 Depth=1
	v_add_f32_e64 v2, 0x46000000, |v9|
	s_and_not1_b32 s5, s5, exec_lo
	s_mov_b64 s[0:1], 0
	s_delay_alu instid0(VALU_DEP_1) | instskip(NEXT) | instid1(VALU_DEP_1)
	v_and_b32_e32 v2, 0xff, v2
	v_cmp_ne_u32_e32 vcc_lo, 0, v2
	s_and_b32 s13, vcc_lo, exec_lo
	s_delay_alu instid0(SALU_CYCLE_1)
	s_or_b32 s5, s5, s13
; %bb.86:                               ;   in Loop: Header=BB35_33 Depth=1
	s_or_b32 exec_lo, exec_lo, s12
	v_dual_mov_b32 v16, s1 :: v_dual_mov_b32 v15, s0
	s_and_saveexec_b32 s0, s5
; %bb.87:                               ;   in Loop: Header=BB35_33 Depth=1
	v_lshrrev_b32_e32 v9, 24, v9
	s_delay_alu instid0(VALU_DEP_1)
	v_and_or_b32 v15, 0x80, v9, v2
; %bb.88:                               ;   in Loop: Header=BB35_33 Depth=1
	s_or_b32 exec_lo, exec_lo, s0
.LBB35_89:                              ;   in Loop: Header=BB35_33 Depth=1
	s_delay_alu instid0(SALU_CYCLE_1) | instskip(SKIP_2) | instid1(VALU_DEP_1)
	s_or_b32 exec_lo, exec_lo, s4
	v_and_b32_e32 v2, 0xffff0000, v3
	s_mov_b32 s4, exec_lo
	v_div_scale_f32 v3, null, v18, v18, v2
	s_delay_alu instid0(VALU_DEP_1) | instskip(SKIP_2) | instid1(VALU_DEP_1)
	v_rcp_f32_e32 v9, v3
	s_waitcnt_depctr 0xfff
	v_fma_f32 v12, -v3, v9, 1.0
	v_fmac_f32_e32 v9, v12, v9
	v_div_scale_f32 v12, vcc_lo, v2, v18, v2
	s_delay_alu instid0(VALU_DEP_1) | instskip(NEXT) | instid1(VALU_DEP_1)
	v_mul_f32_e32 v16, v12, v9
	v_fma_f32 v31, -v3, v16, v12
	s_delay_alu instid0(VALU_DEP_1) | instskip(NEXT) | instid1(VALU_DEP_1)
	v_fmac_f32_e32 v16, v31, v9
	v_fma_f32 v3, -v3, v16, v12
	s_delay_alu instid0(VALU_DEP_1) | instskip(NEXT) | instid1(VALU_DEP_1)
	v_div_fmas_f32 v3, v3, v9, v16
	v_div_fixup_f32 v2, v3, v18, v2
	s_delay_alu instid0(VALU_DEP_1) | instskip(NEXT) | instid1(VALU_DEP_1)
	v_maxmin_f32 v3, v2, v28, v29
	v_and_b32_e32 v2, 0x7fffffff, v3
	s_delay_alu instid0(VALU_DEP_1)
	v_cmpx_gt_u32_e32 0x43800000, v2
	s_cbranch_execz .LBB35_32
; %bb.90:                               ;   in Loop: Header=BB35_33 Depth=1
	s_mov_b32 s5, 0
	s_mov_b32 s0, exec_lo
                                        ; implicit-def: $vgpr9
	v_cmpx_lt_u32_e32 0x3bffffff, v2
	s_xor_b32 s0, exec_lo, s0
; %bb.91:                               ;   in Loop: Header=BB35_33 Depth=1
	v_bfe_u32 v1, v3, 20, 1
	s_mov_b32 s5, exec_lo
	s_delay_alu instid0(VALU_DEP_1) | instskip(NEXT) | instid1(VALU_DEP_1)
	v_add3_u32 v1, v3, v1, 0x487ffff
	v_lshrrev_b32_e32 v9, 20, v1
; %bb.92:                               ;   in Loop: Header=BB35_33 Depth=1
	s_or_saveexec_b32 s12, s0
                                        ; implicit-def: $sgpr0_sgpr1
	s_delay_alu instid0(SALU_CYCLE_1)
	s_xor_b32 exec_lo, exec_lo, s12
; %bb.93:                               ;   in Loop: Header=BB35_33 Depth=1
	v_add_f32_e64 v1, 0x46000000, |v3|
	s_and_not1_b32 s5, s5, exec_lo
	s_mov_b64 s[0:1], 0
	s_delay_alu instid0(VALU_DEP_1) | instskip(NEXT) | instid1(VALU_DEP_1)
	v_and_b32_e32 v9, 0xff, v1
	v_cmp_ne_u32_e32 vcc_lo, 0, v9
	s_and_b32 s13, vcc_lo, exec_lo
	s_delay_alu instid0(SALU_CYCLE_1)
	s_or_b32 s5, s5, s13
; %bb.94:                               ;   in Loop: Header=BB35_33 Depth=1
	s_or_b32 exec_lo, exec_lo, s12
	v_dual_mov_b32 v2, s1 :: v_dual_mov_b32 v1, s0
	s_and_saveexec_b32 s0, s5
	s_cbranch_execz .LBB35_31
; %bb.95:                               ;   in Loop: Header=BB35_33 Depth=1
	v_lshrrev_b32_e32 v1, 24, v3
	s_delay_alu instid0(VALU_DEP_1)
	v_and_or_b32 v1, 0x80, v1, v9
	s_branch .LBB35_31
.LBB35_96:
	s_or_b32 exec_lo, exec_lo, s2
	v_lshlrev_b32_e32 v2, 3, v26
	s_mov_b32 s12, exec_lo
	s_delay_alu instid0(VALU_DEP_1) | instskip(NEXT) | instid1(VALU_DEP_1)
	v_add_nc_u32_e32 v0, v2, v17
	v_cmpx_lt_i32_e64 v0, v20
	s_cbranch_execz .LBB35_114
; %bb.97:
	v_add_nc_u32_e32 v1, 16, v0
	s_mov_b32 s0, 0
	s_mov_b32 s1, exec_lo
	s_delay_alu instid0(VALU_DEP_1) | instskip(NEXT) | instid1(VALU_DEP_1)
	v_max_i32_e32 v3, v1, v20
	v_xad_u32 v3, v17, -1, v3
	s_delay_alu instid0(VALU_DEP_1) | instskip(NEXT) | instid1(VALU_DEP_1)
	v_sub_nc_u32_e32 v2, v3, v2
                                        ; implicit-def: $vgpr3
	v_cmpx_lt_u32_e32 15, v2
	s_xor_b32 s13, exec_lo, s1
	s_cbranch_execnz .LBB35_100
; %bb.98:
	s_and_not1_saveexec_b32 s1, s13
	s_cbranch_execnz .LBB35_103
.LBB35_99:
	s_or_b32 exec_lo, exec_lo, s1
	s_delay_alu instid0(SALU_CYCLE_1)
	s_and_b32 exec_lo, exec_lo, s0
	s_cbranch_execnz .LBB35_104
	s_branch .LBB35_114
.LBB35_100:
	v_lshrrev_b32_e32 v2, 4, v2
	v_dual_mov_b32 v10, v18 :: v_dual_lshlrev_b32 v3, 1, v19
	v_lshlrev_b32_e32 v23, 1, v21
	v_add_co_u32 v8, vcc_lo, v24, v21
	s_delay_alu instid0(VALU_DEP_4)
	v_add_nc_u32_e32 v6, 1, v2
	s_mov_b32 s0, s6
	s_mov_b32 s1, s6
	;; [unrolled: 1-line block ×4, first 2 shown]
	v_and_b32_e32 v7, 0x1ffffffe, v6
	v_lshlrev_b32_e32 v11, 4, v26
	v_add_co_ci_u32_e32 v9, vcc_lo, v25, v22, vcc_lo
	v_max_f32_e64 v12, s0, s0
	s_delay_alu instid0(VALU_DEP_4) | instskip(NEXT) | instid1(VALU_DEP_4)
	v_mov_b32_e32 v16, v7
	v_add3_u32 v2, v3, v11, v23
	v_lshlrev_b32_e32 v11, 1, v17
	v_max_f32_e64 v13, s1, s1
	v_max_f32_e64 v14, s3, s3
	;; [unrolled: 1-line block ×3, first 2 shown]
	s_mov_b32 s14, 0
	v_add3_u32 v11, v2, v11, 0
	v_mov_b32_e32 v2, v1
	v_mov_b32_e32 v1, v0
.LBB35_101:                             ; =>This Inner Loop Header: Depth=1
	ds_load_u16 v17, v11
	ds_load_u16 v19, v11 offset:32
	v_ashrrev_i32_e32 v25, 31, v1
	v_add_co_u32 v24, vcc_lo, v8, v1
	v_ashrrev_i32_e32 v27, 31, v2
	v_dual_mov_b32 v26, v2 :: v_dual_add_nc_u32 v1, 32, v1
	s_delay_alu instid0(VALU_DEP_4) | instskip(SKIP_1) | instid1(VALU_DEP_3)
	v_add_co_ci_u32_e32 v25, vcc_lo, v9, v25, vcc_lo
	v_add_nc_u32_e32 v11, 64, v11
	v_add_co_u32 v26, s0, v8, v26
	s_delay_alu instid0(VALU_DEP_1) | instskip(SKIP_2) | instid1(VALU_DEP_1)
	v_add_co_ci_u32_e64 v27, s0, v9, v27, s0
	s_waitcnt lgkmcnt(0)
	v_lshlrev_b32_e32 v19, 16, v19
	v_div_scale_f32 v29, null, v10, v10, v19
	v_div_scale_f32 v33, s1, v19, v10, v19
	s_delay_alu instid0(VALU_DEP_2) | instskip(SKIP_2) | instid1(VALU_DEP_1)
	v_rcp_f32_e32 v32, v29
	s_waitcnt_depctr 0xfff
	v_fma_f32 v35, -v29, v32, 1.0
	v_dual_fmac_f32 v32, v35, v32 :: v_dual_lshlrev_b32 v17, 16, v17
	s_delay_alu instid0(VALU_DEP_1) | instskip(SKIP_1) | instid1(VALU_DEP_3)
	v_div_scale_f32 v28, null, v18, v18, v17
	v_div_scale_f32 v30, vcc_lo, v17, v18, v17
	v_mul_f32_e32 v35, v33, v32
	s_delay_alu instid0(VALU_DEP_3) | instskip(NEXT) | instid1(VALU_DEP_1)
	v_rcp_f32_e32 v31, v28
	v_fma_f32 v37, -v29, v35, v33
	s_delay_alu instid0(VALU_DEP_1) | instskip(SKIP_4) | instid1(VALU_DEP_3)
	v_fmac_f32_e32 v35, v37, v32
	s_waitcnt_depctr 0xfff
	v_fma_f32 v34, -v28, v31, 1.0
	v_add_nc_u32_e32 v2, 32, v2
	v_fma_f32 v29, -v29, v35, v33
	v_fmac_f32_e32 v31, v34, v31
	s_delay_alu instid0(VALU_DEP_1) | instskip(NEXT) | instid1(VALU_DEP_1)
	v_mul_f32_e32 v34, v30, v31
	v_fma_f32 v36, -v28, v34, v30
	s_delay_alu instid0(VALU_DEP_1) | instskip(NEXT) | instid1(VALU_DEP_1)
	v_fmac_f32_e32 v34, v36, v31
	v_fma_f32 v28, -v28, v34, v30
	s_delay_alu instid0(VALU_DEP_1) | instskip(SKIP_2) | instid1(VALU_DEP_2)
	v_div_fmas_f32 v28, v28, v31, v34
	s_mov_b32 vcc_lo, s1
	v_div_fmas_f32 v29, v29, v32, v35
	v_div_fixup_f32 v17, v28, v18, v17
	s_delay_alu instid0(VALU_DEP_2) | instskip(NEXT) | instid1(VALU_DEP_2)
	v_div_fixup_f32 v19, v29, v10, v19
	v_maxmin_f32 v17, v17, v12, v15
	s_delay_alu instid0(VALU_DEP_2) | instskip(NEXT) | instid1(VALU_DEP_2)
	v_maxmin_f32 v19, v19, v13, v14
	v_bfe_u32 v29, v17, 20, 1
	v_and_b32_e32 v28, 0x7fffffff, v17
	v_add_f32_e64 v30, 0x46000000, |v17|
	s_delay_alu instid0(VALU_DEP_4)
	v_bfe_u32 v33, v19, 20, 1
	v_and_b32_e32 v32, 0x7fffffff, v19
	v_lshrrev_b32_e32 v31, 24, v17
	v_add3_u32 v17, v17, v29, 0x487ffff
	v_add_f32_e64 v34, 0x46000000, |v19|
	v_lshrrev_b32_e32 v35, 24, v19
	v_add3_u32 v19, v19, v33, 0x487ffff
	v_cmp_gt_u32_e32 vcc_lo, 0x43800000, v28
	v_cmp_gt_u32_e64 s1, 0x3c000000, v28
	v_cmp_gt_u32_e64 s2, 0x43800000, v32
	;; [unrolled: 1-line block ×3, first 2 shown]
	v_lshrrev_b32_e32 v17, 20, v17
	v_lshrrev_b32_e32 v19, 20, v19
	s_xor_b32 s4, s1, vcc_lo
	v_and_b32_e32 v28, 0xff, v30
	s_xor_b32 s5, s3, s2
	v_cndmask_b32_e64 v17, v30, v17, s4
	v_cndmask_b32_e64 v19, v34, v19, s5
	v_and_b32_e32 v29, 0xff, v34
	v_cmp_eq_u32_e64 s0, 0, v28
	s_delay_alu instid0(VALU_DEP_4) | instskip(NEXT) | instid1(VALU_DEP_4)
	v_and_or_b32 v17, 0x80, v31, v17
	v_and_or_b32 v19, 0x80, v35, v19
	v_add_nc_u32_e32 v16, -2, v16
	v_cmp_eq_u32_e64 s4, 0, v29
	s_and_b32 s0, s1, s0
	v_cndmask_b32_e32 v17, 0xffffff80, v17, vcc_lo
	v_cndmask_b32_e64 v19, 0xffffff80, v19, s2
	v_cmp_eq_u32_e32 vcc_lo, 0, v16
	s_and_b32 s1, s3, s4
	s_delay_alu instid0(VALU_DEP_3) | instskip(NEXT) | instid1(VALU_DEP_3)
	v_cndmask_b32_e64 v17, v17, 0, s0
	v_cndmask_b32_e64 v19, v19, 0, s1
	s_or_b32 s14, vcc_lo, s14
	s_clause 0x1
	global_store_b8 v[24:25], v17, off
	global_store_b8 v[26:27], v19, off
	s_and_not1_b32 exec_lo, exec_lo, s14
	s_cbranch_execnz .LBB35_101
; %bb.102:
	s_or_b32 exec_lo, exec_lo, s14
	v_cmp_ne_u32_e32 vcc_lo, v6, v7
	v_lshl_add_u32 v0, v7, 4, v0
                                        ; implicit-def: $vgpr19
	s_and_b32 s0, vcc_lo, exec_lo
	s_and_not1_saveexec_b32 s1, s13
	s_cbranch_execz .LBB35_99
.LBB35_103:
	v_lshlrev_b32_e32 v3, 1, v19
	s_or_b32 s0, s0, exec_lo
	s_or_b32 exec_lo, exec_lo, s1
	s_delay_alu instid0(SALU_CYCLE_1)
	s_and_b32 exec_lo, exec_lo, s0
	s_cbranch_execz .LBB35_114
.LBB35_104:
	v_add_co_u32 v1, vcc_lo, v21, v4
	v_add_co_ci_u32_e32 v2, vcc_lo, v22, v5, vcc_lo
	v_ashrrev_i32_e32 v4, 31, v0
	s_delay_alu instid0(VALU_DEP_3) | instskip(SKIP_2) | instid1(VALU_DEP_4)
	v_add_co_u32 v1, vcc_lo, v1, v0
	v_lshl_add_u32 v3, v0, 1, v3
	v_max_f32_e64 v5, s7, s7
	v_add_co_ci_u32_e32 v2, vcc_lo, v2, v4, vcc_lo
	s_delay_alu instid0(VALU_DEP_4) | instskip(NEXT) | instid1(VALU_DEP_4)
	v_add_co_u32 v1, vcc_lo, s8, v1
	v_add3_u32 v3, v3, v23, 0
	s_delay_alu instid0(VALU_DEP_3)
	v_add_co_ci_u32_e32 v2, vcc_lo, s9, v2, vcc_lo
	v_max_f32_e64 v4, s6, s6
	s_mov_b32 s1, 0
	s_branch .LBB35_107
.LBB35_105:                             ;   in Loop: Header=BB35_107 Depth=1
	s_or_b32 exec_lo, exec_lo, s3
.LBB35_106:                             ;   in Loop: Header=BB35_107 Depth=1
	s_delay_alu instid0(SALU_CYCLE_1)
	s_or_b32 exec_lo, exec_lo, s0
	v_add_nc_u32_e32 v0, 16, v0
	global_store_b8 v[1:2], v8, off
	v_add_co_u32 v1, s0, v1, 16
	v_add_nc_u32_e32 v3, 32, v3
	v_cmp_ge_i32_e32 vcc_lo, v0, v20
	v_add_co_ci_u32_e64 v2, s0, 0, v2, s0
	s_or_b32 s1, vcc_lo, s1
	s_delay_alu instid0(SALU_CYCLE_1)
	s_and_not1_b32 exec_lo, exec_lo, s1
	s_cbranch_execz .LBB35_114
.LBB35_107:                             ; =>This Inner Loop Header: Depth=1
	ds_load_u16 v6, v3
	s_mov_b32 s0, exec_lo
	s_waitcnt lgkmcnt(0)
	v_lshlrev_b32_e32 v6, 16, v6
	s_delay_alu instid0(VALU_DEP_1) | instskip(SKIP_1) | instid1(VALU_DEP_2)
	v_div_scale_f32 v7, null, v18, v18, v6
	v_div_scale_f32 v10, vcc_lo, v6, v18, v6
	v_rcp_f32_e32 v8, v7
	s_waitcnt_depctr 0xfff
	v_fma_f32 v9, -v7, v8, 1.0
	s_delay_alu instid0(VALU_DEP_1) | instskip(NEXT) | instid1(VALU_DEP_1)
	v_fmac_f32_e32 v8, v9, v8
	v_mul_f32_e32 v9, v10, v8
	s_delay_alu instid0(VALU_DEP_1) | instskip(NEXT) | instid1(VALU_DEP_1)
	v_fma_f32 v11, -v7, v9, v10
	v_fmac_f32_e32 v9, v11, v8
	s_delay_alu instid0(VALU_DEP_1) | instskip(NEXT) | instid1(VALU_DEP_1)
	v_fma_f32 v7, -v7, v9, v10
	v_div_fmas_f32 v7, v7, v8, v9
	v_mov_b32_e32 v8, 0x80
	s_delay_alu instid0(VALU_DEP_2) | instskip(NEXT) | instid1(VALU_DEP_1)
	v_div_fixup_f32 v6, v7, v18, v6
	v_maxmin_f32 v6, v6, v4, v5
	s_delay_alu instid0(VALU_DEP_1) | instskip(NEXT) | instid1(VALU_DEP_1)
	v_and_b32_e32 v7, 0x7fffffff, v6
	v_cmpx_gt_u32_e32 0x43800000, v7
	s_cbranch_execz .LBB35_106
; %bb.108:                              ;   in Loop: Header=BB35_107 Depth=1
	v_cmp_lt_u32_e32 vcc_lo, 0x3bffffff, v7
	s_mov_b32 s2, 0
                                        ; implicit-def: $vgpr7
	s_and_saveexec_b32 s3, vcc_lo
	s_delay_alu instid0(SALU_CYCLE_1)
	s_xor_b32 s3, exec_lo, s3
	s_cbranch_execnz .LBB35_111
; %bb.109:                              ;   in Loop: Header=BB35_107 Depth=1
	s_or_saveexec_b32 s3, s3
                                        ; implicit-def: $sgpr4
	s_delay_alu instid0(SALU_CYCLE_1)
	s_xor_b32 exec_lo, exec_lo, s3
	s_cbranch_execnz .LBB35_112
.LBB35_110:                             ;   in Loop: Header=BB35_107 Depth=1
	s_or_b32 exec_lo, exec_lo, s3
	v_mov_b32_e32 v8, s4
	s_and_saveexec_b32 s3, s2
	s_cbranch_execz .LBB35_105
	s_branch .LBB35_113
.LBB35_111:                             ;   in Loop: Header=BB35_107 Depth=1
	v_bfe_u32 v7, v6, 20, 1
	s_mov_b32 s2, exec_lo
	s_delay_alu instid0(VALU_DEP_1) | instskip(NEXT) | instid1(VALU_DEP_1)
	v_add3_u32 v7, v6, v7, 0x487ffff
	v_lshrrev_b32_e32 v7, 20, v7
	s_or_saveexec_b32 s3, s3
                                        ; implicit-def: $sgpr4
	s_delay_alu instid0(SALU_CYCLE_1)
	s_xor_b32 exec_lo, exec_lo, s3
	s_cbranch_execz .LBB35_110
.LBB35_112:                             ;   in Loop: Header=BB35_107 Depth=1
	v_add_f32_e64 v7, 0x46000000, |v6|
	s_and_not1_b32 s2, s2, exec_lo
	s_mov_b32 s4, 0
	s_delay_alu instid0(VALU_DEP_1) | instskip(NEXT) | instid1(VALU_DEP_1)
	v_and_b32_e32 v7, 0xff, v7
	v_cmp_ne_u32_e32 vcc_lo, 0, v7
	s_and_b32 s5, vcc_lo, exec_lo
	s_delay_alu instid0(SALU_CYCLE_1)
	s_or_b32 s2, s2, s5
	s_or_b32 exec_lo, exec_lo, s3
	v_mov_b32_e32 v8, s4
	s_and_saveexec_b32 s3, s2
	s_cbranch_execz .LBB35_105
.LBB35_113:                             ;   in Loop: Header=BB35_107 Depth=1
	v_lshrrev_b32_e32 v6, 24, v6
	s_delay_alu instid0(VALU_DEP_1)
	v_and_or_b32 v8, 0x80, v6, v7
	s_branch .LBB35_105
.LBB35_114:
	s_or_b32 exec_lo, exec_lo, s12
                                        ; implicit-def: $vgpr17
                                        ; implicit-def: $vgpr18
                                        ; implicit-def: $vgpr19
                                        ; implicit-def: $vgpr4_vgpr5
.LBB35_115:
	s_and_not1_saveexec_b32 s0, s11
	s_cbranch_execz .LBB35_183
; %bb.116:
	s_ashr_i32 s2, s10, 3
	s_mov_b32 s0, exec_lo
	v_cmpx_gt_i32_e64 s2, v17
	s_cbranch_execz .LBB35_183
; %bb.117:
	v_lshlrev_b32_e32 v0, 3, v17
	v_lshlrev_b32_e32 v1, 1, v19
	;; [unrolled: 1-line block ×3, first 2 shown]
	v_max_f32_e64 v16, s6, s6
	v_max_f32_e64 v19, s7, s7
	v_add_co_u32 v0, vcc_lo, v4, v0
	v_add_co_ci_u32_e32 v3, vcc_lo, 0, v5, vcc_lo
	v_add3_u32 v15, v1, v2, 0
	s_delay_alu instid0(VALU_DEP_3) | instskip(NEXT) | instid1(VALU_DEP_3)
	v_add_co_u32 v4, vcc_lo, s8, v0
	v_add_co_ci_u32_e32 v5, vcc_lo, s9, v3, vcc_lo
	s_mov_b32 s3, 0
	s_branch .LBB35_120
.LBB35_118:                             ;   in Loop: Header=BB35_120 Depth=1
	s_or_b32 exec_lo, exec_lo, s0
.LBB35_119:                             ;   in Loop: Header=BB35_120 Depth=1
	s_delay_alu instid0(SALU_CYCLE_1)
	s_or_b32 exec_lo, exec_lo, s4
	v_lshlrev_b32_e32 v2, 16, v13
	v_lshlrev_b32_e32 v3, 16, v11
	v_lshlrev_b32_e32 v1, 24, v1
	v_lshlrev_b32_e32 v7, 8, v12
	v_lshlrev_b32_e32 v6, 8, v6
	v_and_b32_e32 v2, 0xff0000, v2
	v_perm_b32 v3, v9, v3, 0x4020c0c
	v_and_b32_e32 v0, 0xff, v0
	v_and_b32_e32 v8, 0xff, v8
	;; [unrolled: 1-line block ×3, first 2 shown]
	v_or_b32_e32 v1, v1, v2
	v_and_or_b32 v2, 0xff00, v6, v3
	v_add_nc_u32_e32 v17, 16, v17
	v_add_nc_u32_e32 v15, 0x100, v15
	s_delay_alu instid0(VALU_DEP_4) | instskip(NEXT) | instid1(VALU_DEP_4)
	v_or3_b32 v1, v1, v7, v0
	v_or_b32_e32 v0, v2, v8
	s_delay_alu instid0(VALU_DEP_4) | instskip(SKIP_2) | instid1(VALU_DEP_1)
	v_cmp_le_i32_e32 vcc_lo, s2, v17
	global_store_b64 v[4:5], v[0:1], off
	v_add_co_u32 v4, s0, 0x80, v4
	v_add_co_ci_u32_e64 v5, s0, 0, v5, s0
	s_or_b32 s3, vcc_lo, s3
	s_delay_alu instid0(SALU_CYCLE_1)
	s_and_not1_b32 exec_lo, exec_lo, s3
	s_cbranch_execz .LBB35_183
.LBB35_120:                             ; =>This Inner Loop Header: Depth=1
	ds_load_b128 v[0:3], v15
	s_mov_b32 s4, exec_lo
	s_waitcnt lgkmcnt(0)
	v_lshlrev_b32_e32 v6, 16, v0
	s_delay_alu instid0(VALU_DEP_1) | instskip(SKIP_1) | instid1(VALU_DEP_2)
	v_div_scale_f32 v7, null, v18, v18, v6
	v_div_scale_f32 v10, vcc_lo, v6, v18, v6
	v_rcp_f32_e32 v8, v7
	s_waitcnt_depctr 0xfff
	v_fma_f32 v9, -v7, v8, 1.0
	s_delay_alu instid0(VALU_DEP_1) | instskip(NEXT) | instid1(VALU_DEP_1)
	v_fmac_f32_e32 v8, v9, v8
	v_mul_f32_e32 v9, v10, v8
	s_delay_alu instid0(VALU_DEP_1) | instskip(NEXT) | instid1(VALU_DEP_1)
	v_fma_f32 v11, -v7, v9, v10
	v_fmac_f32_e32 v9, v11, v8
	s_delay_alu instid0(VALU_DEP_1) | instskip(NEXT) | instid1(VALU_DEP_1)
	v_fma_f32 v7, -v7, v9, v10
	v_div_fmas_f32 v7, v7, v8, v9
	s_delay_alu instid0(VALU_DEP_1) | instskip(NEXT) | instid1(VALU_DEP_1)
	v_div_fixup_f32 v6, v7, v18, v6
	v_maxmin_f32 v10, v6, v16, v19
	v_mov_b32_e32 v6, 0x80
	v_mov_b32_e32 v7, 0
	s_delay_alu instid0(VALU_DEP_3) | instskip(NEXT) | instid1(VALU_DEP_2)
	v_and_b32_e32 v11, 0x7fffffff, v10
	v_dual_mov_b32 v9, v7 :: v_dual_mov_b32 v8, v6
	s_delay_alu instid0(VALU_DEP_2)
	v_cmpx_gt_u32_e32 0x43800000, v11
	s_cbranch_execz .LBB35_128
; %bb.121:                              ;   in Loop: Header=BB35_120 Depth=1
	s_mov_b32 s5, 0
	s_mov_b32 s0, exec_lo
                                        ; implicit-def: $vgpr7
	v_cmpx_lt_u32_e32 0x3bffffff, v11
	s_xor_b32 s0, exec_lo, s0
; %bb.122:                              ;   in Loop: Header=BB35_120 Depth=1
	v_bfe_u32 v7, v10, 20, 1
	s_mov_b32 s5, exec_lo
	s_delay_alu instid0(VALU_DEP_1) | instskip(NEXT) | instid1(VALU_DEP_1)
	v_add3_u32 v7, v10, v7, 0x487ffff
	v_lshrrev_b32_e32 v7, 20, v7
; %bb.123:                              ;   in Loop: Header=BB35_120 Depth=1
	s_or_saveexec_b32 s6, s0
                                        ; implicit-def: $sgpr0_sgpr1
	s_delay_alu instid0(SALU_CYCLE_1)
	s_xor_b32 exec_lo, exec_lo, s6
; %bb.124:                              ;   in Loop: Header=BB35_120 Depth=1
	v_add_f32_e64 v7, 0x46000000, |v10|
	s_and_not1_b32 s5, s5, exec_lo
	s_mov_b64 s[0:1], 0
	s_delay_alu instid0(VALU_DEP_1) | instskip(NEXT) | instid1(VALU_DEP_1)
	v_and_b32_e32 v7, 0xff, v7
	v_cmp_ne_u32_e32 vcc_lo, 0, v7
	s_and_b32 s7, vcc_lo, exec_lo
	s_delay_alu instid0(SALU_CYCLE_1)
	s_or_b32 s5, s5, s7
; %bb.125:                              ;   in Loop: Header=BB35_120 Depth=1
	s_or_b32 exec_lo, exec_lo, s6
	v_dual_mov_b32 v9, s1 :: v_dual_mov_b32 v8, s0
	s_and_saveexec_b32 s0, s5
; %bb.126:                              ;   in Loop: Header=BB35_120 Depth=1
	v_lshrrev_b32_e32 v8, 24, v10
	s_delay_alu instid0(VALU_DEP_1)
	v_and_or_b32 v8, 0x80, v8, v7
; %bb.127:                              ;   in Loop: Header=BB35_120 Depth=1
	s_or_b32 exec_lo, exec_lo, s0
.LBB35_128:                             ;   in Loop: Header=BB35_120 Depth=1
	s_delay_alu instid0(SALU_CYCLE_1) | instskip(SKIP_2) | instid1(VALU_DEP_1)
	s_or_b32 exec_lo, exec_lo, s4
	v_and_b32_e32 v0, 0xffff0000, v0
	s_mov_b32 s4, exec_lo
	v_div_scale_f32 v7, null, v18, v18, v0
	s_delay_alu instid0(VALU_DEP_1) | instskip(SKIP_2) | instid1(VALU_DEP_1)
	v_rcp_f32_e32 v9, v7
	s_waitcnt_depctr 0xfff
	v_fma_f32 v10, -v7, v9, 1.0
	v_fmac_f32_e32 v9, v10, v9
	v_div_scale_f32 v10, vcc_lo, v0, v18, v0
	s_delay_alu instid0(VALU_DEP_1) | instskip(NEXT) | instid1(VALU_DEP_1)
	v_mul_f32_e32 v11, v10, v9
	v_fma_f32 v12, -v7, v11, v10
	s_delay_alu instid0(VALU_DEP_1) | instskip(NEXT) | instid1(VALU_DEP_1)
	v_fmac_f32_e32 v11, v12, v9
	v_fma_f32 v7, -v7, v11, v10
	s_delay_alu instid0(VALU_DEP_1) | instskip(NEXT) | instid1(VALU_DEP_1)
	v_div_fmas_f32 v7, v7, v9, v11
	v_div_fixup_f32 v0, v7, v18, v0
	s_delay_alu instid0(VALU_DEP_1) | instskip(NEXT) | instid1(VALU_DEP_1)
	v_maxmin_f32 v0, v0, v16, v19
	v_and_b32_e32 v7, 0x7fffffff, v0
	s_delay_alu instid0(VALU_DEP_1)
	v_cmpx_gt_u32_e32 0x43800000, v7
	s_cbranch_execz .LBB35_136
; %bb.129:                              ;   in Loop: Header=BB35_120 Depth=1
	s_mov_b32 s5, 0
	s_mov_b32 s0, exec_lo
                                        ; implicit-def: $vgpr9
	v_cmpx_lt_u32_e32 0x3bffffff, v7
	s_xor_b32 s0, exec_lo, s0
; %bb.130:                              ;   in Loop: Header=BB35_120 Depth=1
	v_bfe_u32 v6, v0, 20, 1
	s_mov_b32 s5, exec_lo
	s_delay_alu instid0(VALU_DEP_1) | instskip(NEXT) | instid1(VALU_DEP_1)
	v_add3_u32 v6, v0, v6, 0x487ffff
	v_lshrrev_b32_e32 v9, 20, v6
; %bb.131:                              ;   in Loop: Header=BB35_120 Depth=1
	s_or_saveexec_b32 s6, s0
                                        ; implicit-def: $sgpr0_sgpr1
	s_delay_alu instid0(SALU_CYCLE_1)
	s_xor_b32 exec_lo, exec_lo, s6
; %bb.132:                              ;   in Loop: Header=BB35_120 Depth=1
	v_add_f32_e64 v6, 0x46000000, |v0|
	s_and_not1_b32 s5, s5, exec_lo
	s_mov_b64 s[0:1], 0
	s_delay_alu instid0(VALU_DEP_1) | instskip(NEXT) | instid1(VALU_DEP_1)
	v_and_b32_e32 v9, 0xff, v6
	v_cmp_ne_u32_e32 vcc_lo, 0, v9
	s_and_b32 s7, vcc_lo, exec_lo
	s_delay_alu instid0(SALU_CYCLE_1)
	s_or_b32 s5, s5, s7
; %bb.133:                              ;   in Loop: Header=BB35_120 Depth=1
	s_or_b32 exec_lo, exec_lo, s6
	v_dual_mov_b32 v7, s1 :: v_dual_mov_b32 v6, s0
	s_and_saveexec_b32 s0, s5
; %bb.134:                              ;   in Loop: Header=BB35_120 Depth=1
	v_lshrrev_b32_e32 v0, 24, v0
	s_delay_alu instid0(VALU_DEP_1)
	v_and_or_b32 v6, 0x80, v0, v9
; %bb.135:                              ;   in Loop: Header=BB35_120 Depth=1
	s_or_b32 exec_lo, exec_lo, s0
.LBB35_136:                             ;   in Loop: Header=BB35_120 Depth=1
	s_delay_alu instid0(SALU_CYCLE_1) | instskip(SKIP_2) | instid1(VALU_DEP_1)
	s_or_b32 exec_lo, exec_lo, s4
	v_lshlrev_b32_e32 v0, 16, v1
	s_mov_b32 s4, exec_lo
	v_div_scale_f32 v7, null, v18, v18, v0
	v_div_scale_f32 v11, vcc_lo, v0, v18, v0
	s_delay_alu instid0(VALU_DEP_2) | instskip(SKIP_2) | instid1(VALU_DEP_1)
	v_rcp_f32_e32 v9, v7
	s_waitcnt_depctr 0xfff
	v_fma_f32 v10, -v7, v9, 1.0
	v_fmac_f32_e32 v9, v10, v9
	s_delay_alu instid0(VALU_DEP_1) | instskip(NEXT) | instid1(VALU_DEP_1)
	v_mul_f32_e32 v10, v11, v9
	v_fma_f32 v12, -v7, v10, v11
	s_delay_alu instid0(VALU_DEP_1) | instskip(NEXT) | instid1(VALU_DEP_1)
	v_fmac_f32_e32 v10, v12, v9
	v_fma_f32 v7, -v7, v10, v11
	s_delay_alu instid0(VALU_DEP_1) | instskip(SKIP_2) | instid1(VALU_DEP_3)
	v_div_fmas_f32 v7, v7, v9, v10
	v_mov_b32_e32 v9, 0x80
	v_mov_b32_e32 v10, 0
	v_div_fixup_f32 v0, v7, v18, v0
	s_delay_alu instid0(VALU_DEP_2) | instskip(NEXT) | instid1(VALU_DEP_2)
	v_dual_mov_b32 v12, v10 :: v_dual_mov_b32 v11, v9
	v_maxmin_f32 v0, v0, v16, v19
	s_delay_alu instid0(VALU_DEP_1) | instskip(NEXT) | instid1(VALU_DEP_1)
	v_and_b32_e32 v7, 0x7fffffff, v0
	v_cmpx_gt_u32_e32 0x43800000, v7
	s_cbranch_execz .LBB35_144
; %bb.137:                              ;   in Loop: Header=BB35_120 Depth=1
	v_cmp_lt_u32_e32 vcc_lo, 0x3bffffff, v7
	s_mov_b32 s5, 0
                                        ; implicit-def: $vgpr7
	s_and_saveexec_b32 s0, vcc_lo
	s_delay_alu instid0(SALU_CYCLE_1)
	s_xor_b32 s0, exec_lo, s0
; %bb.138:                              ;   in Loop: Header=BB35_120 Depth=1
	v_bfe_u32 v7, v0, 20, 1
	s_mov_b32 s5, exec_lo
	s_delay_alu instid0(VALU_DEP_1) | instskip(NEXT) | instid1(VALU_DEP_1)
	v_add3_u32 v7, v0, v7, 0x487ffff
	v_lshrrev_b32_e32 v7, 20, v7
; %bb.139:                              ;   in Loop: Header=BB35_120 Depth=1
	s_or_saveexec_b32 s6, s0
                                        ; implicit-def: $sgpr0_sgpr1
	s_delay_alu instid0(SALU_CYCLE_1)
	s_xor_b32 exec_lo, exec_lo, s6
; %bb.140:                              ;   in Loop: Header=BB35_120 Depth=1
	v_add_f32_e64 v7, 0x46000000, |v0|
	s_and_not1_b32 s5, s5, exec_lo
	s_mov_b64 s[0:1], 0
	s_delay_alu instid0(VALU_DEP_1) | instskip(NEXT) | instid1(VALU_DEP_1)
	v_and_b32_e32 v7, 0xff, v7
	v_cmp_ne_u32_e32 vcc_lo, 0, v7
	s_and_b32 s7, vcc_lo, exec_lo
	s_delay_alu instid0(SALU_CYCLE_1)
	s_or_b32 s5, s5, s7
; %bb.141:                              ;   in Loop: Header=BB35_120 Depth=1
	s_or_b32 exec_lo, exec_lo, s6
	v_dual_mov_b32 v12, s1 :: v_dual_mov_b32 v11, s0
	s_and_saveexec_b32 s0, s5
; %bb.142:                              ;   in Loop: Header=BB35_120 Depth=1
	v_lshrrev_b32_e32 v0, 24, v0
	s_delay_alu instid0(VALU_DEP_1)
	v_and_or_b32 v11, 0x80, v0, v7
; %bb.143:                              ;   in Loop: Header=BB35_120 Depth=1
	s_or_b32 exec_lo, exec_lo, s0
.LBB35_144:                             ;   in Loop: Header=BB35_120 Depth=1
	s_delay_alu instid0(SALU_CYCLE_1) | instskip(SKIP_2) | instid1(VALU_DEP_1)
	s_or_b32 exec_lo, exec_lo, s4
	v_and_b32_e32 v0, 0xffff0000, v1
	s_mov_b32 s4, exec_lo
	v_div_scale_f32 v1, null, v18, v18, v0
	s_delay_alu instid0(VALU_DEP_1) | instskip(SKIP_2) | instid1(VALU_DEP_1)
	v_rcp_f32_e32 v7, v1
	s_waitcnt_depctr 0xfff
	v_fma_f32 v10, -v1, v7, 1.0
	v_fmac_f32_e32 v7, v10, v7
	v_div_scale_f32 v10, vcc_lo, v0, v18, v0
	s_delay_alu instid0(VALU_DEP_1) | instskip(NEXT) | instid1(VALU_DEP_1)
	v_mul_f32_e32 v12, v10, v7
	v_fma_f32 v13, -v1, v12, v10
	s_delay_alu instid0(VALU_DEP_1) | instskip(NEXT) | instid1(VALU_DEP_1)
	v_fmac_f32_e32 v12, v13, v7
	v_fma_f32 v1, -v1, v12, v10
	s_delay_alu instid0(VALU_DEP_1) | instskip(NEXT) | instid1(VALU_DEP_1)
	v_div_fmas_f32 v1, v1, v7, v12
	v_div_fixup_f32 v0, v1, v18, v0
	s_delay_alu instid0(VALU_DEP_1) | instskip(NEXT) | instid1(VALU_DEP_1)
	v_maxmin_f32 v0, v0, v16, v19
	v_and_b32_e32 v1, 0x7fffffff, v0
	s_delay_alu instid0(VALU_DEP_1)
	v_cmpx_gt_u32_e32 0x43800000, v1
	s_cbranch_execz .LBB35_152
; %bb.145:                              ;   in Loop: Header=BB35_120 Depth=1
	v_cmp_lt_u32_e32 vcc_lo, 0x3bffffff, v1
	s_mov_b32 s5, 0
                                        ; implicit-def: $vgpr1
	s_and_saveexec_b32 s0, vcc_lo
	s_delay_alu instid0(SALU_CYCLE_1)
	s_xor_b32 s0, exec_lo, s0
; %bb.146:                              ;   in Loop: Header=BB35_120 Depth=1
	v_bfe_u32 v1, v0, 20, 1
	s_mov_b32 s5, exec_lo
	s_delay_alu instid0(VALU_DEP_1) | instskip(NEXT) | instid1(VALU_DEP_1)
	v_add3_u32 v1, v0, v1, 0x487ffff
	v_lshrrev_b32_e32 v1, 20, v1
; %bb.147:                              ;   in Loop: Header=BB35_120 Depth=1
	s_or_saveexec_b32 s6, s0
                                        ; implicit-def: $sgpr0_sgpr1
	s_delay_alu instid0(SALU_CYCLE_1)
	s_xor_b32 exec_lo, exec_lo, s6
; %bb.148:                              ;   in Loop: Header=BB35_120 Depth=1
	v_add_f32_e64 v1, 0x46000000, |v0|
	s_and_not1_b32 s5, s5, exec_lo
	s_mov_b64 s[0:1], 0
	s_delay_alu instid0(VALU_DEP_1) | instskip(NEXT) | instid1(VALU_DEP_1)
	v_and_b32_e32 v1, 0xff, v1
	v_cmp_ne_u32_e32 vcc_lo, 0, v1
	s_and_b32 s7, vcc_lo, exec_lo
	s_delay_alu instid0(SALU_CYCLE_1)
	s_or_b32 s5, s5, s7
; %bb.149:                              ;   in Loop: Header=BB35_120 Depth=1
	s_or_b32 exec_lo, exec_lo, s6
	v_dual_mov_b32 v10, s1 :: v_dual_mov_b32 v9, s0
	s_and_saveexec_b32 s0, s5
; %bb.150:                              ;   in Loop: Header=BB35_120 Depth=1
	v_lshrrev_b32_e32 v0, 24, v0
	s_delay_alu instid0(VALU_DEP_1)
	v_and_or_b32 v9, 0x80, v0, v1
; %bb.151:                              ;   in Loop: Header=BB35_120 Depth=1
	s_or_b32 exec_lo, exec_lo, s0
.LBB35_152:                             ;   in Loop: Header=BB35_120 Depth=1
	s_delay_alu instid0(SALU_CYCLE_1) | instskip(SKIP_2) | instid1(VALU_DEP_1)
	s_or_b32 exec_lo, exec_lo, s4
	v_lshlrev_b32_e32 v0, 16, v2
	s_mov_b32 s4, exec_lo
	v_div_scale_f32 v1, null, v18, v18, v0
	s_delay_alu instid0(VALU_DEP_1) | instskip(SKIP_2) | instid1(VALU_DEP_1)
	v_rcp_f32_e32 v7, v1
	s_waitcnt_depctr 0xfff
	v_fma_f32 v10, -v1, v7, 1.0
	v_fmac_f32_e32 v7, v10, v7
	v_div_scale_f32 v12, vcc_lo, v0, v18, v0
	s_delay_alu instid0(VALU_DEP_1) | instskip(NEXT) | instid1(VALU_DEP_1)
	v_mul_f32_e32 v10, v12, v7
	v_fma_f32 v13, -v1, v10, v12
	s_delay_alu instid0(VALU_DEP_1) | instskip(NEXT) | instid1(VALU_DEP_1)
	v_fmac_f32_e32 v10, v13, v7
	v_fma_f32 v1, -v1, v10, v12
	v_mov_b32_e32 v12, 0x80
	v_mov_b32_e32 v13, 0
	s_delay_alu instid0(VALU_DEP_3) | instskip(NEXT) | instid1(VALU_DEP_1)
	v_div_fmas_f32 v1, v1, v7, v10
	v_div_fixup_f32 v0, v1, v18, v0
	s_delay_alu instid0(VALU_DEP_1) | instskip(NEXT) | instid1(VALU_DEP_4)
	v_maxmin_f32 v7, v0, v16, v19
	v_dual_mov_b32 v0, v12 :: v_dual_mov_b32 v1, v13
	s_delay_alu instid0(VALU_DEP_2) | instskip(NEXT) | instid1(VALU_DEP_1)
	v_and_b32_e32 v10, 0x7fffffff, v7
	v_cmpx_gt_u32_e32 0x43800000, v10
	s_cbranch_execz .LBB35_160
; %bb.153:                              ;   in Loop: Header=BB35_120 Depth=1
	v_cmp_lt_u32_e32 vcc_lo, 0x3bffffff, v10
	s_mov_b32 s5, 0
                                        ; implicit-def: $vgpr10
	s_and_saveexec_b32 s0, vcc_lo
	s_delay_alu instid0(SALU_CYCLE_1)
	s_xor_b32 s0, exec_lo, s0
; %bb.154:                              ;   in Loop: Header=BB35_120 Depth=1
	v_bfe_u32 v0, v7, 20, 1
	s_mov_b32 s5, exec_lo
	s_delay_alu instid0(VALU_DEP_1) | instskip(NEXT) | instid1(VALU_DEP_1)
	v_add3_u32 v0, v7, v0, 0x487ffff
	v_lshrrev_b32_e32 v10, 20, v0
; %bb.155:                              ;   in Loop: Header=BB35_120 Depth=1
	s_or_saveexec_b32 s6, s0
                                        ; implicit-def: $sgpr0_sgpr1
	s_delay_alu instid0(SALU_CYCLE_1)
	s_xor_b32 exec_lo, exec_lo, s6
; %bb.156:                              ;   in Loop: Header=BB35_120 Depth=1
	v_add_f32_e64 v0, 0x46000000, |v7|
	s_and_not1_b32 s5, s5, exec_lo
	s_mov_b64 s[0:1], 0
	s_delay_alu instid0(VALU_DEP_1) | instskip(NEXT) | instid1(VALU_DEP_1)
	v_and_b32_e32 v10, 0xff, v0
	v_cmp_ne_u32_e32 vcc_lo, 0, v10
	s_and_b32 s7, vcc_lo, exec_lo
	s_delay_alu instid0(SALU_CYCLE_1)
	s_or_b32 s5, s5, s7
; %bb.157:                              ;   in Loop: Header=BB35_120 Depth=1
	s_or_b32 exec_lo, exec_lo, s6
	v_dual_mov_b32 v0, s0 :: v_dual_mov_b32 v1, s1
	s_and_saveexec_b32 s0, s5
; %bb.158:                              ;   in Loop: Header=BB35_120 Depth=1
	v_lshrrev_b32_e32 v0, 24, v7
	s_delay_alu instid0(VALU_DEP_1)
	v_and_or_b32 v0, 0x80, v0, v10
; %bb.159:                              ;   in Loop: Header=BB35_120 Depth=1
	s_or_b32 exec_lo, exec_lo, s0
.LBB35_160:                             ;   in Loop: Header=BB35_120 Depth=1
	s_delay_alu instid0(SALU_CYCLE_1) | instskip(SKIP_2) | instid1(VALU_DEP_1)
	s_or_b32 exec_lo, exec_lo, s4
	v_and_b32_e32 v1, 0xffff0000, v2
	s_mov_b32 s4, exec_lo
	v_div_scale_f32 v2, null, v18, v18, v1
	s_delay_alu instid0(VALU_DEP_1) | instskip(SKIP_2) | instid1(VALU_DEP_1)
	v_rcp_f32_e32 v7, v2
	s_waitcnt_depctr 0xfff
	v_fma_f32 v10, -v2, v7, 1.0
	v_fmac_f32_e32 v7, v10, v7
	v_div_scale_f32 v10, vcc_lo, v1, v18, v1
	s_delay_alu instid0(VALU_DEP_1) | instskip(NEXT) | instid1(VALU_DEP_1)
	v_mul_f32_e32 v13, v10, v7
	v_fma_f32 v14, -v2, v13, v10
	s_delay_alu instid0(VALU_DEP_1) | instskip(NEXT) | instid1(VALU_DEP_1)
	v_fmac_f32_e32 v13, v14, v7
	v_fma_f32 v2, -v2, v13, v10
	s_delay_alu instid0(VALU_DEP_1) | instskip(NEXT) | instid1(VALU_DEP_1)
	v_div_fmas_f32 v2, v2, v7, v13
	v_div_fixup_f32 v1, v2, v18, v1
	s_delay_alu instid0(VALU_DEP_1) | instskip(NEXT) | instid1(VALU_DEP_1)
	v_maxmin_f32 v1, v1, v16, v19
	v_and_b32_e32 v2, 0x7fffffff, v1
	s_delay_alu instid0(VALU_DEP_1)
	v_cmpx_gt_u32_e32 0x43800000, v2
	s_cbranch_execz .LBB35_168
; %bb.161:                              ;   in Loop: Header=BB35_120 Depth=1
	v_cmp_lt_u32_e32 vcc_lo, 0x3bffffff, v2
	s_mov_b32 s5, 0
                                        ; implicit-def: $vgpr2
	s_and_saveexec_b32 s0, vcc_lo
	s_delay_alu instid0(SALU_CYCLE_1)
	s_xor_b32 s0, exec_lo, s0
; %bb.162:                              ;   in Loop: Header=BB35_120 Depth=1
	v_bfe_u32 v2, v1, 20, 1
	s_mov_b32 s5, exec_lo
	s_delay_alu instid0(VALU_DEP_1) | instskip(NEXT) | instid1(VALU_DEP_1)
	v_add3_u32 v2, v1, v2, 0x487ffff
	v_lshrrev_b32_e32 v2, 20, v2
; %bb.163:                              ;   in Loop: Header=BB35_120 Depth=1
	s_or_saveexec_b32 s6, s0
                                        ; implicit-def: $sgpr0_sgpr1
	s_delay_alu instid0(SALU_CYCLE_1)
	s_xor_b32 exec_lo, exec_lo, s6
; %bb.164:                              ;   in Loop: Header=BB35_120 Depth=1
	v_add_f32_e64 v2, 0x46000000, |v1|
	s_and_not1_b32 s5, s5, exec_lo
	s_mov_b64 s[0:1], 0
	s_delay_alu instid0(VALU_DEP_1) | instskip(NEXT) | instid1(VALU_DEP_1)
	v_and_b32_e32 v2, 0xff, v2
	v_cmp_ne_u32_e32 vcc_lo, 0, v2
	s_and_b32 s7, vcc_lo, exec_lo
	s_delay_alu instid0(SALU_CYCLE_1)
	s_or_b32 s5, s5, s7
; %bb.165:                              ;   in Loop: Header=BB35_120 Depth=1
	s_or_b32 exec_lo, exec_lo, s6
	v_dual_mov_b32 v13, s1 :: v_dual_mov_b32 v12, s0
	s_and_saveexec_b32 s0, s5
; %bb.166:                              ;   in Loop: Header=BB35_120 Depth=1
	v_lshrrev_b32_e32 v1, 24, v1
	s_delay_alu instid0(VALU_DEP_1)
	v_and_or_b32 v12, 0x80, v1, v2
; %bb.167:                              ;   in Loop: Header=BB35_120 Depth=1
	s_or_b32 exec_lo, exec_lo, s0
.LBB35_168:                             ;   in Loop: Header=BB35_120 Depth=1
	s_delay_alu instid0(SALU_CYCLE_1) | instskip(SKIP_2) | instid1(VALU_DEP_1)
	s_or_b32 exec_lo, exec_lo, s4
	v_lshlrev_b32_e32 v1, 16, v3
	s_mov_b32 s4, exec_lo
	v_div_scale_f32 v2, null, v18, v18, v1
	v_div_scale_f32 v13, vcc_lo, v1, v18, v1
	s_delay_alu instid0(VALU_DEP_2) | instskip(SKIP_2) | instid1(VALU_DEP_1)
	v_rcp_f32_e32 v7, v2
	s_waitcnt_depctr 0xfff
	v_fma_f32 v10, -v2, v7, 1.0
	v_fmac_f32_e32 v7, v10, v7
	s_delay_alu instid0(VALU_DEP_1) | instskip(NEXT) | instid1(VALU_DEP_1)
	v_mul_f32_e32 v10, v13, v7
	v_fma_f32 v14, -v2, v10, v13
	s_delay_alu instid0(VALU_DEP_1) | instskip(NEXT) | instid1(VALU_DEP_1)
	v_fmac_f32_e32 v10, v14, v7
	v_fma_f32 v2, -v2, v10, v13
	s_delay_alu instid0(VALU_DEP_1) | instskip(NEXT) | instid1(VALU_DEP_1)
	v_div_fmas_f32 v2, v2, v7, v10
	v_div_fixup_f32 v1, v2, v18, v1
	s_delay_alu instid0(VALU_DEP_1) | instskip(SKIP_2) | instid1(VALU_DEP_3)
	v_maxmin_f32 v7, v1, v16, v19
	v_mov_b32_e32 v1, 0x80
	v_mov_b32_e32 v2, 0
	v_and_b32_e32 v10, 0x7fffffff, v7
	s_delay_alu instid0(VALU_DEP_2) | instskip(NEXT) | instid1(VALU_DEP_2)
	v_dual_mov_b32 v14, v2 :: v_dual_mov_b32 v13, v1
	v_cmpx_gt_u32_e32 0x43800000, v10
	s_cbranch_execz .LBB35_176
; %bb.169:                              ;   in Loop: Header=BB35_120 Depth=1
	s_mov_b32 s5, 0
	s_mov_b32 s0, exec_lo
                                        ; implicit-def: $vgpr2
	v_cmpx_lt_u32_e32 0x3bffffff, v10
	s_xor_b32 s0, exec_lo, s0
; %bb.170:                              ;   in Loop: Header=BB35_120 Depth=1
	v_bfe_u32 v2, v7, 20, 1
	s_mov_b32 s5, exec_lo
	s_delay_alu instid0(VALU_DEP_1) | instskip(NEXT) | instid1(VALU_DEP_1)
	v_add3_u32 v2, v7, v2, 0x487ffff
	v_lshrrev_b32_e32 v2, 20, v2
; %bb.171:                              ;   in Loop: Header=BB35_120 Depth=1
	s_or_saveexec_b32 s6, s0
                                        ; implicit-def: $sgpr0_sgpr1
	s_delay_alu instid0(SALU_CYCLE_1)
	s_xor_b32 exec_lo, exec_lo, s6
; %bb.172:                              ;   in Loop: Header=BB35_120 Depth=1
	v_add_f32_e64 v2, 0x46000000, |v7|
	s_and_not1_b32 s5, s5, exec_lo
	s_mov_b64 s[0:1], 0
	s_delay_alu instid0(VALU_DEP_1) | instskip(NEXT) | instid1(VALU_DEP_1)
	v_and_b32_e32 v2, 0xff, v2
	v_cmp_ne_u32_e32 vcc_lo, 0, v2
	s_and_b32 s7, vcc_lo, exec_lo
	s_delay_alu instid0(SALU_CYCLE_1)
	s_or_b32 s5, s5, s7
; %bb.173:                              ;   in Loop: Header=BB35_120 Depth=1
	s_or_b32 exec_lo, exec_lo, s6
	v_dual_mov_b32 v14, s1 :: v_dual_mov_b32 v13, s0
	s_and_saveexec_b32 s0, s5
; %bb.174:                              ;   in Loop: Header=BB35_120 Depth=1
	v_lshrrev_b32_e32 v7, 24, v7
	s_delay_alu instid0(VALU_DEP_1)
	v_and_or_b32 v13, 0x80, v7, v2
; %bb.175:                              ;   in Loop: Header=BB35_120 Depth=1
	s_or_b32 exec_lo, exec_lo, s0
.LBB35_176:                             ;   in Loop: Header=BB35_120 Depth=1
	s_delay_alu instid0(SALU_CYCLE_1) | instskip(SKIP_2) | instid1(VALU_DEP_1)
	s_or_b32 exec_lo, exec_lo, s4
	v_and_b32_e32 v2, 0xffff0000, v3
	s_mov_b32 s4, exec_lo
	v_div_scale_f32 v3, null, v18, v18, v2
	s_delay_alu instid0(VALU_DEP_1) | instskip(SKIP_2) | instid1(VALU_DEP_1)
	v_rcp_f32_e32 v7, v3
	s_waitcnt_depctr 0xfff
	v_fma_f32 v10, -v3, v7, 1.0
	v_fmac_f32_e32 v7, v10, v7
	v_div_scale_f32 v10, vcc_lo, v2, v18, v2
	s_delay_alu instid0(VALU_DEP_1) | instskip(NEXT) | instid1(VALU_DEP_1)
	v_mul_f32_e32 v14, v10, v7
	v_fma_f32 v20, -v3, v14, v10
	s_delay_alu instid0(VALU_DEP_1) | instskip(NEXT) | instid1(VALU_DEP_1)
	v_fmac_f32_e32 v14, v20, v7
	v_fma_f32 v3, -v3, v14, v10
	s_delay_alu instid0(VALU_DEP_1) | instskip(NEXT) | instid1(VALU_DEP_1)
	v_div_fmas_f32 v3, v3, v7, v14
	v_div_fixup_f32 v2, v3, v18, v2
	s_delay_alu instid0(VALU_DEP_1) | instskip(NEXT) | instid1(VALU_DEP_1)
	v_maxmin_f32 v3, v2, v16, v19
	v_and_b32_e32 v2, 0x7fffffff, v3
	s_delay_alu instid0(VALU_DEP_1)
	v_cmpx_gt_u32_e32 0x43800000, v2
	s_cbranch_execz .LBB35_119
; %bb.177:                              ;   in Loop: Header=BB35_120 Depth=1
	s_mov_b32 s5, 0
	s_mov_b32 s0, exec_lo
                                        ; implicit-def: $vgpr7
	v_cmpx_lt_u32_e32 0x3bffffff, v2
	s_xor_b32 s0, exec_lo, s0
; %bb.178:                              ;   in Loop: Header=BB35_120 Depth=1
	v_bfe_u32 v1, v3, 20, 1
	s_mov_b32 s5, exec_lo
	s_delay_alu instid0(VALU_DEP_1) | instskip(NEXT) | instid1(VALU_DEP_1)
	v_add3_u32 v1, v3, v1, 0x487ffff
	v_lshrrev_b32_e32 v7, 20, v1
; %bb.179:                              ;   in Loop: Header=BB35_120 Depth=1
	s_or_saveexec_b32 s6, s0
                                        ; implicit-def: $sgpr0_sgpr1
	s_delay_alu instid0(SALU_CYCLE_1)
	s_xor_b32 exec_lo, exec_lo, s6
; %bb.180:                              ;   in Loop: Header=BB35_120 Depth=1
	v_add_f32_e64 v1, 0x46000000, |v3|
	s_and_not1_b32 s5, s5, exec_lo
	s_mov_b64 s[0:1], 0
	s_delay_alu instid0(VALU_DEP_1) | instskip(NEXT) | instid1(VALU_DEP_1)
	v_and_b32_e32 v7, 0xff, v1
	v_cmp_ne_u32_e32 vcc_lo, 0, v7
	s_and_b32 s7, vcc_lo, exec_lo
	s_delay_alu instid0(SALU_CYCLE_1)
	s_or_b32 s5, s5, s7
; %bb.181:                              ;   in Loop: Header=BB35_120 Depth=1
	s_or_b32 exec_lo, exec_lo, s6
	v_dual_mov_b32 v2, s1 :: v_dual_mov_b32 v1, s0
	s_and_saveexec_b32 s0, s5
	s_cbranch_execz .LBB35_118
; %bb.182:                              ;   in Loop: Header=BB35_120 Depth=1
	v_lshrrev_b32_e32 v1, 24, v3
	s_delay_alu instid0(VALU_DEP_1)
	v_and_or_b32 v1, 0x80, v1, v7
	s_branch .LBB35_118
.LBB35_183:
	s_nop 0
	s_sendmsg sendmsg(MSG_DEALLOC_VGPRS)
	s_endpgm
.LBB35_184:
	v_bfe_u32 v1, v0, 20, 1
	s_mov_b32 s2, exec_lo
	s_delay_alu instid0(VALU_DEP_1) | instskip(NEXT) | instid1(VALU_DEP_1)
	v_add3_u32 v1, v0, v1, 0x487ffff
	v_lshrrev_b32_e32 v1, 20, v1
	s_or_saveexec_b32 s3, s3
                                        ; implicit-def: $sgpr4
	s_delay_alu instid0(SALU_CYCLE_1)
	s_xor_b32 exec_lo, exec_lo, s3
	s_cbranch_execz .LBB35_25
.LBB35_185:
	v_add_f32_e64 v1, 0x46000000, |v0|
	s_and_not1_b32 s2, s2, exec_lo
	s_mov_b32 s4, 0
	s_delay_alu instid0(VALU_DEP_1) | instskip(NEXT) | instid1(VALU_DEP_1)
	v_and_b32_e32 v1, 0xff, v1
	v_cmp_ne_u32_e32 vcc_lo, 0, v1
	s_and_b32 s5, vcc_lo, exec_lo
	s_delay_alu instid0(SALU_CYCLE_1)
	s_or_b32 s2, s2, s5
	s_or_b32 exec_lo, exec_lo, s3
	v_mov_b32_e32 v2, s4
	s_and_saveexec_b32 s3, s2
	s_cbranch_execnz .LBB35_26
	s_branch .LBB35_27
	.section	.rodata,"a",@progbits
	.p2align	6, 0x0
	.amdhsa_kernel _Z33per_token_group_quant_8bit_kernelIN3c108BFloat16ENS0_15Float8_e4m3fnuzELb0ELb0EfEvPKT_PvPT3_iiifffii
		.amdhsa_group_segment_fixed_size 0
		.amdhsa_private_segment_fixed_size 0
		.amdhsa_kernarg_size 56
		.amdhsa_user_sgpr_count 15
		.amdhsa_user_sgpr_dispatch_ptr 0
		.amdhsa_user_sgpr_queue_ptr 0
		.amdhsa_user_sgpr_kernarg_segment_ptr 1
		.amdhsa_user_sgpr_dispatch_id 0
		.amdhsa_user_sgpr_private_segment_size 0
		.amdhsa_wavefront_size32 1
		.amdhsa_uses_dynamic_stack 0
		.amdhsa_enable_private_segment 0
		.amdhsa_system_sgpr_workgroup_id_x 1
		.amdhsa_system_sgpr_workgroup_id_y 0
		.amdhsa_system_sgpr_workgroup_id_z 0
		.amdhsa_system_sgpr_workgroup_info 0
		.amdhsa_system_vgpr_workitem_id 0
		.amdhsa_next_free_vgpr 38
		.amdhsa_next_free_sgpr 16
		.amdhsa_reserve_vcc 1
		.amdhsa_float_round_mode_32 0
		.amdhsa_float_round_mode_16_64 0
		.amdhsa_float_denorm_mode_32 3
		.amdhsa_float_denorm_mode_16_64 3
		.amdhsa_dx10_clamp 1
		.amdhsa_ieee_mode 1
		.amdhsa_fp16_overflow 0
		.amdhsa_workgroup_processor_mode 1
		.amdhsa_memory_ordered 1
		.amdhsa_forward_progress 0
		.amdhsa_shared_vgpr_count 0
		.amdhsa_exception_fp_ieee_invalid_op 0
		.amdhsa_exception_fp_denorm_src 0
		.amdhsa_exception_fp_ieee_div_zero 0
		.amdhsa_exception_fp_ieee_overflow 0
		.amdhsa_exception_fp_ieee_underflow 0
		.amdhsa_exception_fp_ieee_inexact 0
		.amdhsa_exception_int_div_zero 0
	.end_amdhsa_kernel
	.section	.text._Z33per_token_group_quant_8bit_kernelIN3c108BFloat16ENS0_15Float8_e4m3fnuzELb0ELb0EfEvPKT_PvPT3_iiifffii,"axG",@progbits,_Z33per_token_group_quant_8bit_kernelIN3c108BFloat16ENS0_15Float8_e4m3fnuzELb0ELb0EfEvPKT_PvPT3_iiifffii,comdat
.Lfunc_end35:
	.size	_Z33per_token_group_quant_8bit_kernelIN3c108BFloat16ENS0_15Float8_e4m3fnuzELb0ELb0EfEvPKT_PvPT3_iiifffii, .Lfunc_end35-_Z33per_token_group_quant_8bit_kernelIN3c108BFloat16ENS0_15Float8_e4m3fnuzELb0ELb0EfEvPKT_PvPT3_iiifffii
                                        ; -- End function
	.section	.AMDGPU.csdata,"",@progbits
; Kernel info:
; codeLenInByte = 9056
; NumSgprs: 18
; NumVgprs: 38
; ScratchSize: 0
; MemoryBound: 0
; FloatMode: 240
; IeeeMode: 1
; LDSByteSize: 0 bytes/workgroup (compile time only)
; SGPRBlocks: 2
; VGPRBlocks: 4
; NumSGPRsForWavesPerEU: 18
; NumVGPRsForWavesPerEU: 38
; Occupancy: 16
; WaveLimiterHint : 0
; COMPUTE_PGM_RSRC2:SCRATCH_EN: 0
; COMPUTE_PGM_RSRC2:USER_SGPR: 15
; COMPUTE_PGM_RSRC2:TRAP_HANDLER: 0
; COMPUTE_PGM_RSRC2:TGID_X_EN: 1
; COMPUTE_PGM_RSRC2:TGID_Y_EN: 0
; COMPUTE_PGM_RSRC2:TGID_Z_EN: 0
; COMPUTE_PGM_RSRC2:TIDIG_COMP_CNT: 0
	.section	.text._Z49per_token_group_quant_8bit_packed_register_kernelIN3c104HalfEaLi128ELi16ELi1EEvPKT_PvPjiiiiilfff,"axG",@progbits,_Z49per_token_group_quant_8bit_packed_register_kernelIN3c104HalfEaLi128ELi16ELi1EEvPKT_PvPjiiiiilfff,comdat
	.protected	_Z49per_token_group_quant_8bit_packed_register_kernelIN3c104HalfEaLi128ELi16ELi1EEvPKT_PvPjiiiiilfff ; -- Begin function _Z49per_token_group_quant_8bit_packed_register_kernelIN3c104HalfEaLi128ELi16ELi1EEvPKT_PvPjiiiiilfff
	.globl	_Z49per_token_group_quant_8bit_packed_register_kernelIN3c104HalfEaLi128ELi16ELi1EEvPKT_PvPjiiiiilfff
	.p2align	8
	.type	_Z49per_token_group_quant_8bit_packed_register_kernelIN3c104HalfEaLi128ELi16ELi1EEvPKT_PvPjiiiiilfff,@function
_Z49per_token_group_quant_8bit_packed_register_kernelIN3c104HalfEaLi128ELi16ELi1EEvPKT_PvPjiiiiilfff: ; @_Z49per_token_group_quant_8bit_packed_register_kernelIN3c104HalfEaLi128ELi16ELi1EEvPKT_PvPjiiiiilfff
; %bb.0:
	s_load_b128 s[4:7], s[0:1], 0x1c
	v_lshrrev_b32_e32 v1, 7, v0
	s_mov_b32 s2, exec_lo
	s_delay_alu instid0(VALU_DEP_1) | instskip(SKIP_1) | instid1(VALU_DEP_1)
	v_add_nc_u32_e32 v4, s15, v1
	s_waitcnt lgkmcnt(0)
	v_cmpx_gt_i32_e64 s7, v4
	s_cbranch_execz .LBB36_14
; %bb.1:
	s_load_b128 s[8:11], s[0:1], 0x38
	v_lshrrev_b32_e32 v1, 3, v0
	s_lshl_b32 s2, s14, 4
	v_and_b32_e32 v7, 7, v0
	v_ashrrev_i32_e32 v8, 31, v4
                                        ; implicit-def: $vgpr9
                                        ; implicit-def: $vgpr6
                                        ; implicit-def: $vgpr11
                                        ; implicit-def: $vgpr10
                                        ; implicit-def: $vgpr13
                                        ; implicit-def: $vgpr12
                                        ; implicit-def: $vgpr16
                                        ; implicit-def: $vgpr14
                                        ; implicit-def: $vgpr18
                                        ; implicit-def: $vgpr15
                                        ; implicit-def: $vgpr20
                                        ; implicit-def: $vgpr17
                                        ; implicit-def: $vgpr22
                                        ; implicit-def: $vgpr19
                                        ; implicit-def: $vgpr23
                                        ; implicit-def: $vgpr21
	s_delay_alu instid0(VALU_DEP_3) | instskip(SKIP_1) | instid1(VALU_DEP_2)
	v_and_or_b32 v2, v1, 15, s2
	v_cmp_gt_i32_e64 s2, s5, v4
	v_cmp_gt_i32_e64 s3, s4, v2
	v_lshlrev_b32_e32 v5, 7, v2
	s_waitcnt lgkmcnt(0)
	s_delay_alu instid0(VALU_DEP_2)
	s_and_b32 s11, s2, s3
	v_mov_b32_e32 v0, s8
	s_and_saveexec_b32 s5, s11
	s_cbranch_execz .LBB36_3
; %bb.2:
	s_load_b64 s[12:13], s[0:1], 0x0
	v_lshlrev_b32_e32 v3, 8, v4
	v_alignbit_b32 v0, v8, v4, 24
	s_ashr_i32 s14, s4, 31
	v_ashrrev_i32_e32 v6, 31, v5
	s_delay_alu instid0(VALU_DEP_3) | instskip(NEXT) | instid1(VALU_DEP_3)
	v_mul_lo_u32 v11, v3, s14
	v_mul_lo_u32 v12, v0, s4
	s_delay_alu instid0(VALU_DEP_3) | instskip(SKIP_3) | instid1(VALU_DEP_2)
	v_lshlrev_b64 v[9:10], 1, v[5:6]
	s_waitcnt lgkmcnt(0)
	v_mad_u64_u32 v[0:1], null, v3, s4, s[12:13]
	v_lshlrev_b32_e32 v3, 5, v7
	v_add3_u32 v1, v12, v1, v11
	s_delay_alu instid0(VALU_DEP_3) | instskip(NEXT) | instid1(VALU_DEP_2)
	v_add_co_u32 v0, vcc_lo, v0, v9
	v_add_co_ci_u32_e32 v1, vcc_lo, v1, v10, vcc_lo
	s_delay_alu instid0(VALU_DEP_2) | instskip(NEXT) | instid1(VALU_DEP_2)
	v_add_co_u32 v0, vcc_lo, v0, v3
	v_add_co_ci_u32_e32 v1, vcc_lo, 0, v1, vcc_lo
	s_clause 0x1
	global_load_b128 v[9:12], v[0:1], off
	global_load_b128 v[22:25], v[0:1], off offset:16
	s_waitcnt vmcnt(1)
	v_lshrrev_b32_e32 v0, 16, v9
	v_lshrrev_b32_e32 v1, 16, v10
	v_cvt_f32_f16_e64 v6, |v9|
	v_lshrrev_b32_e32 v3, 16, v11
	v_cvt_f32_f16_e64 v15, |v10|
	v_cvt_f32_f16_e64 v14, |v0|
	;; [unrolled: 1-line block ×3, first 2 shown]
	v_lshrrev_b32_e32 v13, 16, v12
	v_cvt_f32_f16_e64 v19, |v3|
	s_waitcnt vmcnt(0)
	v_lshrrev_b32_e32 v16, 16, v22
	v_max3_f32 v6, s8, v6, v14
	v_cvt_f32_f16_e64 v14, |v11|
	v_cvt_f32_f16_e64 v18, |v12|
	v_lshrrev_b32_e32 v26, 16, v23
	v_cvt_f32_f16_e64 v20, |v22|
	v_max3_f32 v6, v6, v15, v17
	v_cvt_f32_f16_e64 v15, |v13|
	v_cvt_f32_f16_e32 v21, v9
	v_cvt_f32_f16_e64 v9, |v16|
	v_lshrrev_b32_e32 v27, 16, v24
	v_max3_f32 v6, v6, v14, v19
	v_cvt_f32_f16_e64 v29, |v23|
	v_cvt_f32_f16_e32 v17, v11
	v_cvt_f32_f16_e64 v11, |v26|
	v_lshrrev_b32_e32 v28, 16, v25
	v_max3_f32 v6, v6, v18, v15
	v_cvt_f32_f16_e64 v30, |v24|
	v_cvt_f32_f16_e64 v18, |v27|
	;; [unrolled: 1-line block ×3, first 2 shown]
	v_cvt_f32_f16_e32 v19, v10
	v_max3_f32 v9, v6, v20, v9
	v_cvt_f32_f16_e32 v15, v12
	v_cvt_f32_f16_e32 v12, v23
	;; [unrolled: 1-line block ×3, first 2 shown]
	v_cvt_f32_f16_e64 v24, |v28|
	v_max3_f32 v9, v9, v29, v11
	v_cvt_f32_f16_e32 v23, v0
	v_cvt_f32_f16_e32 v14, v22
	;; [unrolled: 1-line block ×4, first 2 shown]
	v_max3_f32 v0, v9, v30, v18
	v_cvt_f32_f16_e32 v20, v3
	v_cvt_f32_f16_e32 v18, v13
	;; [unrolled: 1-line block ×5, first 2 shown]
	v_max3_f32 v0, v0, v31, v24
	v_cvt_f32_f16_e32 v9, v28
.LBB36_3:
	s_or_b32 exec_lo, exec_lo, s5
	v_mbcnt_lo_u32_b32 v1, -1, 0
	s_xor_b32 s8, s11, -1
	s_mov_b32 s5, 0
	s_mov_b32 s12, exec_lo
	s_delay_alu instid0(VALU_DEP_1) | instskip(SKIP_2) | instid1(VALU_DEP_2)
	v_xor_b32_e32 v24, 4, v1
	v_and_b32_e32 v3, 24, v1
	v_xor_b32_e32 v25, 2, v1
	v_add_nc_u32_e32 v3, 8, v3
	s_delay_alu instid0(VALU_DEP_1) | instskip(SKIP_1) | instid1(VALU_DEP_1)
	v_cmp_lt_i32_e32 vcc_lo, v24, v3
	v_cndmask_b32_e32 v24, v1, v24, vcc_lo
	v_lshlrev_b32_e32 v24, 2, v24
	ds_bpermute_b32 v24, v24, v0
	v_max_f32_e32 v0, v0, v0
	v_cmp_lt_i32_e32 vcc_lo, v25, v3
	v_cndmask_b32_e32 v25, v1, v25, vcc_lo
	s_waitcnt lgkmcnt(0)
	s_delay_alu instid0(VALU_DEP_1) | instskip(NEXT) | instid1(VALU_DEP_1)
	v_dual_max_f32 v24, v24, v24 :: v_dual_lshlrev_b32 v25, 2, v25
	v_max_f32_e32 v0, v0, v24
	ds_bpermute_b32 v24, v25, v0
	v_xor_b32_e32 v25, 1, v1
	s_delay_alu instid0(VALU_DEP_1) | instskip(SKIP_3) | instid1(VALU_DEP_1)
	v_cmp_lt_i32_e32 vcc_lo, v25, v3
	v_cndmask_b32_e32 v1, v1, v25, vcc_lo
	s_waitcnt lgkmcnt(0)
	v_max_f32_e32 v3, v24, v24
	v_dual_max_f32 v0, v0, v3 :: v_dual_lshlrev_b32 v1, 2, v1
	ds_bpermute_b32 v1, v1, v0
	s_waitcnt lgkmcnt(0)
	v_max_f32_e32 v1, v1, v1
	s_delay_alu instid0(VALU_DEP_1) | instskip(NEXT) | instid1(VALU_DEP_1)
	v_max_f32_e32 v0, v0, v1
	v_div_scale_f32 v1, null, s10, s10, v0
	v_div_scale_f32 v25, vcc_lo, v0, s10, v0
	s_delay_alu instid0(VALU_DEP_2) | instskip(SKIP_2) | instid1(VALU_DEP_1)
	v_rcp_f32_e32 v3, v1
	s_waitcnt_depctr 0xfff
	v_fma_f32 v24, -v1, v3, 1.0
	v_fmac_f32_e32 v3, v24, v3
	s_delay_alu instid0(VALU_DEP_1) | instskip(NEXT) | instid1(VALU_DEP_1)
	v_mul_f32_e32 v24, v25, v3
	v_fma_f32 v26, -v1, v24, v25
	s_delay_alu instid0(VALU_DEP_1) | instskip(NEXT) | instid1(VALU_DEP_1)
	v_fmac_f32_e32 v24, v26, v3
	v_fma_f32 v1, -v1, v24, v25
	s_delay_alu instid0(VALU_DEP_1) | instskip(NEXT) | instid1(VALU_DEP_1)
	v_div_fmas_f32 v1, v1, v3, v24
	v_div_fixup_f32 v0, v1, s10, v0
	s_delay_alu instid0(VALU_DEP_1) | instskip(NEXT) | instid1(VALU_DEP_1)
	v_max_f32_e32 v0, 0x2edbe6ff, v0
	v_and_b32_e32 v1, 0x7fffff, v0
	v_lshrrev_b32_e32 v0, 23, v0
	s_delay_alu instid0(VALU_DEP_2) | instskip(NEXT) | instid1(VALU_DEP_2)
	v_cmp_ne_u32_e32 vcc_lo, 0, v1
	v_add_co_ci_u32_e32 v24, vcc_lo, 0, v0, vcc_lo
	v_cmpx_eq_u32_e32 0, v7
	s_cbranch_execz .LBB36_8
; %bb.4:
	v_ashrrev_i32_e32 v0, 31, v2
	s_delay_alu instid0(VALU_DEP_1) | instskip(NEXT) | instid1(VALU_DEP_1)
	v_lshrrev_b32_e32 v0, 30, v0
	v_add_nc_u32_e32 v0, v2, v0
	s_delay_alu instid0(VALU_DEP_1) | instskip(NEXT) | instid1(VALU_DEP_1)
	v_ashrrev_i32_e32 v3, 2, v0
	v_mad_u64_u32 v[0:1], null, v3, s7, v[4:5]
	v_mov_b32_e32 v1, v24
	s_and_saveexec_b32 s7, s8
	s_cbranch_execz .LBB36_6
; %bb.5:
	s_load_b64 s[14:15], s[0:1], 0x30
	s_delay_alu instid0(VALU_DEP_2) | instskip(SKIP_2) | instid1(VALU_DEP_1)
	v_ashrrev_i32_e32 v1, 31, v0
	s_and_not1_b32 s11, s11, exec_lo
	s_waitcnt lgkmcnt(0)
	v_cmp_gt_i64_e32 vcc_lo, s[14:15], v[0:1]
	v_mov_b32_e32 v1, 0
	s_and_b32 s13, vcc_lo, exec_lo
	s_delay_alu instid0(SALU_CYCLE_1)
	s_or_b32 s11, s11, s13
.LBB36_6:
	s_or_b32 exec_lo, exec_lo, s7
	s_delay_alu instid0(SALU_CYCLE_1)
	s_and_b32 exec_lo, exec_lo, s11
	s_cbranch_execz .LBB36_8
; %bb.7:
	s_load_b64 s[14:15], s[0:1], 0x10
	v_lshlrev_b32_e32 v3, 2, v3
	s_delay_alu instid0(VALU_DEP_1) | instskip(NEXT) | instid1(VALU_DEP_1)
	v_sub_nc_u32_e32 v2, v2, v3
	v_lshl_add_u32 v0, v0, 2, v2
	s_delay_alu instid0(VALU_DEP_1) | instskip(SKIP_2) | instid1(VALU_DEP_2)
	v_ashrrev_i32_e32 v3, 31, v0
	s_waitcnt lgkmcnt(0)
	v_add_co_u32 v2, vcc_lo, s14, v0
	v_add_co_ci_u32_e32 v3, vcc_lo, s15, v3, vcc_lo
	global_store_b8 v[2:3], v1, off
.LBB36_8:
	s_or_b32 exec_lo, exec_lo, s12
                                        ; implicit-def: $sgpr7
	s_and_saveexec_b32 s11, s8
	s_delay_alu instid0(SALU_CYCLE_1)
	s_xor_b32 s8, exec_lo, s11
; %bb.9:
	v_cmp_gt_i32_e32 vcc_lo, s6, v4
	s_xor_b32 s2, s2, -1
	s_mov_b32 s7, 0
                                        ; implicit-def: $vgpr9
                                        ; implicit-def: $vgpr6
                                        ; implicit-def: $vgpr11
                                        ; implicit-def: $vgpr10
                                        ; implicit-def: $vgpr13
                                        ; implicit-def: $vgpr12
                                        ; implicit-def: $vgpr16
                                        ; implicit-def: $vgpr14
                                        ; implicit-def: $vgpr18
                                        ; implicit-def: $vgpr15
                                        ; implicit-def: $vgpr20
                                        ; implicit-def: $vgpr17
                                        ; implicit-def: $vgpr22
                                        ; implicit-def: $vgpr19
                                        ; implicit-def: $vgpr23
                                        ; implicit-def: $vgpr21
                                        ; implicit-def: $vgpr24
	s_and_b32 s2, vcc_lo, s2
	s_delay_alu instid0(SALU_CYCLE_1) | instskip(NEXT) | instid1(SALU_CYCLE_1)
	s_and_b32 s2, s3, s2
	s_and_b32 s5, s2, exec_lo
; %bb.10:
	s_or_saveexec_b32 s2, s8
	v_dual_mov_b32 v3, s7 :: v_dual_mov_b32 v2, s7
	v_dual_mov_b32 v1, s7 :: v_dual_mov_b32 v0, s7
	s_xor_b32 exec_lo, exec_lo, s2
	s_cbranch_execz .LBB36_12
; %bb.11:
	v_lshlrev_b32_e32 v0, 23, v24
	s_or_b32 s5, s5, exec_lo
	s_delay_alu instid0(VALU_DEP_1) | instskip(NEXT) | instid1(VALU_DEP_1)
	v_and_b32_e32 v0, 0x7f800000, v0
	v_div_scale_f32 v1, null, v0, v0, 1.0
	v_div_scale_f32 v24, vcc_lo, 1.0, v0, 1.0
	s_delay_alu instid0(VALU_DEP_2) | instskip(SKIP_2) | instid1(VALU_DEP_1)
	v_rcp_f32_e32 v2, v1
	s_waitcnt_depctr 0xfff
	v_fma_f32 v3, -v1, v2, 1.0
	v_fmac_f32_e32 v2, v3, v2
	s_delay_alu instid0(VALU_DEP_1) | instskip(NEXT) | instid1(VALU_DEP_1)
	v_mul_f32_e32 v3, v24, v2
	v_fma_f32 v25, -v1, v3, v24
	s_delay_alu instid0(VALU_DEP_1) | instskip(NEXT) | instid1(VALU_DEP_1)
	v_fmac_f32_e32 v3, v25, v2
	v_fma_f32 v1, -v1, v3, v24
	s_delay_alu instid0(VALU_DEP_1) | instskip(SKIP_1) | instid1(VALU_DEP_2)
	v_div_fmas_f32 v1, v1, v2, v3
	v_max_f32_e64 v2, s10, s10
	v_div_fixup_f32 v0, v1, v0, 1.0
	v_max_f32_e64 v1, s9, s9
	s_delay_alu instid0(VALU_DEP_2)
	v_mul_f32_e32 v3, v0, v21
	v_mul_f32_e32 v6, v0, v6
	;; [unrolled: 1-line block ×6, first 2 shown]
	v_maxmin_f32 v6, v6, v1, v2
	v_maxmin_f32 v16, v16, v1, v2
	v_mul_f32_e32 v20, v0, v20
	v_maxmin_f32 v12, v12, v1, v2
	v_maxmin_f32 v11, v11, v1, v2
	v_cvt_i32_f32_e32 v6, v6
	v_mul_f32_e32 v15, v0, v15
	v_cvt_i32_f32_e32 v16, v16
	v_mul_f32_e32 v19, v0, v19
	v_mul_f32_e32 v22, v0, v22
	v_and_b32_e32 v6, 0xff, v6
	v_maxmin_f32 v15, v15, v1, v2
	v_mul_f32_e32 v13, v0, v13
	v_mul_f32_e32 v10, v0, v10
	v_maxmin_f32 v3, v3, v1, v2
	v_maxmin_f32 v20, v20, v1, v2
	v_cvt_i32_f32_e32 v15, v15
	v_mul_f32_e32 v18, v0, v18
	v_cvt_i32_f32_e32 v12, v12
	v_mul_f32_e32 v17, v0, v17
	;; [unrolled: 2-line block ×3, first 2 shown]
	v_mul_f32_e32 v0, v0, v9
	v_maxmin_f32 v9, v21, v1, v2
	v_and_b32_e32 v16, 0xff, v16
	v_and_b32_e32 v11, 0xff, v11
	v_maxmin_f32 v19, v19, v1, v2
	v_maxmin_f32 v21, v22, v1, v2
	;; [unrolled: 1-line block ×6, first 2 shown]
	v_and_b32_e32 v15, 0xff, v15
	v_maxmin_f32 v18, v18, v1, v2
	v_and_b32_e32 v12, 0xff, v12
	v_maxmin_f32 v17, v17, v1, v2
	v_cvt_i32_f32_e32 v1, v3
	v_cvt_i32_f32_e32 v2, v9
	;; [unrolled: 1-line block ×7, first 2 shown]
	v_and_b32_e32 v2, 0xff, v2
	v_and_b32_e32 v19, 0xff, v19
	;; [unrolled: 1-line block ×3, first 2 shown]
	v_perm_b32 v14, v16, v14, 0x6050400
	v_perm_b32 v10, v11, v10, 0x6050400
	v_perm_b32 v1, v2, v1, 0x6050400
	v_perm_b32 v2, v19, v17, 0x6050400
	v_cvt_i32_f32_e32 v9, v21
	v_cvt_i32_f32_e32 v18, v18
	;; [unrolled: 1-line block ×4, first 2 shown]
	v_lshl_or_b32 v0, v3, 16, v1
	v_lshl_or_b32 v1, v15, 16, v2
	;; [unrolled: 1-line block ×4, first 2 shown]
	s_delay_alu instid0(VALU_DEP_4) | instskip(NEXT) | instid1(VALU_DEP_4)
	v_lshl_or_b32 v0, v9, 24, v0
	v_lshl_or_b32 v1, v18, 24, v1
	s_delay_alu instid0(VALU_DEP_4) | instskip(NEXT) | instid1(VALU_DEP_4)
	v_lshl_or_b32 v2, v13, 24, v2
	v_lshl_or_b32 v3, v11, 24, v3
.LBB36_12:
	s_or_b32 exec_lo, exec_lo, s2
	s_delay_alu instid0(SALU_CYCLE_1)
	s_and_b32 exec_lo, exec_lo, s5
	s_cbranch_execz .LBB36_14
; %bb.13:
	s_load_b64 s[0:1], s[0:1], 0x8
	v_lshlrev_b32_e32 v6, 7, v4
	v_alignbit_b32 v4, v8, v4, 25
	s_ashr_i32 s2, s4, 31
	v_lshlrev_b32_e32 v7, 4, v7
	s_delay_alu instid0(VALU_DEP_3) | instskip(NEXT) | instid1(VALU_DEP_3)
	v_mul_lo_u32 v10, v6, s2
	v_mul_lo_u32 v4, v4, s4
	s_waitcnt lgkmcnt(0)
	v_mad_u64_u32 v[8:9], null, v6, s4, s[0:1]
	v_ashrrev_i32_e32 v6, 31, v5
	s_delay_alu instid0(VALU_DEP_2) | instskip(NEXT) | instid1(VALU_DEP_3)
	v_add3_u32 v4, v4, v9, v10
	v_add_co_u32 v5, vcc_lo, v8, v5
	s_delay_alu instid0(VALU_DEP_2) | instskip(NEXT) | instid1(VALU_DEP_2)
	v_add_co_ci_u32_e32 v6, vcc_lo, v4, v6, vcc_lo
	v_add_co_u32 v4, vcc_lo, v5, v7
	s_delay_alu instid0(VALU_DEP_2)
	v_add_co_ci_u32_e32 v5, vcc_lo, 0, v6, vcc_lo
	global_store_b128 v[4:5], v[0:3], off
.LBB36_14:
	s_nop 0
	s_sendmsg sendmsg(MSG_DEALLOC_VGPRS)
	s_endpgm
	.section	.rodata,"a",@progbits
	.p2align	6, 0x0
	.amdhsa_kernel _Z49per_token_group_quant_8bit_packed_register_kernelIN3c104HalfEaLi128ELi16ELi1EEvPKT_PvPjiiiiilfff
		.amdhsa_group_segment_fixed_size 0
		.amdhsa_private_segment_fixed_size 0
		.amdhsa_kernarg_size 68
		.amdhsa_user_sgpr_count 14
		.amdhsa_user_sgpr_dispatch_ptr 0
		.amdhsa_user_sgpr_queue_ptr 0
		.amdhsa_user_sgpr_kernarg_segment_ptr 1
		.amdhsa_user_sgpr_dispatch_id 0
		.amdhsa_user_sgpr_private_segment_size 0
		.amdhsa_wavefront_size32 1
		.amdhsa_uses_dynamic_stack 0
		.amdhsa_enable_private_segment 0
		.amdhsa_system_sgpr_workgroup_id_x 1
		.amdhsa_system_sgpr_workgroup_id_y 1
		.amdhsa_system_sgpr_workgroup_id_z 0
		.amdhsa_system_sgpr_workgroup_info 0
		.amdhsa_system_vgpr_workitem_id 0
		.amdhsa_next_free_vgpr 32
		.amdhsa_next_free_sgpr 16
		.amdhsa_reserve_vcc 1
		.amdhsa_float_round_mode_32 0
		.amdhsa_float_round_mode_16_64 0
		.amdhsa_float_denorm_mode_32 3
		.amdhsa_float_denorm_mode_16_64 3
		.amdhsa_dx10_clamp 1
		.amdhsa_ieee_mode 1
		.amdhsa_fp16_overflow 0
		.amdhsa_workgroup_processor_mode 1
		.amdhsa_memory_ordered 1
		.amdhsa_forward_progress 0
		.amdhsa_shared_vgpr_count 0
		.amdhsa_exception_fp_ieee_invalid_op 0
		.amdhsa_exception_fp_denorm_src 0
		.amdhsa_exception_fp_ieee_div_zero 0
		.amdhsa_exception_fp_ieee_overflow 0
		.amdhsa_exception_fp_ieee_underflow 0
		.amdhsa_exception_fp_ieee_inexact 0
		.amdhsa_exception_int_div_zero 0
	.end_amdhsa_kernel
	.section	.text._Z49per_token_group_quant_8bit_packed_register_kernelIN3c104HalfEaLi128ELi16ELi1EEvPKT_PvPjiiiiilfff,"axG",@progbits,_Z49per_token_group_quant_8bit_packed_register_kernelIN3c104HalfEaLi128ELi16ELi1EEvPKT_PvPjiiiiilfff,comdat
.Lfunc_end36:
	.size	_Z49per_token_group_quant_8bit_packed_register_kernelIN3c104HalfEaLi128ELi16ELi1EEvPKT_PvPjiiiiilfff, .Lfunc_end36-_Z49per_token_group_quant_8bit_packed_register_kernelIN3c104HalfEaLi128ELi16ELi1EEvPKT_PvPjiiiiilfff
                                        ; -- End function
	.section	.AMDGPU.csdata,"",@progbits
; Kernel info:
; codeLenInByte = 1804
; NumSgprs: 18
; NumVgprs: 32
; ScratchSize: 0
; MemoryBound: 0
; FloatMode: 240
; IeeeMode: 1
; LDSByteSize: 0 bytes/workgroup (compile time only)
; SGPRBlocks: 2
; VGPRBlocks: 3
; NumSGPRsForWavesPerEU: 18
; NumVGPRsForWavesPerEU: 32
; Occupancy: 16
; WaveLimiterHint : 0
; COMPUTE_PGM_RSRC2:SCRATCH_EN: 0
; COMPUTE_PGM_RSRC2:USER_SGPR: 14
; COMPUTE_PGM_RSRC2:TRAP_HANDLER: 0
; COMPUTE_PGM_RSRC2:TGID_X_EN: 1
; COMPUTE_PGM_RSRC2:TGID_Y_EN: 1
; COMPUTE_PGM_RSRC2:TGID_Z_EN: 0
; COMPUTE_PGM_RSRC2:TIDIG_COMP_CNT: 0
	.section	.text._Z49per_token_group_quant_8bit_packed_register_kernelIN3c104HalfEaLi128ELi8ELi2EEvPKT_PvPjiiiiilfff,"axG",@progbits,_Z49per_token_group_quant_8bit_packed_register_kernelIN3c104HalfEaLi128ELi8ELi2EEvPKT_PvPjiiiiilfff,comdat
	.protected	_Z49per_token_group_quant_8bit_packed_register_kernelIN3c104HalfEaLi128ELi8ELi2EEvPKT_PvPjiiiiilfff ; -- Begin function _Z49per_token_group_quant_8bit_packed_register_kernelIN3c104HalfEaLi128ELi8ELi2EEvPKT_PvPjiiiiilfff
	.globl	_Z49per_token_group_quant_8bit_packed_register_kernelIN3c104HalfEaLi128ELi8ELi2EEvPKT_PvPjiiiiilfff
	.p2align	8
	.type	_Z49per_token_group_quant_8bit_packed_register_kernelIN3c104HalfEaLi128ELi8ELi2EEvPKT_PvPjiiiiilfff,@function
_Z49per_token_group_quant_8bit_packed_register_kernelIN3c104HalfEaLi128ELi8ELi2EEvPKT_PvPjiiiiilfff: ; @_Z49per_token_group_quant_8bit_packed_register_kernelIN3c104HalfEaLi128ELi8ELi2EEvPKT_PvPjiiiiilfff
; %bb.0:
	s_load_b128 s[4:7], s[0:1], 0x1c
	v_lshrrev_b32_e32 v1, 6, v0
	s_mov_b32 s2, exec_lo
	s_delay_alu instid0(VALU_DEP_1) | instskip(SKIP_1) | instid1(VALU_DEP_1)
	v_lshl_add_u32 v4, s15, 1, v1
	s_waitcnt lgkmcnt(0)
	v_cmpx_gt_i32_e64 s7, v4
	s_cbranch_execz .LBB37_14
; %bb.1:
	s_load_b128 s[8:11], s[0:1], 0x38
	v_lshrrev_b32_e32 v1, 3, v0
	s_lshl_b32 s2, s14, 3
	v_and_b32_e32 v7, 7, v0
	v_ashrrev_i32_e32 v8, 31, v4
                                        ; implicit-def: $vgpr9
                                        ; implicit-def: $vgpr6
                                        ; implicit-def: $vgpr11
                                        ; implicit-def: $vgpr10
                                        ; implicit-def: $vgpr13
                                        ; implicit-def: $vgpr12
                                        ; implicit-def: $vgpr16
                                        ; implicit-def: $vgpr14
                                        ; implicit-def: $vgpr18
                                        ; implicit-def: $vgpr15
                                        ; implicit-def: $vgpr20
                                        ; implicit-def: $vgpr17
                                        ; implicit-def: $vgpr22
                                        ; implicit-def: $vgpr19
                                        ; implicit-def: $vgpr23
                                        ; implicit-def: $vgpr21
	s_delay_alu instid0(VALU_DEP_3) | instskip(SKIP_1) | instid1(VALU_DEP_2)
	v_and_or_b32 v2, v1, 7, s2
	v_cmp_gt_i32_e64 s2, s5, v4
	v_cmp_gt_i32_e64 s3, s4, v2
	v_lshlrev_b32_e32 v5, 7, v2
	s_waitcnt lgkmcnt(0)
	s_delay_alu instid0(VALU_DEP_2)
	s_and_b32 s11, s2, s3
	v_mov_b32_e32 v0, s8
	s_and_saveexec_b32 s5, s11
	s_cbranch_execz .LBB37_3
; %bb.2:
	s_load_b64 s[12:13], s[0:1], 0x0
	v_lshlrev_b32_e32 v3, 8, v4
	v_alignbit_b32 v0, v8, v4, 24
	s_ashr_i32 s14, s4, 31
	v_ashrrev_i32_e32 v6, 31, v5
	s_delay_alu instid0(VALU_DEP_3) | instskip(NEXT) | instid1(VALU_DEP_3)
	v_mul_lo_u32 v11, v3, s14
	v_mul_lo_u32 v12, v0, s4
	s_delay_alu instid0(VALU_DEP_3) | instskip(SKIP_3) | instid1(VALU_DEP_2)
	v_lshlrev_b64 v[9:10], 1, v[5:6]
	s_waitcnt lgkmcnt(0)
	v_mad_u64_u32 v[0:1], null, v3, s4, s[12:13]
	v_lshlrev_b32_e32 v3, 5, v7
	v_add3_u32 v1, v12, v1, v11
	s_delay_alu instid0(VALU_DEP_3) | instskip(NEXT) | instid1(VALU_DEP_2)
	v_add_co_u32 v0, vcc_lo, v0, v9
	v_add_co_ci_u32_e32 v1, vcc_lo, v1, v10, vcc_lo
	s_delay_alu instid0(VALU_DEP_2) | instskip(NEXT) | instid1(VALU_DEP_2)
	v_add_co_u32 v0, vcc_lo, v0, v3
	v_add_co_ci_u32_e32 v1, vcc_lo, 0, v1, vcc_lo
	s_clause 0x1
	global_load_b128 v[9:12], v[0:1], off
	global_load_b128 v[22:25], v[0:1], off offset:16
	s_waitcnt vmcnt(1)
	v_lshrrev_b32_e32 v0, 16, v9
	v_lshrrev_b32_e32 v1, 16, v10
	v_cvt_f32_f16_e64 v6, |v9|
	v_lshrrev_b32_e32 v3, 16, v11
	v_cvt_f32_f16_e64 v15, |v10|
	v_cvt_f32_f16_e64 v14, |v0|
	;; [unrolled: 1-line block ×3, first 2 shown]
	v_lshrrev_b32_e32 v13, 16, v12
	v_cvt_f32_f16_e64 v19, |v3|
	s_waitcnt vmcnt(0)
	v_lshrrev_b32_e32 v16, 16, v22
	v_max3_f32 v6, s8, v6, v14
	v_cvt_f32_f16_e64 v14, |v11|
	v_cvt_f32_f16_e64 v18, |v12|
	v_lshrrev_b32_e32 v26, 16, v23
	v_cvt_f32_f16_e64 v20, |v22|
	v_max3_f32 v6, v6, v15, v17
	v_cvt_f32_f16_e64 v15, |v13|
	v_cvt_f32_f16_e32 v21, v9
	v_cvt_f32_f16_e64 v9, |v16|
	v_lshrrev_b32_e32 v27, 16, v24
	v_max3_f32 v6, v6, v14, v19
	v_cvt_f32_f16_e64 v29, |v23|
	v_cvt_f32_f16_e32 v17, v11
	v_cvt_f32_f16_e64 v11, |v26|
	v_lshrrev_b32_e32 v28, 16, v25
	v_max3_f32 v6, v6, v18, v15
	v_cvt_f32_f16_e64 v30, |v24|
	v_cvt_f32_f16_e64 v18, |v27|
	v_cvt_f32_f16_e64 v31, |v25|
	v_cvt_f32_f16_e32 v19, v10
	v_max3_f32 v9, v6, v20, v9
	v_cvt_f32_f16_e32 v15, v12
	v_cvt_f32_f16_e32 v12, v23
	;; [unrolled: 1-line block ×3, first 2 shown]
	v_cvt_f32_f16_e64 v24, |v28|
	v_max3_f32 v9, v9, v29, v11
	v_cvt_f32_f16_e32 v23, v0
	v_cvt_f32_f16_e32 v14, v22
	;; [unrolled: 1-line block ×4, first 2 shown]
	v_max3_f32 v0, v9, v30, v18
	v_cvt_f32_f16_e32 v20, v3
	v_cvt_f32_f16_e32 v18, v13
	;; [unrolled: 1-line block ×5, first 2 shown]
	v_max3_f32 v0, v0, v31, v24
	v_cvt_f32_f16_e32 v9, v28
.LBB37_3:
	s_or_b32 exec_lo, exec_lo, s5
	v_mbcnt_lo_u32_b32 v1, -1, 0
	s_xor_b32 s8, s11, -1
	s_mov_b32 s5, 0
	s_mov_b32 s12, exec_lo
	s_delay_alu instid0(VALU_DEP_1) | instskip(SKIP_2) | instid1(VALU_DEP_2)
	v_xor_b32_e32 v24, 4, v1
	v_and_b32_e32 v3, 24, v1
	v_xor_b32_e32 v25, 2, v1
	v_add_nc_u32_e32 v3, 8, v3
	s_delay_alu instid0(VALU_DEP_1) | instskip(SKIP_1) | instid1(VALU_DEP_1)
	v_cmp_lt_i32_e32 vcc_lo, v24, v3
	v_cndmask_b32_e32 v24, v1, v24, vcc_lo
	v_lshlrev_b32_e32 v24, 2, v24
	ds_bpermute_b32 v24, v24, v0
	v_max_f32_e32 v0, v0, v0
	v_cmp_lt_i32_e32 vcc_lo, v25, v3
	v_cndmask_b32_e32 v25, v1, v25, vcc_lo
	s_waitcnt lgkmcnt(0)
	s_delay_alu instid0(VALU_DEP_1) | instskip(NEXT) | instid1(VALU_DEP_1)
	v_dual_max_f32 v24, v24, v24 :: v_dual_lshlrev_b32 v25, 2, v25
	v_max_f32_e32 v0, v0, v24
	ds_bpermute_b32 v24, v25, v0
	v_xor_b32_e32 v25, 1, v1
	s_delay_alu instid0(VALU_DEP_1) | instskip(SKIP_3) | instid1(VALU_DEP_1)
	v_cmp_lt_i32_e32 vcc_lo, v25, v3
	v_cndmask_b32_e32 v1, v1, v25, vcc_lo
	s_waitcnt lgkmcnt(0)
	v_max_f32_e32 v3, v24, v24
	v_dual_max_f32 v0, v0, v3 :: v_dual_lshlrev_b32 v1, 2, v1
	ds_bpermute_b32 v1, v1, v0
	s_waitcnt lgkmcnt(0)
	v_max_f32_e32 v1, v1, v1
	s_delay_alu instid0(VALU_DEP_1) | instskip(NEXT) | instid1(VALU_DEP_1)
	v_max_f32_e32 v0, v0, v1
	v_div_scale_f32 v1, null, s10, s10, v0
	v_div_scale_f32 v25, vcc_lo, v0, s10, v0
	s_delay_alu instid0(VALU_DEP_2) | instskip(SKIP_2) | instid1(VALU_DEP_1)
	v_rcp_f32_e32 v3, v1
	s_waitcnt_depctr 0xfff
	v_fma_f32 v24, -v1, v3, 1.0
	v_fmac_f32_e32 v3, v24, v3
	s_delay_alu instid0(VALU_DEP_1) | instskip(NEXT) | instid1(VALU_DEP_1)
	v_mul_f32_e32 v24, v25, v3
	v_fma_f32 v26, -v1, v24, v25
	s_delay_alu instid0(VALU_DEP_1) | instskip(NEXT) | instid1(VALU_DEP_1)
	v_fmac_f32_e32 v24, v26, v3
	v_fma_f32 v1, -v1, v24, v25
	s_delay_alu instid0(VALU_DEP_1) | instskip(NEXT) | instid1(VALU_DEP_1)
	v_div_fmas_f32 v1, v1, v3, v24
	v_div_fixup_f32 v0, v1, s10, v0
	s_delay_alu instid0(VALU_DEP_1) | instskip(NEXT) | instid1(VALU_DEP_1)
	v_max_f32_e32 v0, 0x2edbe6ff, v0
	v_and_b32_e32 v1, 0x7fffff, v0
	v_lshrrev_b32_e32 v0, 23, v0
	s_delay_alu instid0(VALU_DEP_2) | instskip(NEXT) | instid1(VALU_DEP_2)
	v_cmp_ne_u32_e32 vcc_lo, 0, v1
	v_add_co_ci_u32_e32 v24, vcc_lo, 0, v0, vcc_lo
	v_cmpx_eq_u32_e32 0, v7
	s_cbranch_execz .LBB37_8
; %bb.4:
	v_ashrrev_i32_e32 v0, 31, v2
	s_delay_alu instid0(VALU_DEP_1) | instskip(NEXT) | instid1(VALU_DEP_1)
	v_lshrrev_b32_e32 v0, 30, v0
	v_add_nc_u32_e32 v0, v2, v0
	s_delay_alu instid0(VALU_DEP_1) | instskip(NEXT) | instid1(VALU_DEP_1)
	v_ashrrev_i32_e32 v3, 2, v0
	v_mad_u64_u32 v[0:1], null, v3, s7, v[4:5]
	v_mov_b32_e32 v1, v24
	s_and_saveexec_b32 s7, s8
	s_cbranch_execz .LBB37_6
; %bb.5:
	s_load_b64 s[14:15], s[0:1], 0x30
	s_delay_alu instid0(VALU_DEP_2) | instskip(SKIP_2) | instid1(VALU_DEP_1)
	v_ashrrev_i32_e32 v1, 31, v0
	s_and_not1_b32 s11, s11, exec_lo
	s_waitcnt lgkmcnt(0)
	v_cmp_gt_i64_e32 vcc_lo, s[14:15], v[0:1]
	v_mov_b32_e32 v1, 0
	s_and_b32 s13, vcc_lo, exec_lo
	s_delay_alu instid0(SALU_CYCLE_1)
	s_or_b32 s11, s11, s13
.LBB37_6:
	s_or_b32 exec_lo, exec_lo, s7
	s_delay_alu instid0(SALU_CYCLE_1)
	s_and_b32 exec_lo, exec_lo, s11
	s_cbranch_execz .LBB37_8
; %bb.7:
	s_load_b64 s[14:15], s[0:1], 0x10
	v_lshlrev_b32_e32 v3, 2, v3
	s_delay_alu instid0(VALU_DEP_1) | instskip(NEXT) | instid1(VALU_DEP_1)
	v_sub_nc_u32_e32 v2, v2, v3
	v_lshl_add_u32 v0, v0, 2, v2
	s_delay_alu instid0(VALU_DEP_1) | instskip(SKIP_2) | instid1(VALU_DEP_2)
	v_ashrrev_i32_e32 v3, 31, v0
	s_waitcnt lgkmcnt(0)
	v_add_co_u32 v2, vcc_lo, s14, v0
	v_add_co_ci_u32_e32 v3, vcc_lo, s15, v3, vcc_lo
	global_store_b8 v[2:3], v1, off
.LBB37_8:
	s_or_b32 exec_lo, exec_lo, s12
                                        ; implicit-def: $sgpr7
	s_and_saveexec_b32 s11, s8
	s_delay_alu instid0(SALU_CYCLE_1)
	s_xor_b32 s8, exec_lo, s11
; %bb.9:
	v_cmp_gt_i32_e32 vcc_lo, s6, v4
	s_xor_b32 s2, s2, -1
	s_mov_b32 s7, 0
                                        ; implicit-def: $vgpr9
                                        ; implicit-def: $vgpr6
                                        ; implicit-def: $vgpr11
                                        ; implicit-def: $vgpr10
                                        ; implicit-def: $vgpr13
                                        ; implicit-def: $vgpr12
                                        ; implicit-def: $vgpr16
                                        ; implicit-def: $vgpr14
                                        ; implicit-def: $vgpr18
                                        ; implicit-def: $vgpr15
                                        ; implicit-def: $vgpr20
                                        ; implicit-def: $vgpr17
                                        ; implicit-def: $vgpr22
                                        ; implicit-def: $vgpr19
                                        ; implicit-def: $vgpr23
                                        ; implicit-def: $vgpr21
                                        ; implicit-def: $vgpr24
	s_and_b32 s2, vcc_lo, s2
	s_delay_alu instid0(SALU_CYCLE_1) | instskip(NEXT) | instid1(SALU_CYCLE_1)
	s_and_b32 s2, s3, s2
	s_and_b32 s5, s2, exec_lo
; %bb.10:
	s_or_saveexec_b32 s2, s8
	v_dual_mov_b32 v3, s7 :: v_dual_mov_b32 v2, s7
	v_dual_mov_b32 v1, s7 :: v_dual_mov_b32 v0, s7
	s_xor_b32 exec_lo, exec_lo, s2
	s_cbranch_execz .LBB37_12
; %bb.11:
	v_lshlrev_b32_e32 v0, 23, v24
	s_or_b32 s5, s5, exec_lo
	s_delay_alu instid0(VALU_DEP_1) | instskip(NEXT) | instid1(VALU_DEP_1)
	v_and_b32_e32 v0, 0x7f800000, v0
	v_div_scale_f32 v1, null, v0, v0, 1.0
	v_div_scale_f32 v24, vcc_lo, 1.0, v0, 1.0
	s_delay_alu instid0(VALU_DEP_2) | instskip(SKIP_2) | instid1(VALU_DEP_1)
	v_rcp_f32_e32 v2, v1
	s_waitcnt_depctr 0xfff
	v_fma_f32 v3, -v1, v2, 1.0
	v_fmac_f32_e32 v2, v3, v2
	s_delay_alu instid0(VALU_DEP_1) | instskip(NEXT) | instid1(VALU_DEP_1)
	v_mul_f32_e32 v3, v24, v2
	v_fma_f32 v25, -v1, v3, v24
	s_delay_alu instid0(VALU_DEP_1) | instskip(NEXT) | instid1(VALU_DEP_1)
	v_fmac_f32_e32 v3, v25, v2
	v_fma_f32 v1, -v1, v3, v24
	s_delay_alu instid0(VALU_DEP_1) | instskip(SKIP_1) | instid1(VALU_DEP_2)
	v_div_fmas_f32 v1, v1, v2, v3
	v_max_f32_e64 v2, s10, s10
	v_div_fixup_f32 v0, v1, v0, 1.0
	v_max_f32_e64 v1, s9, s9
	s_delay_alu instid0(VALU_DEP_2)
	v_mul_f32_e32 v3, v0, v21
	v_mul_f32_e32 v6, v0, v6
	;; [unrolled: 1-line block ×6, first 2 shown]
	v_maxmin_f32 v6, v6, v1, v2
	v_maxmin_f32 v16, v16, v1, v2
	v_mul_f32_e32 v20, v0, v20
	v_maxmin_f32 v12, v12, v1, v2
	v_maxmin_f32 v11, v11, v1, v2
	v_cvt_i32_f32_e32 v6, v6
	v_mul_f32_e32 v15, v0, v15
	v_cvt_i32_f32_e32 v16, v16
	v_mul_f32_e32 v19, v0, v19
	v_mul_f32_e32 v22, v0, v22
	v_and_b32_e32 v6, 0xff, v6
	v_maxmin_f32 v15, v15, v1, v2
	v_mul_f32_e32 v13, v0, v13
	v_mul_f32_e32 v10, v0, v10
	v_maxmin_f32 v3, v3, v1, v2
	v_maxmin_f32 v20, v20, v1, v2
	v_cvt_i32_f32_e32 v15, v15
	v_mul_f32_e32 v18, v0, v18
	v_cvt_i32_f32_e32 v12, v12
	v_mul_f32_e32 v17, v0, v17
	;; [unrolled: 2-line block ×3, first 2 shown]
	v_mul_f32_e32 v0, v0, v9
	v_maxmin_f32 v9, v21, v1, v2
	v_and_b32_e32 v16, 0xff, v16
	v_and_b32_e32 v11, 0xff, v11
	v_maxmin_f32 v19, v19, v1, v2
	v_maxmin_f32 v21, v22, v1, v2
	;; [unrolled: 1-line block ×6, first 2 shown]
	v_and_b32_e32 v15, 0xff, v15
	v_maxmin_f32 v18, v18, v1, v2
	v_and_b32_e32 v12, 0xff, v12
	v_maxmin_f32 v17, v17, v1, v2
	v_cvt_i32_f32_e32 v1, v3
	v_cvt_i32_f32_e32 v2, v9
	;; [unrolled: 1-line block ×7, first 2 shown]
	v_and_b32_e32 v2, 0xff, v2
	v_and_b32_e32 v19, 0xff, v19
	;; [unrolled: 1-line block ×3, first 2 shown]
	v_perm_b32 v14, v16, v14, 0x6050400
	v_perm_b32 v10, v11, v10, 0x6050400
	;; [unrolled: 1-line block ×4, first 2 shown]
	v_cvt_i32_f32_e32 v9, v21
	v_cvt_i32_f32_e32 v18, v18
	;; [unrolled: 1-line block ×4, first 2 shown]
	v_lshl_or_b32 v0, v3, 16, v1
	v_lshl_or_b32 v1, v15, 16, v2
	;; [unrolled: 1-line block ×4, first 2 shown]
	s_delay_alu instid0(VALU_DEP_4) | instskip(NEXT) | instid1(VALU_DEP_4)
	v_lshl_or_b32 v0, v9, 24, v0
	v_lshl_or_b32 v1, v18, 24, v1
	s_delay_alu instid0(VALU_DEP_4) | instskip(NEXT) | instid1(VALU_DEP_4)
	v_lshl_or_b32 v2, v13, 24, v2
	v_lshl_or_b32 v3, v11, 24, v3
.LBB37_12:
	s_or_b32 exec_lo, exec_lo, s2
	s_delay_alu instid0(SALU_CYCLE_1)
	s_and_b32 exec_lo, exec_lo, s5
	s_cbranch_execz .LBB37_14
; %bb.13:
	s_load_b64 s[0:1], s[0:1], 0x8
	v_lshlrev_b32_e32 v6, 7, v4
	v_alignbit_b32 v4, v8, v4, 25
	s_ashr_i32 s2, s4, 31
	v_lshlrev_b32_e32 v7, 4, v7
	s_delay_alu instid0(VALU_DEP_3) | instskip(NEXT) | instid1(VALU_DEP_3)
	v_mul_lo_u32 v10, v6, s2
	v_mul_lo_u32 v4, v4, s4
	s_waitcnt lgkmcnt(0)
	v_mad_u64_u32 v[8:9], null, v6, s4, s[0:1]
	v_ashrrev_i32_e32 v6, 31, v5
	s_delay_alu instid0(VALU_DEP_2) | instskip(NEXT) | instid1(VALU_DEP_3)
	v_add3_u32 v4, v4, v9, v10
	v_add_co_u32 v5, vcc_lo, v8, v5
	s_delay_alu instid0(VALU_DEP_2) | instskip(NEXT) | instid1(VALU_DEP_2)
	v_add_co_ci_u32_e32 v6, vcc_lo, v4, v6, vcc_lo
	v_add_co_u32 v4, vcc_lo, v5, v7
	s_delay_alu instid0(VALU_DEP_2)
	v_add_co_ci_u32_e32 v5, vcc_lo, 0, v6, vcc_lo
	global_store_b128 v[4:5], v[0:3], off
.LBB37_14:
	s_nop 0
	s_sendmsg sendmsg(MSG_DEALLOC_VGPRS)
	s_endpgm
	.section	.rodata,"a",@progbits
	.p2align	6, 0x0
	.amdhsa_kernel _Z49per_token_group_quant_8bit_packed_register_kernelIN3c104HalfEaLi128ELi8ELi2EEvPKT_PvPjiiiiilfff
		.amdhsa_group_segment_fixed_size 0
		.amdhsa_private_segment_fixed_size 0
		.amdhsa_kernarg_size 68
		.amdhsa_user_sgpr_count 14
		.amdhsa_user_sgpr_dispatch_ptr 0
		.amdhsa_user_sgpr_queue_ptr 0
		.amdhsa_user_sgpr_kernarg_segment_ptr 1
		.amdhsa_user_sgpr_dispatch_id 0
		.amdhsa_user_sgpr_private_segment_size 0
		.amdhsa_wavefront_size32 1
		.amdhsa_uses_dynamic_stack 0
		.amdhsa_enable_private_segment 0
		.amdhsa_system_sgpr_workgroup_id_x 1
		.amdhsa_system_sgpr_workgroup_id_y 1
		.amdhsa_system_sgpr_workgroup_id_z 0
		.amdhsa_system_sgpr_workgroup_info 0
		.amdhsa_system_vgpr_workitem_id 0
		.amdhsa_next_free_vgpr 32
		.amdhsa_next_free_sgpr 16
		.amdhsa_reserve_vcc 1
		.amdhsa_float_round_mode_32 0
		.amdhsa_float_round_mode_16_64 0
		.amdhsa_float_denorm_mode_32 3
		.amdhsa_float_denorm_mode_16_64 3
		.amdhsa_dx10_clamp 1
		.amdhsa_ieee_mode 1
		.amdhsa_fp16_overflow 0
		.amdhsa_workgroup_processor_mode 1
		.amdhsa_memory_ordered 1
		.amdhsa_forward_progress 0
		.amdhsa_shared_vgpr_count 0
		.amdhsa_exception_fp_ieee_invalid_op 0
		.amdhsa_exception_fp_denorm_src 0
		.amdhsa_exception_fp_ieee_div_zero 0
		.amdhsa_exception_fp_ieee_overflow 0
		.amdhsa_exception_fp_ieee_underflow 0
		.amdhsa_exception_fp_ieee_inexact 0
		.amdhsa_exception_int_div_zero 0
	.end_amdhsa_kernel
	.section	.text._Z49per_token_group_quant_8bit_packed_register_kernelIN3c104HalfEaLi128ELi8ELi2EEvPKT_PvPjiiiiilfff,"axG",@progbits,_Z49per_token_group_quant_8bit_packed_register_kernelIN3c104HalfEaLi128ELi8ELi2EEvPKT_PvPjiiiiilfff,comdat
.Lfunc_end37:
	.size	_Z49per_token_group_quant_8bit_packed_register_kernelIN3c104HalfEaLi128ELi8ELi2EEvPKT_PvPjiiiiilfff, .Lfunc_end37-_Z49per_token_group_quant_8bit_packed_register_kernelIN3c104HalfEaLi128ELi8ELi2EEvPKT_PvPjiiiiilfff
                                        ; -- End function
	.section	.AMDGPU.csdata,"",@progbits
; Kernel info:
; codeLenInByte = 1808
; NumSgprs: 18
; NumVgprs: 32
; ScratchSize: 0
; MemoryBound: 0
; FloatMode: 240
; IeeeMode: 1
; LDSByteSize: 0 bytes/workgroup (compile time only)
; SGPRBlocks: 2
; VGPRBlocks: 3
; NumSGPRsForWavesPerEU: 18
; NumVGPRsForWavesPerEU: 32
; Occupancy: 16
; WaveLimiterHint : 0
; COMPUTE_PGM_RSRC2:SCRATCH_EN: 0
; COMPUTE_PGM_RSRC2:USER_SGPR: 14
; COMPUTE_PGM_RSRC2:TRAP_HANDLER: 0
; COMPUTE_PGM_RSRC2:TGID_X_EN: 1
; COMPUTE_PGM_RSRC2:TGID_Y_EN: 1
; COMPUTE_PGM_RSRC2:TGID_Z_EN: 0
; COMPUTE_PGM_RSRC2:TIDIG_COMP_CNT: 0
	.section	.text._Z49per_token_group_quant_8bit_packed_register_kernelIN3c104HalfEaLi128ELi4ELi4EEvPKT_PvPjiiiiilfff,"axG",@progbits,_Z49per_token_group_quant_8bit_packed_register_kernelIN3c104HalfEaLi128ELi4ELi4EEvPKT_PvPjiiiiilfff,comdat
	.protected	_Z49per_token_group_quant_8bit_packed_register_kernelIN3c104HalfEaLi128ELi4ELi4EEvPKT_PvPjiiiiilfff ; -- Begin function _Z49per_token_group_quant_8bit_packed_register_kernelIN3c104HalfEaLi128ELi4ELi4EEvPKT_PvPjiiiiilfff
	.globl	_Z49per_token_group_quant_8bit_packed_register_kernelIN3c104HalfEaLi128ELi4ELi4EEvPKT_PvPjiiiiilfff
	.p2align	8
	.type	_Z49per_token_group_quant_8bit_packed_register_kernelIN3c104HalfEaLi128ELi4ELi4EEvPKT_PvPjiiiiilfff,@function
_Z49per_token_group_quant_8bit_packed_register_kernelIN3c104HalfEaLi128ELi4ELi4EEvPKT_PvPjiiiiilfff: ; @_Z49per_token_group_quant_8bit_packed_register_kernelIN3c104HalfEaLi128ELi4ELi4EEvPKT_PvPjiiiiilfff
; %bb.0:
	s_load_b128 s[4:7], s[0:1], 0x1c
	v_lshrrev_b32_e32 v1, 5, v0
	s_mov_b32 s2, exec_lo
	s_delay_alu instid0(VALU_DEP_1) | instskip(SKIP_1) | instid1(VALU_DEP_1)
	v_lshl_add_u32 v4, s15, 2, v1
	s_waitcnt lgkmcnt(0)
	v_cmpx_gt_i32_e64 s7, v4
	s_cbranch_execz .LBB38_14
; %bb.1:
	s_load_b128 s[8:11], s[0:1], 0x38
	v_lshrrev_b32_e32 v1, 3, v0
	s_lshl_b32 s2, s14, 2
	v_and_b32_e32 v7, 7, v0
	v_ashrrev_i32_e32 v8, 31, v4
                                        ; implicit-def: $vgpr9
                                        ; implicit-def: $vgpr6
                                        ; implicit-def: $vgpr11
                                        ; implicit-def: $vgpr10
                                        ; implicit-def: $vgpr13
                                        ; implicit-def: $vgpr12
                                        ; implicit-def: $vgpr16
                                        ; implicit-def: $vgpr14
                                        ; implicit-def: $vgpr18
                                        ; implicit-def: $vgpr15
                                        ; implicit-def: $vgpr20
                                        ; implicit-def: $vgpr17
                                        ; implicit-def: $vgpr22
                                        ; implicit-def: $vgpr19
                                        ; implicit-def: $vgpr23
                                        ; implicit-def: $vgpr21
	s_delay_alu instid0(VALU_DEP_3) | instskip(SKIP_1) | instid1(VALU_DEP_2)
	v_and_or_b32 v2, v1, 3, s2
	v_cmp_gt_i32_e64 s2, s5, v4
	v_cmp_gt_i32_e64 s3, s4, v2
	v_lshlrev_b32_e32 v5, 7, v2
	s_waitcnt lgkmcnt(0)
	s_delay_alu instid0(VALU_DEP_2)
	s_and_b32 s11, s2, s3
	v_mov_b32_e32 v0, s8
	s_and_saveexec_b32 s5, s11
	s_cbranch_execz .LBB38_3
; %bb.2:
	s_load_b64 s[12:13], s[0:1], 0x0
	v_lshlrev_b32_e32 v3, 8, v4
	v_alignbit_b32 v0, v8, v4, 24
	s_ashr_i32 s14, s4, 31
	v_ashrrev_i32_e32 v6, 31, v5
	s_delay_alu instid0(VALU_DEP_3) | instskip(NEXT) | instid1(VALU_DEP_3)
	v_mul_lo_u32 v11, v3, s14
	v_mul_lo_u32 v12, v0, s4
	s_delay_alu instid0(VALU_DEP_3) | instskip(SKIP_3) | instid1(VALU_DEP_2)
	v_lshlrev_b64 v[9:10], 1, v[5:6]
	s_waitcnt lgkmcnt(0)
	v_mad_u64_u32 v[0:1], null, v3, s4, s[12:13]
	v_lshlrev_b32_e32 v3, 5, v7
	v_add3_u32 v1, v12, v1, v11
	s_delay_alu instid0(VALU_DEP_3) | instskip(NEXT) | instid1(VALU_DEP_2)
	v_add_co_u32 v0, vcc_lo, v0, v9
	v_add_co_ci_u32_e32 v1, vcc_lo, v1, v10, vcc_lo
	s_delay_alu instid0(VALU_DEP_2) | instskip(NEXT) | instid1(VALU_DEP_2)
	v_add_co_u32 v0, vcc_lo, v0, v3
	v_add_co_ci_u32_e32 v1, vcc_lo, 0, v1, vcc_lo
	s_clause 0x1
	global_load_b128 v[9:12], v[0:1], off
	global_load_b128 v[22:25], v[0:1], off offset:16
	s_waitcnt vmcnt(1)
	v_lshrrev_b32_e32 v0, 16, v9
	v_lshrrev_b32_e32 v1, 16, v10
	v_cvt_f32_f16_e64 v6, |v9|
	v_lshrrev_b32_e32 v3, 16, v11
	v_cvt_f32_f16_e64 v15, |v10|
	v_cvt_f32_f16_e64 v14, |v0|
	;; [unrolled: 1-line block ×3, first 2 shown]
	v_lshrrev_b32_e32 v13, 16, v12
	v_cvt_f32_f16_e64 v19, |v3|
	s_waitcnt vmcnt(0)
	v_lshrrev_b32_e32 v16, 16, v22
	v_max3_f32 v6, s8, v6, v14
	v_cvt_f32_f16_e64 v14, |v11|
	v_cvt_f32_f16_e64 v18, |v12|
	v_lshrrev_b32_e32 v26, 16, v23
	v_cvt_f32_f16_e64 v20, |v22|
	v_max3_f32 v6, v6, v15, v17
	v_cvt_f32_f16_e64 v15, |v13|
	v_cvt_f32_f16_e32 v21, v9
	v_cvt_f32_f16_e64 v9, |v16|
	v_lshrrev_b32_e32 v27, 16, v24
	v_max3_f32 v6, v6, v14, v19
	v_cvt_f32_f16_e64 v29, |v23|
	v_cvt_f32_f16_e32 v17, v11
	v_cvt_f32_f16_e64 v11, |v26|
	v_lshrrev_b32_e32 v28, 16, v25
	v_max3_f32 v6, v6, v18, v15
	v_cvt_f32_f16_e64 v30, |v24|
	v_cvt_f32_f16_e64 v18, |v27|
	;; [unrolled: 1-line block ×3, first 2 shown]
	v_cvt_f32_f16_e32 v19, v10
	v_max3_f32 v9, v6, v20, v9
	v_cvt_f32_f16_e32 v15, v12
	v_cvt_f32_f16_e32 v12, v23
	;; [unrolled: 1-line block ×3, first 2 shown]
	v_cvt_f32_f16_e64 v24, |v28|
	v_max3_f32 v9, v9, v29, v11
	v_cvt_f32_f16_e32 v23, v0
	v_cvt_f32_f16_e32 v14, v22
	;; [unrolled: 1-line block ×4, first 2 shown]
	v_max3_f32 v0, v9, v30, v18
	v_cvt_f32_f16_e32 v20, v3
	v_cvt_f32_f16_e32 v18, v13
	;; [unrolled: 1-line block ×5, first 2 shown]
	v_max3_f32 v0, v0, v31, v24
	v_cvt_f32_f16_e32 v9, v28
.LBB38_3:
	s_or_b32 exec_lo, exec_lo, s5
	v_mbcnt_lo_u32_b32 v1, -1, 0
	s_xor_b32 s8, s11, -1
	s_mov_b32 s5, 0
	s_mov_b32 s12, exec_lo
	s_delay_alu instid0(VALU_DEP_1) | instskip(SKIP_2) | instid1(VALU_DEP_2)
	v_xor_b32_e32 v24, 4, v1
	v_and_b32_e32 v3, 24, v1
	v_xor_b32_e32 v25, 2, v1
	v_add_nc_u32_e32 v3, 8, v3
	s_delay_alu instid0(VALU_DEP_1) | instskip(SKIP_1) | instid1(VALU_DEP_1)
	v_cmp_lt_i32_e32 vcc_lo, v24, v3
	v_cndmask_b32_e32 v24, v1, v24, vcc_lo
	v_lshlrev_b32_e32 v24, 2, v24
	ds_bpermute_b32 v24, v24, v0
	v_max_f32_e32 v0, v0, v0
	v_cmp_lt_i32_e32 vcc_lo, v25, v3
	v_cndmask_b32_e32 v25, v1, v25, vcc_lo
	s_waitcnt lgkmcnt(0)
	s_delay_alu instid0(VALU_DEP_1) | instskip(NEXT) | instid1(VALU_DEP_1)
	v_dual_max_f32 v24, v24, v24 :: v_dual_lshlrev_b32 v25, 2, v25
	v_max_f32_e32 v0, v0, v24
	ds_bpermute_b32 v24, v25, v0
	v_xor_b32_e32 v25, 1, v1
	s_delay_alu instid0(VALU_DEP_1) | instskip(SKIP_3) | instid1(VALU_DEP_1)
	v_cmp_lt_i32_e32 vcc_lo, v25, v3
	v_cndmask_b32_e32 v1, v1, v25, vcc_lo
	s_waitcnt lgkmcnt(0)
	v_max_f32_e32 v3, v24, v24
	v_dual_max_f32 v0, v0, v3 :: v_dual_lshlrev_b32 v1, 2, v1
	ds_bpermute_b32 v1, v1, v0
	s_waitcnt lgkmcnt(0)
	v_max_f32_e32 v1, v1, v1
	s_delay_alu instid0(VALU_DEP_1) | instskip(NEXT) | instid1(VALU_DEP_1)
	v_max_f32_e32 v0, v0, v1
	v_div_scale_f32 v1, null, s10, s10, v0
	v_div_scale_f32 v25, vcc_lo, v0, s10, v0
	s_delay_alu instid0(VALU_DEP_2) | instskip(SKIP_2) | instid1(VALU_DEP_1)
	v_rcp_f32_e32 v3, v1
	s_waitcnt_depctr 0xfff
	v_fma_f32 v24, -v1, v3, 1.0
	v_fmac_f32_e32 v3, v24, v3
	s_delay_alu instid0(VALU_DEP_1) | instskip(NEXT) | instid1(VALU_DEP_1)
	v_mul_f32_e32 v24, v25, v3
	v_fma_f32 v26, -v1, v24, v25
	s_delay_alu instid0(VALU_DEP_1) | instskip(NEXT) | instid1(VALU_DEP_1)
	v_fmac_f32_e32 v24, v26, v3
	v_fma_f32 v1, -v1, v24, v25
	s_delay_alu instid0(VALU_DEP_1) | instskip(NEXT) | instid1(VALU_DEP_1)
	v_div_fmas_f32 v1, v1, v3, v24
	v_div_fixup_f32 v0, v1, s10, v0
	s_delay_alu instid0(VALU_DEP_1) | instskip(NEXT) | instid1(VALU_DEP_1)
	v_max_f32_e32 v0, 0x2edbe6ff, v0
	v_and_b32_e32 v1, 0x7fffff, v0
	v_lshrrev_b32_e32 v0, 23, v0
	s_delay_alu instid0(VALU_DEP_2) | instskip(NEXT) | instid1(VALU_DEP_2)
	v_cmp_ne_u32_e32 vcc_lo, 0, v1
	v_add_co_ci_u32_e32 v24, vcc_lo, 0, v0, vcc_lo
	v_cmpx_eq_u32_e32 0, v7
	s_cbranch_execz .LBB38_8
; %bb.4:
	v_ashrrev_i32_e32 v0, 31, v2
	s_delay_alu instid0(VALU_DEP_1) | instskip(NEXT) | instid1(VALU_DEP_1)
	v_lshrrev_b32_e32 v0, 30, v0
	v_add_nc_u32_e32 v0, v2, v0
	s_delay_alu instid0(VALU_DEP_1) | instskip(NEXT) | instid1(VALU_DEP_1)
	v_ashrrev_i32_e32 v3, 2, v0
	v_mad_u64_u32 v[0:1], null, v3, s7, v[4:5]
	v_mov_b32_e32 v1, v24
	s_and_saveexec_b32 s7, s8
	s_cbranch_execz .LBB38_6
; %bb.5:
	s_load_b64 s[14:15], s[0:1], 0x30
	s_delay_alu instid0(VALU_DEP_2) | instskip(SKIP_2) | instid1(VALU_DEP_1)
	v_ashrrev_i32_e32 v1, 31, v0
	s_and_not1_b32 s11, s11, exec_lo
	s_waitcnt lgkmcnt(0)
	v_cmp_gt_i64_e32 vcc_lo, s[14:15], v[0:1]
	v_mov_b32_e32 v1, 0
	s_and_b32 s13, vcc_lo, exec_lo
	s_delay_alu instid0(SALU_CYCLE_1)
	s_or_b32 s11, s11, s13
.LBB38_6:
	s_or_b32 exec_lo, exec_lo, s7
	s_delay_alu instid0(SALU_CYCLE_1)
	s_and_b32 exec_lo, exec_lo, s11
	s_cbranch_execz .LBB38_8
; %bb.7:
	s_load_b64 s[14:15], s[0:1], 0x10
	v_lshlrev_b32_e32 v3, 2, v3
	s_delay_alu instid0(VALU_DEP_1) | instskip(NEXT) | instid1(VALU_DEP_1)
	v_sub_nc_u32_e32 v2, v2, v3
	v_lshl_add_u32 v0, v0, 2, v2
	s_delay_alu instid0(VALU_DEP_1) | instskip(SKIP_2) | instid1(VALU_DEP_2)
	v_ashrrev_i32_e32 v3, 31, v0
	s_waitcnt lgkmcnt(0)
	v_add_co_u32 v2, vcc_lo, s14, v0
	v_add_co_ci_u32_e32 v3, vcc_lo, s15, v3, vcc_lo
	global_store_b8 v[2:3], v1, off
.LBB38_8:
	s_or_b32 exec_lo, exec_lo, s12
                                        ; implicit-def: $sgpr7
	s_and_saveexec_b32 s11, s8
	s_delay_alu instid0(SALU_CYCLE_1)
	s_xor_b32 s8, exec_lo, s11
; %bb.9:
	v_cmp_gt_i32_e32 vcc_lo, s6, v4
	s_xor_b32 s2, s2, -1
	s_mov_b32 s7, 0
                                        ; implicit-def: $vgpr9
                                        ; implicit-def: $vgpr6
                                        ; implicit-def: $vgpr11
                                        ; implicit-def: $vgpr10
                                        ; implicit-def: $vgpr13
                                        ; implicit-def: $vgpr12
                                        ; implicit-def: $vgpr16
                                        ; implicit-def: $vgpr14
                                        ; implicit-def: $vgpr18
                                        ; implicit-def: $vgpr15
                                        ; implicit-def: $vgpr20
                                        ; implicit-def: $vgpr17
                                        ; implicit-def: $vgpr22
                                        ; implicit-def: $vgpr19
                                        ; implicit-def: $vgpr23
                                        ; implicit-def: $vgpr21
                                        ; implicit-def: $vgpr24
	s_and_b32 s2, vcc_lo, s2
	s_delay_alu instid0(SALU_CYCLE_1) | instskip(NEXT) | instid1(SALU_CYCLE_1)
	s_and_b32 s2, s3, s2
	s_and_b32 s5, s2, exec_lo
; %bb.10:
	s_or_saveexec_b32 s2, s8
	v_dual_mov_b32 v3, s7 :: v_dual_mov_b32 v2, s7
	v_dual_mov_b32 v1, s7 :: v_dual_mov_b32 v0, s7
	s_xor_b32 exec_lo, exec_lo, s2
	s_cbranch_execz .LBB38_12
; %bb.11:
	v_lshlrev_b32_e32 v0, 23, v24
	s_or_b32 s5, s5, exec_lo
	s_delay_alu instid0(VALU_DEP_1) | instskip(NEXT) | instid1(VALU_DEP_1)
	v_and_b32_e32 v0, 0x7f800000, v0
	v_div_scale_f32 v1, null, v0, v0, 1.0
	v_div_scale_f32 v24, vcc_lo, 1.0, v0, 1.0
	s_delay_alu instid0(VALU_DEP_2) | instskip(SKIP_2) | instid1(VALU_DEP_1)
	v_rcp_f32_e32 v2, v1
	s_waitcnt_depctr 0xfff
	v_fma_f32 v3, -v1, v2, 1.0
	v_fmac_f32_e32 v2, v3, v2
	s_delay_alu instid0(VALU_DEP_1) | instskip(NEXT) | instid1(VALU_DEP_1)
	v_mul_f32_e32 v3, v24, v2
	v_fma_f32 v25, -v1, v3, v24
	s_delay_alu instid0(VALU_DEP_1) | instskip(NEXT) | instid1(VALU_DEP_1)
	v_fmac_f32_e32 v3, v25, v2
	v_fma_f32 v1, -v1, v3, v24
	s_delay_alu instid0(VALU_DEP_1) | instskip(SKIP_1) | instid1(VALU_DEP_2)
	v_div_fmas_f32 v1, v1, v2, v3
	v_max_f32_e64 v2, s10, s10
	v_div_fixup_f32 v0, v1, v0, 1.0
	v_max_f32_e64 v1, s9, s9
	s_delay_alu instid0(VALU_DEP_2)
	v_mul_f32_e32 v3, v0, v21
	v_mul_f32_e32 v6, v0, v6
	;; [unrolled: 1-line block ×6, first 2 shown]
	v_maxmin_f32 v6, v6, v1, v2
	v_maxmin_f32 v16, v16, v1, v2
	v_mul_f32_e32 v20, v0, v20
	v_maxmin_f32 v12, v12, v1, v2
	v_maxmin_f32 v11, v11, v1, v2
	v_cvt_i32_f32_e32 v6, v6
	v_mul_f32_e32 v15, v0, v15
	v_cvt_i32_f32_e32 v16, v16
	v_mul_f32_e32 v19, v0, v19
	v_mul_f32_e32 v22, v0, v22
	v_and_b32_e32 v6, 0xff, v6
	v_maxmin_f32 v15, v15, v1, v2
	v_mul_f32_e32 v13, v0, v13
	v_mul_f32_e32 v10, v0, v10
	v_maxmin_f32 v3, v3, v1, v2
	v_maxmin_f32 v20, v20, v1, v2
	v_cvt_i32_f32_e32 v15, v15
	v_mul_f32_e32 v18, v0, v18
	v_cvt_i32_f32_e32 v12, v12
	v_mul_f32_e32 v17, v0, v17
	;; [unrolled: 2-line block ×3, first 2 shown]
	v_mul_f32_e32 v0, v0, v9
	v_maxmin_f32 v9, v21, v1, v2
	v_and_b32_e32 v16, 0xff, v16
	v_and_b32_e32 v11, 0xff, v11
	v_maxmin_f32 v19, v19, v1, v2
	v_maxmin_f32 v21, v22, v1, v2
	;; [unrolled: 1-line block ×6, first 2 shown]
	v_and_b32_e32 v15, 0xff, v15
	v_maxmin_f32 v18, v18, v1, v2
	v_and_b32_e32 v12, 0xff, v12
	v_maxmin_f32 v17, v17, v1, v2
	v_cvt_i32_f32_e32 v1, v3
	v_cvt_i32_f32_e32 v2, v9
	;; [unrolled: 1-line block ×7, first 2 shown]
	v_and_b32_e32 v2, 0xff, v2
	v_and_b32_e32 v19, 0xff, v19
	;; [unrolled: 1-line block ×3, first 2 shown]
	v_perm_b32 v14, v16, v14, 0x6050400
	v_perm_b32 v10, v11, v10, 0x6050400
	;; [unrolled: 1-line block ×4, first 2 shown]
	v_cvt_i32_f32_e32 v9, v21
	v_cvt_i32_f32_e32 v18, v18
	;; [unrolled: 1-line block ×4, first 2 shown]
	v_lshl_or_b32 v0, v3, 16, v1
	v_lshl_or_b32 v1, v15, 16, v2
	;; [unrolled: 1-line block ×4, first 2 shown]
	s_delay_alu instid0(VALU_DEP_4) | instskip(NEXT) | instid1(VALU_DEP_4)
	v_lshl_or_b32 v0, v9, 24, v0
	v_lshl_or_b32 v1, v18, 24, v1
	s_delay_alu instid0(VALU_DEP_4) | instskip(NEXT) | instid1(VALU_DEP_4)
	v_lshl_or_b32 v2, v13, 24, v2
	v_lshl_or_b32 v3, v11, 24, v3
.LBB38_12:
	s_or_b32 exec_lo, exec_lo, s2
	s_delay_alu instid0(SALU_CYCLE_1)
	s_and_b32 exec_lo, exec_lo, s5
	s_cbranch_execz .LBB38_14
; %bb.13:
	s_load_b64 s[0:1], s[0:1], 0x8
	v_lshlrev_b32_e32 v6, 7, v4
	v_alignbit_b32 v4, v8, v4, 25
	s_ashr_i32 s2, s4, 31
	v_lshlrev_b32_e32 v7, 4, v7
	s_delay_alu instid0(VALU_DEP_3) | instskip(NEXT) | instid1(VALU_DEP_3)
	v_mul_lo_u32 v10, v6, s2
	v_mul_lo_u32 v4, v4, s4
	s_waitcnt lgkmcnt(0)
	v_mad_u64_u32 v[8:9], null, v6, s4, s[0:1]
	v_ashrrev_i32_e32 v6, 31, v5
	s_delay_alu instid0(VALU_DEP_2) | instskip(NEXT) | instid1(VALU_DEP_3)
	v_add3_u32 v4, v4, v9, v10
	v_add_co_u32 v5, vcc_lo, v8, v5
	s_delay_alu instid0(VALU_DEP_2) | instskip(NEXT) | instid1(VALU_DEP_2)
	v_add_co_ci_u32_e32 v6, vcc_lo, v4, v6, vcc_lo
	v_add_co_u32 v4, vcc_lo, v5, v7
	s_delay_alu instid0(VALU_DEP_2)
	v_add_co_ci_u32_e32 v5, vcc_lo, 0, v6, vcc_lo
	global_store_b128 v[4:5], v[0:3], off
.LBB38_14:
	s_nop 0
	s_sendmsg sendmsg(MSG_DEALLOC_VGPRS)
	s_endpgm
	.section	.rodata,"a",@progbits
	.p2align	6, 0x0
	.amdhsa_kernel _Z49per_token_group_quant_8bit_packed_register_kernelIN3c104HalfEaLi128ELi4ELi4EEvPKT_PvPjiiiiilfff
		.amdhsa_group_segment_fixed_size 0
		.amdhsa_private_segment_fixed_size 0
		.amdhsa_kernarg_size 68
		.amdhsa_user_sgpr_count 14
		.amdhsa_user_sgpr_dispatch_ptr 0
		.amdhsa_user_sgpr_queue_ptr 0
		.amdhsa_user_sgpr_kernarg_segment_ptr 1
		.amdhsa_user_sgpr_dispatch_id 0
		.amdhsa_user_sgpr_private_segment_size 0
		.amdhsa_wavefront_size32 1
		.amdhsa_uses_dynamic_stack 0
		.amdhsa_enable_private_segment 0
		.amdhsa_system_sgpr_workgroup_id_x 1
		.amdhsa_system_sgpr_workgroup_id_y 1
		.amdhsa_system_sgpr_workgroup_id_z 0
		.amdhsa_system_sgpr_workgroup_info 0
		.amdhsa_system_vgpr_workitem_id 0
		.amdhsa_next_free_vgpr 32
		.amdhsa_next_free_sgpr 16
		.amdhsa_reserve_vcc 1
		.amdhsa_float_round_mode_32 0
		.amdhsa_float_round_mode_16_64 0
		.amdhsa_float_denorm_mode_32 3
		.amdhsa_float_denorm_mode_16_64 3
		.amdhsa_dx10_clamp 1
		.amdhsa_ieee_mode 1
		.amdhsa_fp16_overflow 0
		.amdhsa_workgroup_processor_mode 1
		.amdhsa_memory_ordered 1
		.amdhsa_forward_progress 0
		.amdhsa_shared_vgpr_count 0
		.amdhsa_exception_fp_ieee_invalid_op 0
		.amdhsa_exception_fp_denorm_src 0
		.amdhsa_exception_fp_ieee_div_zero 0
		.amdhsa_exception_fp_ieee_overflow 0
		.amdhsa_exception_fp_ieee_underflow 0
		.amdhsa_exception_fp_ieee_inexact 0
		.amdhsa_exception_int_div_zero 0
	.end_amdhsa_kernel
	.section	.text._Z49per_token_group_quant_8bit_packed_register_kernelIN3c104HalfEaLi128ELi4ELi4EEvPKT_PvPjiiiiilfff,"axG",@progbits,_Z49per_token_group_quant_8bit_packed_register_kernelIN3c104HalfEaLi128ELi4ELi4EEvPKT_PvPjiiiiilfff,comdat
.Lfunc_end38:
	.size	_Z49per_token_group_quant_8bit_packed_register_kernelIN3c104HalfEaLi128ELi4ELi4EEvPKT_PvPjiiiiilfff, .Lfunc_end38-_Z49per_token_group_quant_8bit_packed_register_kernelIN3c104HalfEaLi128ELi4ELi4EEvPKT_PvPjiiiiilfff
                                        ; -- End function
	.section	.AMDGPU.csdata,"",@progbits
; Kernel info:
; codeLenInByte = 1808
; NumSgprs: 18
; NumVgprs: 32
; ScratchSize: 0
; MemoryBound: 0
; FloatMode: 240
; IeeeMode: 1
; LDSByteSize: 0 bytes/workgroup (compile time only)
; SGPRBlocks: 2
; VGPRBlocks: 3
; NumSGPRsForWavesPerEU: 18
; NumVGPRsForWavesPerEU: 32
; Occupancy: 16
; WaveLimiterHint : 0
; COMPUTE_PGM_RSRC2:SCRATCH_EN: 0
; COMPUTE_PGM_RSRC2:USER_SGPR: 14
; COMPUTE_PGM_RSRC2:TRAP_HANDLER: 0
; COMPUTE_PGM_RSRC2:TGID_X_EN: 1
; COMPUTE_PGM_RSRC2:TGID_Y_EN: 1
; COMPUTE_PGM_RSRC2:TGID_Z_EN: 0
; COMPUTE_PGM_RSRC2:TIDIG_COMP_CNT: 0
	.section	.text._Z49per_token_group_quant_8bit_packed_register_kernelIN3c104HalfENS0_13Float8_e4m3fnELi128ELi16ELi1EEvPKT_PvPjiiiiilfff,"axG",@progbits,_Z49per_token_group_quant_8bit_packed_register_kernelIN3c104HalfENS0_13Float8_e4m3fnELi128ELi16ELi1EEvPKT_PvPjiiiiilfff,comdat
	.protected	_Z49per_token_group_quant_8bit_packed_register_kernelIN3c104HalfENS0_13Float8_e4m3fnELi128ELi16ELi1EEvPKT_PvPjiiiiilfff ; -- Begin function _Z49per_token_group_quant_8bit_packed_register_kernelIN3c104HalfENS0_13Float8_e4m3fnELi128ELi16ELi1EEvPKT_PvPjiiiiilfff
	.globl	_Z49per_token_group_quant_8bit_packed_register_kernelIN3c104HalfENS0_13Float8_e4m3fnELi128ELi16ELi1EEvPKT_PvPjiiiiilfff
	.p2align	8
	.type	_Z49per_token_group_quant_8bit_packed_register_kernelIN3c104HalfENS0_13Float8_e4m3fnELi128ELi16ELi1EEvPKT_PvPjiiiiilfff,@function
_Z49per_token_group_quant_8bit_packed_register_kernelIN3c104HalfENS0_13Float8_e4m3fnELi128ELi16ELi1EEvPKT_PvPjiiiiilfff: ; @_Z49per_token_group_quant_8bit_packed_register_kernelIN3c104HalfENS0_13Float8_e4m3fnELi128ELi16ELi1EEvPKT_PvPjiiiiilfff
; %bb.0:
	s_load_b128 s[4:7], s[0:1], 0x1c
	v_lshrrev_b32_e32 v1, 7, v0
	s_mov_b32 s2, exec_lo
	s_delay_alu instid0(VALU_DEP_1) | instskip(SKIP_1) | instid1(VALU_DEP_1)
	v_add_nc_u32_e32 v12, s15, v1
	s_waitcnt lgkmcnt(0)
	v_cmpx_gt_i32_e64 s7, v12
	s_cbranch_execz .LBB39_110
; %bb.1:
	s_load_b128 s[8:11], s[0:1], 0x38
	v_lshrrev_b32_e32 v1, 3, v0
	s_lshl_b32 s2, s14, 4
	v_and_b32_e32 v15, 7, v0
	v_ashrrev_i32_e32 v16, 31, v12
                                        ; implicit-def: $vgpr14
                                        ; implicit-def: $vgpr3
                                        ; implicit-def: $vgpr17
                                        ; implicit-def: $vgpr18
                                        ; implicit-def: $vgpr19
                                        ; implicit-def: $vgpr25
                                        ; implicit-def: $vgpr7
                                        ; implicit-def: $vgpr28
                                        ; implicit-def: $vgpr24
                                        ; implicit-def: $vgpr20
	s_delay_alu instid0(VALU_DEP_3) | instskip(SKIP_1) | instid1(VALU_DEP_2)
	v_and_or_b32 v10, v1, 15, s2
	v_cmp_gt_i32_e64 s2, s5, v12
	v_cmp_gt_i32_e64 s3, s4, v10
	v_lshlrev_b32_e32 v13, 7, v10
	s_waitcnt lgkmcnt(0)
	s_delay_alu instid0(VALU_DEP_2)
	s_and_b32 s11, s2, s3
	v_mov_b32_e32 v8, s8
	s_and_saveexec_b32 s5, s11
	s_cbranch_execz .LBB39_3
; %bb.2:
	s_load_b64 s[12:13], s[0:1], 0x0
	v_lshlrev_b32_e32 v2, 8, v12
	v_alignbit_b32 v0, v16, v12, 24
	s_ashr_i32 s14, s4, 31
	v_ashrrev_i32_e32 v14, 31, v13
	s_delay_alu instid0(VALU_DEP_3) | instskip(NEXT) | instid1(VALU_DEP_3)
	v_mul_lo_u32 v4, v2, s14
	v_mul_lo_u32 v5, v0, s4
	s_waitcnt lgkmcnt(0)
	v_mad_u64_u32 v[0:1], null, v2, s4, s[12:13]
	v_lshlrev_b64 v[2:3], 1, v[13:14]
	s_delay_alu instid0(VALU_DEP_2) | instskip(SKIP_1) | instid1(VALU_DEP_3)
	v_add3_u32 v1, v5, v1, v4
	v_lshlrev_b32_e32 v4, 5, v15
	v_add_co_u32 v0, vcc_lo, v0, v2
	s_delay_alu instid0(VALU_DEP_3) | instskip(NEXT) | instid1(VALU_DEP_2)
	v_add_co_ci_u32_e32 v1, vcc_lo, v1, v3, vcc_lo
	v_add_co_u32 v0, vcc_lo, v0, v4
	s_delay_alu instid0(VALU_DEP_2)
	v_add_co_ci_u32_e32 v1, vcc_lo, 0, v1, vcc_lo
	s_clause 0x1
	global_load_b128 v[4:7], v[0:1], off
	global_load_b128 v[0:3], v[0:1], off offset:16
	s_waitcnt vmcnt(1)
	v_lshrrev_b32_e32 v20, 16, v4
	v_lshrrev_b32_e32 v24, 16, v5
	v_cvt_f32_f16_e64 v8, |v4|
	v_lshrrev_b32_e32 v28, 16, v6
	v_cvt_f32_f16_e64 v11, |v5|
	v_cvt_f32_f16_e64 v9, |v20|
	;; [unrolled: 1-line block ×3, first 2 shown]
	v_lshrrev_b32_e32 v25, 16, v7
	v_cvt_f32_f16_e64 v17, |v28|
	s_waitcnt vmcnt(0)
	v_lshrrev_b32_e32 v19, 16, v0
	v_max3_f32 v8, s8, v8, v9
	v_cvt_f32_f16_e64 v9, |v6|
	v_lshrrev_b32_e32 v18, 16, v1
	s_delay_alu instid0(VALU_DEP_4) | instskip(NEXT) | instid1(VALU_DEP_4)
	v_cvt_f32_f16_e64 v21, |v19|
	v_max3_f32 v8, v8, v11, v14
	v_cvt_f32_f16_e64 v11, |v7|
	v_cvt_f32_f16_e64 v14, |v25|
	s_delay_alu instid0(VALU_DEP_3) | instskip(SKIP_2) | instid1(VALU_DEP_3)
	v_max3_f32 v8, v8, v9, v17
	v_cvt_f32_f16_e64 v9, |v0|
	v_lshrrev_b32_e32 v17, 16, v2
	v_max3_f32 v8, v8, v11, v14
	v_cvt_f32_f16_e64 v11, |v1|
	v_cvt_f32_f16_e64 v14, |v18|
	s_delay_alu instid0(VALU_DEP_3) | instskip(SKIP_2) | instid1(VALU_DEP_3)
	v_max3_f32 v8, v8, v9, v21
	v_cvt_f32_f16_e64 v9, |v2|
	v_cvt_f32_f16_e64 v21, |v17|
	v_max3_f32 v8, v8, v11, v14
	v_lshrrev_b32_e32 v14, 16, v3
	v_cvt_f32_f16_e64 v11, |v3|
	s_delay_alu instid0(VALU_DEP_3) | instskip(NEXT) | instid1(VALU_DEP_3)
	v_max3_f32 v8, v8, v9, v21
	v_cvt_f32_f16_e64 v9, |v14|
	s_delay_alu instid0(VALU_DEP_1)
	v_max3_f32 v8, v8, v11, v9
.LBB39_3:
	s_or_b32 exec_lo, exec_lo, s5
	v_mbcnt_lo_u32_b32 v9, -1, 0
	s_xor_b32 s8, s11, -1
	s_mov_b32 s5, 0
	s_mov_b32 s12, exec_lo
	s_delay_alu instid0(VALU_DEP_1) | instskip(SKIP_2) | instid1(VALU_DEP_3)
	v_and_b32_e32 v11, 24, v9
	v_xor_b32_e32 v21, 4, v9
	v_xor_b32_e32 v22, 2, v9
	v_add_nc_u32_e32 v11, 8, v11
	s_delay_alu instid0(VALU_DEP_1) | instskip(SKIP_1) | instid1(VALU_DEP_4)
	v_cmp_lt_i32_e32 vcc_lo, v21, v11
	v_cndmask_b32_e32 v21, v9, v21, vcc_lo
	v_cmp_lt_i32_e32 vcc_lo, v22, v11
	v_cndmask_b32_e32 v22, v9, v22, vcc_lo
	s_delay_alu instid0(VALU_DEP_1) | instskip(NEXT) | instid1(VALU_DEP_4)
	v_lshlrev_b32_e32 v22, 2, v22
	v_lshlrev_b32_e32 v21, 2, v21
	ds_bpermute_b32 v21, v21, v8
	s_waitcnt lgkmcnt(0)
	v_dual_max_f32 v8, v8, v8 :: v_dual_max_f32 v21, v21, v21
	s_delay_alu instid0(VALU_DEP_1) | instskip(SKIP_2) | instid1(VALU_DEP_1)
	v_max_f32_e32 v8, v8, v21
	ds_bpermute_b32 v21, v22, v8
	v_xor_b32_e32 v22, 1, v9
	v_cmp_lt_i32_e32 vcc_lo, v22, v11
	v_cndmask_b32_e32 v9, v9, v22, vcc_lo
	s_delay_alu instid0(VALU_DEP_1) | instskip(SKIP_2) | instid1(VALU_DEP_1)
	v_lshlrev_b32_e32 v9, 2, v9
	s_waitcnt lgkmcnt(0)
	v_max_f32_e32 v11, v21, v21
	v_max_f32_e32 v8, v8, v11
	ds_bpermute_b32 v9, v9, v8
	s_waitcnt lgkmcnt(0)
	v_max_f32_e32 v9, v9, v9
	s_delay_alu instid0(VALU_DEP_1) | instskip(NEXT) | instid1(VALU_DEP_1)
	v_max_f32_e32 v8, v8, v9
	v_div_scale_f32 v9, null, s10, s10, v8
	s_delay_alu instid0(VALU_DEP_1) | instskip(SKIP_2) | instid1(VALU_DEP_1)
	v_rcp_f32_e32 v11, v9
	s_waitcnt_depctr 0xfff
	v_fma_f32 v21, -v9, v11, 1.0
	v_fmac_f32_e32 v11, v21, v11
	v_div_scale_f32 v22, vcc_lo, v8, s10, v8
	s_delay_alu instid0(VALU_DEP_1) | instskip(NEXT) | instid1(VALU_DEP_1)
	v_mul_f32_e32 v21, v22, v11
	v_fma_f32 v23, -v9, v21, v22
	s_delay_alu instid0(VALU_DEP_1) | instskip(NEXT) | instid1(VALU_DEP_1)
	v_fmac_f32_e32 v21, v23, v11
	v_fma_f32 v9, -v9, v21, v22
	s_delay_alu instid0(VALU_DEP_1) | instskip(NEXT) | instid1(VALU_DEP_1)
	v_div_fmas_f32 v9, v9, v11, v21
	v_div_fixup_f32 v8, v9, s10, v8
	s_delay_alu instid0(VALU_DEP_1) | instskip(NEXT) | instid1(VALU_DEP_1)
	v_max_f32_e32 v8, 0x2edbe6ff, v8
	v_and_b32_e32 v9, 0x7fffff, v8
	v_lshrrev_b32_e32 v8, 23, v8
	s_delay_alu instid0(VALU_DEP_2) | instskip(NEXT) | instid1(VALU_DEP_2)
	v_cmp_ne_u32_e32 vcc_lo, 0, v9
	v_add_co_ci_u32_e32 v21, vcc_lo, 0, v8, vcc_lo
	v_cmpx_eq_u32_e32 0, v15
	s_cbranch_execz .LBB39_8
; %bb.4:
	v_ashrrev_i32_e32 v8, 31, v10
	s_delay_alu instid0(VALU_DEP_1) | instskip(NEXT) | instid1(VALU_DEP_1)
	v_lshrrev_b32_e32 v8, 30, v8
	v_add_nc_u32_e32 v8, v10, v8
	s_delay_alu instid0(VALU_DEP_1) | instskip(NEXT) | instid1(VALU_DEP_1)
	v_ashrrev_i32_e32 v11, 2, v8
	v_mad_u64_u32 v[8:9], null, v11, s7, v[12:13]
	v_mov_b32_e32 v9, v21
	s_and_saveexec_b32 s7, s8
	s_cbranch_execz .LBB39_6
; %bb.5:
	s_load_b64 s[14:15], s[0:1], 0x30
	s_delay_alu instid0(VALU_DEP_2) | instskip(SKIP_2) | instid1(VALU_DEP_1)
	v_ashrrev_i32_e32 v9, 31, v8
	s_and_not1_b32 s11, s11, exec_lo
	s_waitcnt lgkmcnt(0)
	v_cmp_gt_i64_e32 vcc_lo, s[14:15], v[8:9]
	v_mov_b32_e32 v9, 0
	s_and_b32 s13, vcc_lo, exec_lo
	s_delay_alu instid0(SALU_CYCLE_1)
	s_or_b32 s11, s11, s13
.LBB39_6:
	s_or_b32 exec_lo, exec_lo, s7
	s_delay_alu instid0(SALU_CYCLE_1)
	s_and_b32 exec_lo, exec_lo, s11
	s_cbranch_execz .LBB39_8
; %bb.7:
	s_load_b64 s[14:15], s[0:1], 0x10
	v_lshlrev_b32_e32 v11, 2, v11
	s_delay_alu instid0(VALU_DEP_1) | instskip(NEXT) | instid1(VALU_DEP_1)
	v_sub_nc_u32_e32 v10, v10, v11
	v_lshl_add_u32 v8, v8, 2, v10
	s_delay_alu instid0(VALU_DEP_1) | instskip(SKIP_2) | instid1(VALU_DEP_2)
	v_ashrrev_i32_e32 v11, 31, v8
	s_waitcnt lgkmcnt(0)
	v_add_co_u32 v10, vcc_lo, s14, v8
	v_add_co_ci_u32_e32 v11, vcc_lo, s15, v11, vcc_lo
	global_store_b8 v[10:11], v9, off
.LBB39_8:
	s_or_b32 exec_lo, exec_lo, s12
                                        ; implicit-def: $sgpr7
	s_and_saveexec_b32 s11, s8
	s_delay_alu instid0(SALU_CYCLE_1)
	s_xor_b32 s8, exec_lo, s11
; %bb.9:
	v_cmp_gt_i32_e32 vcc_lo, s6, v12
	s_xor_b32 s2, s2, -1
	s_mov_b32 s7, 0
                                        ; implicit-def: $vgpr14
                                        ; implicit-def: $vgpr3
                                        ; implicit-def: $vgpr17
                                        ; implicit-def: $vgpr18
                                        ; implicit-def: $vgpr19
                                        ; implicit-def: $vgpr25
                                        ; implicit-def: $vgpr7
                                        ; implicit-def: $vgpr28
                                        ; implicit-def: $vgpr24
                                        ; implicit-def: $vgpr20
                                        ; implicit-def: $vgpr21
	s_and_b32 s2, vcc_lo, s2
	s_delay_alu instid0(SALU_CYCLE_1) | instskip(NEXT) | instid1(SALU_CYCLE_1)
	s_and_b32 s2, s3, s2
	s_and_b32 s5, s2, exec_lo
; %bb.10:
	s_or_saveexec_b32 s2, s8
	v_dual_mov_b32 v11, s7 :: v_dual_mov_b32 v10, s7
	v_dual_mov_b32 v9, s7 :: v_dual_mov_b32 v8, s7
	s_xor_b32 exec_lo, exec_lo, s2
	s_cbranch_execz .LBB39_108
; %bb.11:
	v_lshlrev_b32_e32 v8, 23, v21
	v_cvt_f32_f16_e32 v4, v4
	v_max_f32_e64 v23, s10, s10
	s_mov_b32 s3, exec_lo
	s_delay_alu instid0(VALU_DEP_3) | instskip(NEXT) | instid1(VALU_DEP_1)
	v_and_b32_e32 v8, 0x7f800000, v8
	v_div_scale_f32 v9, null, v8, v8, 1.0
	v_div_scale_f32 v21, vcc_lo, 1.0, v8, 1.0
	s_delay_alu instid0(VALU_DEP_2) | instskip(SKIP_2) | instid1(VALU_DEP_1)
	v_rcp_f32_e32 v10, v9
	s_waitcnt_depctr 0xfff
	v_fma_f32 v11, -v9, v10, 1.0
	v_fmac_f32_e32 v10, v11, v10
	s_delay_alu instid0(VALU_DEP_1) | instskip(NEXT) | instid1(VALU_DEP_1)
	v_mul_f32_e32 v11, v21, v10
	v_fma_f32 v22, -v9, v11, v21
	s_delay_alu instid0(VALU_DEP_1) | instskip(SKIP_1) | instid1(VALU_DEP_2)
	v_fmac_f32_e32 v11, v22, v10
	v_max_f32_e64 v22, s9, s9
	v_fma_f32 v9, -v9, v11, v21
	s_delay_alu instid0(VALU_DEP_1) | instskip(NEXT) | instid1(VALU_DEP_1)
	v_div_fmas_f32 v9, v9, v10, v11
	v_div_fixup_f32 v21, v9, v8, 1.0
	v_mov_b32_e32 v8, 0x7f
	s_delay_alu instid0(VALU_DEP_2) | instskip(NEXT) | instid1(VALU_DEP_1)
	v_mul_f32_e32 v4, v21, v4
	v_maxmin_f32 v9, v4, v22, v23
	v_mov_b32_e32 v4, 0x7f
	s_delay_alu instid0(VALU_DEP_2) | instskip(NEXT) | instid1(VALU_DEP_1)
	v_and_b32_e32 v10, 0x7fffffff, v9
	v_cmpx_gt_u32_e32 0x43f00000, v10
	s_cbranch_execz .LBB39_17
; %bb.12:
	s_mov_b32 s6, exec_lo
                                        ; implicit-def: $vgpr8
	v_cmpx_lt_u32_e32 0x3c7fffff, v10
	s_xor_b32 s6, exec_lo, s6
; %bb.13:
	v_bfe_u32 v8, v9, 20, 1
	s_delay_alu instid0(VALU_DEP_1) | instskip(NEXT) | instid1(VALU_DEP_1)
	v_add3_u32 v8, v9, v8, 0x407ffff
	v_lshrrev_b32_e32 v8, 20, v8
; %bb.14:
	s_and_not1_saveexec_b32 s6, s6
; %bb.15:
	v_add_f32_e64 v8, 0x46800000, |v9|
; %bb.16:
	s_or_b32 exec_lo, exec_lo, s6
.LBB39_17:
	s_delay_alu instid0(SALU_CYCLE_1) | instskip(SKIP_2) | instid1(VALU_DEP_1)
	s_or_b32 exec_lo, exec_lo, s3
	v_cvt_f32_f16_e32 v10, v20
	s_mov_b32 s3, exec_lo
	v_mul_f32_e32 v10, v21, v10
	s_delay_alu instid0(VALU_DEP_1) | instskip(NEXT) | instid1(VALU_DEP_1)
	v_maxmin_f32 v10, v10, v22, v23
	v_and_b32_e32 v11, 0x7fffffff, v10
	s_delay_alu instid0(VALU_DEP_1)
	v_cmpx_gt_u32_e32 0x43f00000, v11
	s_cbranch_execz .LBB39_23
; %bb.18:
	s_mov_b32 s6, exec_lo
                                        ; implicit-def: $vgpr4
	v_cmpx_lt_u32_e32 0x3c7fffff, v11
	s_xor_b32 s6, exec_lo, s6
; %bb.19:
	v_bfe_u32 v4, v10, 20, 1
	s_delay_alu instid0(VALU_DEP_1) | instskip(NEXT) | instid1(VALU_DEP_1)
	v_add3_u32 v4, v10, v4, 0x407ffff
	v_lshrrev_b32_e32 v4, 20, v4
; %bb.20:
	s_and_not1_saveexec_b32 s6, s6
; %bb.21:
	v_add_f32_e64 v4, 0x46800000, |v10|
; %bb.22:
	s_or_b32 exec_lo, exec_lo, s6
.LBB39_23:
	s_delay_alu instid0(SALU_CYCLE_1) | instskip(SKIP_2) | instid1(VALU_DEP_1)
	s_or_b32 exec_lo, exec_lo, s3
	v_cvt_f32_f16_e32 v5, v5
	s_mov_b32 s3, exec_lo
	v_dual_mov_b32 v20, 0x7f :: v_dual_mul_f32 v5, v21, v5
	s_delay_alu instid0(VALU_DEP_1) | instskip(SKIP_1) | instid1(VALU_DEP_2)
	v_maxmin_f32 v11, v5, v22, v23
	v_mov_b32_e32 v5, 0x7f
	v_and_b32_e32 v26, 0x7fffffff, v11
	s_delay_alu instid0(VALU_DEP_1)
	v_cmpx_gt_u32_e32 0x43f00000, v26
	s_cbranch_execz .LBB39_29
; %bb.24:
	s_mov_b32 s6, exec_lo
                                        ; implicit-def: $vgpr20
	v_cmpx_lt_u32_e32 0x3c7fffff, v26
	s_xor_b32 s6, exec_lo, s6
; %bb.25:
	v_bfe_u32 v20, v11, 20, 1
	s_delay_alu instid0(VALU_DEP_1) | instskip(NEXT) | instid1(VALU_DEP_1)
	v_add3_u32 v20, v11, v20, 0x407ffff
	v_lshrrev_b32_e32 v20, 20, v20
; %bb.26:
	s_and_not1_saveexec_b32 s6, s6
; %bb.27:
	v_add_f32_e64 v20, 0x46800000, |v11|
; %bb.28:
	s_or_b32 exec_lo, exec_lo, s6
.LBB39_29:
	s_delay_alu instid0(SALU_CYCLE_1) | instskip(SKIP_2) | instid1(VALU_DEP_1)
	s_or_b32 exec_lo, exec_lo, s3
	v_cvt_f32_f16_e32 v24, v24
	s_mov_b32 s3, exec_lo
	v_mul_f32_e32 v24, v21, v24
	s_delay_alu instid0(VALU_DEP_1) | instskip(NEXT) | instid1(VALU_DEP_1)
	v_maxmin_f32 v24, v24, v22, v23
	v_and_b32_e32 v26, 0x7fffffff, v24
	s_delay_alu instid0(VALU_DEP_1)
	v_cmpx_gt_u32_e32 0x43f00000, v26
	s_cbranch_execz .LBB39_35
; %bb.30:
	s_mov_b32 s6, exec_lo
                                        ; implicit-def: $vgpr5
	v_cmpx_lt_u32_e32 0x3c7fffff, v26
	s_xor_b32 s6, exec_lo, s6
; %bb.31:
	v_bfe_u32 v5, v24, 20, 1
	s_delay_alu instid0(VALU_DEP_1) | instskip(NEXT) | instid1(VALU_DEP_1)
	v_add3_u32 v5, v24, v5, 0x407ffff
	v_lshrrev_b32_e32 v5, 20, v5
; %bb.32:
	s_and_not1_saveexec_b32 s6, s6
; %bb.33:
	v_add_f32_e64 v5, 0x46800000, |v24|
; %bb.34:
	s_or_b32 exec_lo, exec_lo, s6
.LBB39_35:
	s_delay_alu instid0(SALU_CYCLE_1) | instskip(SKIP_3) | instid1(VALU_DEP_2)
	s_or_b32 exec_lo, exec_lo, s3
	v_cvt_f32_f16_e32 v6, v6
	v_mov_b32_e32 v26, 0x7f
	s_mov_b32 s3, exec_lo
	v_mul_f32_e32 v6, v21, v6
	s_delay_alu instid0(VALU_DEP_1) | instskip(SKIP_1) | instid1(VALU_DEP_2)
	v_maxmin_f32 v27, v6, v22, v23
	v_mov_b32_e32 v6, 0x7f
	v_and_b32_e32 v29, 0x7fffffff, v27
	s_delay_alu instid0(VALU_DEP_1)
	v_cmpx_gt_u32_e32 0x43f00000, v29
	s_cbranch_execz .LBB39_41
; %bb.36:
	s_mov_b32 s6, exec_lo
                                        ; implicit-def: $vgpr26
	v_cmpx_lt_u32_e32 0x3c7fffff, v29
	s_xor_b32 s6, exec_lo, s6
; %bb.37:
	v_bfe_u32 v26, v27, 20, 1
	s_delay_alu instid0(VALU_DEP_1) | instskip(NEXT) | instid1(VALU_DEP_1)
	v_add3_u32 v26, v27, v26, 0x407ffff
	v_lshrrev_b32_e32 v26, 20, v26
; %bb.38:
	s_and_not1_saveexec_b32 s6, s6
; %bb.39:
	v_add_f32_e64 v26, 0x46800000, |v27|
; %bb.40:
	s_or_b32 exec_lo, exec_lo, s6
.LBB39_41:
	s_delay_alu instid0(SALU_CYCLE_1) | instskip(SKIP_2) | instid1(VALU_DEP_1)
	s_or_b32 exec_lo, exec_lo, s3
	v_cvt_f32_f16_e32 v28, v28
	s_mov_b32 s3, exec_lo
	v_mul_f32_e32 v28, v21, v28
	s_delay_alu instid0(VALU_DEP_1) | instskip(NEXT) | instid1(VALU_DEP_1)
	v_maxmin_f32 v28, v28, v22, v23
	v_and_b32_e32 v29, 0x7fffffff, v28
	s_delay_alu instid0(VALU_DEP_1)
	v_cmpx_gt_u32_e32 0x43f00000, v29
	s_cbranch_execz .LBB39_47
; %bb.42:
	s_mov_b32 s6, exec_lo
                                        ; implicit-def: $vgpr6
	v_cmpx_lt_u32_e32 0x3c7fffff, v29
	s_xor_b32 s6, exec_lo, s6
; %bb.43:
	v_bfe_u32 v6, v28, 20, 1
	s_delay_alu instid0(VALU_DEP_1) | instskip(NEXT) | instid1(VALU_DEP_1)
	v_add3_u32 v6, v28, v6, 0x407ffff
	v_lshrrev_b32_e32 v6, 20, v6
; %bb.44:
	s_and_not1_saveexec_b32 s6, s6
; %bb.45:
	v_add_f32_e64 v6, 0x46800000, |v28|
; %bb.46:
	s_or_b32 exec_lo, exec_lo, s6
.LBB39_47:
	s_delay_alu instid0(SALU_CYCLE_1) | instskip(SKIP_3) | instid1(VALU_DEP_2)
	s_or_b32 exec_lo, exec_lo, s3
	v_cvt_f32_f16_e32 v7, v7
	v_mov_b32_e32 v29, 0x7f
	s_mov_b32 s3, exec_lo
	v_mul_f32_e32 v7, v21, v7
	s_delay_alu instid0(VALU_DEP_1) | instskip(SKIP_1) | instid1(VALU_DEP_2)
	v_maxmin_f32 v30, v7, v22, v23
	v_mov_b32_e32 v7, 0x7f
	v_and_b32_e32 v31, 0x7fffffff, v30
	s_delay_alu instid0(VALU_DEP_1)
	v_cmpx_gt_u32_e32 0x43f00000, v31
	s_cbranch_execz .LBB39_53
; %bb.48:
	s_mov_b32 s6, exec_lo
                                        ; implicit-def: $vgpr29
	v_cmpx_lt_u32_e32 0x3c7fffff, v31
	s_xor_b32 s6, exec_lo, s6
; %bb.49:
	v_bfe_u32 v29, v30, 20, 1
	s_delay_alu instid0(VALU_DEP_1) | instskip(NEXT) | instid1(VALU_DEP_1)
	v_add3_u32 v29, v30, v29, 0x407ffff
	v_lshrrev_b32_e32 v29, 20, v29
; %bb.50:
	s_and_not1_saveexec_b32 s6, s6
; %bb.51:
	v_add_f32_e64 v29, 0x46800000, |v30|
; %bb.52:
	s_or_b32 exec_lo, exec_lo, s6
.LBB39_53:
	s_delay_alu instid0(SALU_CYCLE_1) | instskip(SKIP_2) | instid1(VALU_DEP_1)
	s_or_b32 exec_lo, exec_lo, s3
	v_cvt_f32_f16_e32 v25, v25
	s_mov_b32 s3, exec_lo
	v_mul_f32_e32 v25, v21, v25
	s_delay_alu instid0(VALU_DEP_1) | instskip(NEXT) | instid1(VALU_DEP_1)
	v_maxmin_f32 v25, v25, v22, v23
	v_and_b32_e32 v31, 0x7fffffff, v25
	s_delay_alu instid0(VALU_DEP_1)
	v_cmpx_gt_u32_e32 0x43f00000, v31
	s_cbranch_execz .LBB39_59
; %bb.54:
	s_mov_b32 s6, exec_lo
                                        ; implicit-def: $vgpr7
	v_cmpx_lt_u32_e32 0x3c7fffff, v31
	s_xor_b32 s6, exec_lo, s6
; %bb.55:
	v_bfe_u32 v7, v25, 20, 1
	s_delay_alu instid0(VALU_DEP_1) | instskip(NEXT) | instid1(VALU_DEP_1)
	v_add3_u32 v7, v25, v7, 0x407ffff
	v_lshrrev_b32_e32 v7, 20, v7
; %bb.56:
	s_and_not1_saveexec_b32 s6, s6
; %bb.57:
	v_add_f32_e64 v7, 0x46800000, |v25|
; %bb.58:
	s_or_b32 exec_lo, exec_lo, s6
.LBB39_59:
	s_delay_alu instid0(SALU_CYCLE_1) | instskip(SKIP_2) | instid1(VALU_DEP_1)
	s_or_b32 exec_lo, exec_lo, s3
	v_cvt_f32_f16_e32 v0, v0
	s_mov_b32 s3, exec_lo
	v_dual_mov_b32 v31, 0x7f :: v_dual_mul_f32 v0, v21, v0
	s_delay_alu instid0(VALU_DEP_1) | instskip(SKIP_1) | instid1(VALU_DEP_2)
	v_maxmin_f32 v32, v0, v22, v23
	v_mov_b32_e32 v0, 0x7f
	v_and_b32_e32 v33, 0x7fffffff, v32
	s_delay_alu instid0(VALU_DEP_1)
	v_cmpx_gt_u32_e32 0x43f00000, v33
	s_cbranch_execz .LBB39_65
; %bb.60:
	s_mov_b32 s6, exec_lo
                                        ; implicit-def: $vgpr31
	v_cmpx_lt_u32_e32 0x3c7fffff, v33
	s_xor_b32 s6, exec_lo, s6
; %bb.61:
	v_bfe_u32 v31, v32, 20, 1
	s_delay_alu instid0(VALU_DEP_1) | instskip(NEXT) | instid1(VALU_DEP_1)
	v_add3_u32 v31, v32, v31, 0x407ffff
	v_lshrrev_b32_e32 v31, 20, v31
; %bb.62:
	s_and_not1_saveexec_b32 s6, s6
; %bb.63:
	v_add_f32_e64 v31, 0x46800000, |v32|
; %bb.64:
	s_or_b32 exec_lo, exec_lo, s6
.LBB39_65:
	s_delay_alu instid0(SALU_CYCLE_1) | instskip(SKIP_2) | instid1(VALU_DEP_1)
	s_or_b32 exec_lo, exec_lo, s3
	v_cvt_f32_f16_e32 v19, v19
	s_mov_b32 s3, exec_lo
	v_mul_f32_e32 v19, v21, v19
	s_delay_alu instid0(VALU_DEP_1) | instskip(NEXT) | instid1(VALU_DEP_1)
	v_maxmin_f32 v19, v19, v22, v23
	v_and_b32_e32 v33, 0x7fffffff, v19
	s_delay_alu instid0(VALU_DEP_1)
	v_cmpx_gt_u32_e32 0x43f00000, v33
	s_cbranch_execz .LBB39_71
; %bb.66:
	s_mov_b32 s6, exec_lo
                                        ; implicit-def: $vgpr0
	v_cmpx_lt_u32_e32 0x3c7fffff, v33
	s_xor_b32 s6, exec_lo, s6
; %bb.67:
	v_bfe_u32 v0, v19, 20, 1
	s_delay_alu instid0(VALU_DEP_1) | instskip(NEXT) | instid1(VALU_DEP_1)
	v_add3_u32 v0, v19, v0, 0x407ffff
	v_lshrrev_b32_e32 v0, 20, v0
; %bb.68:
	s_and_not1_saveexec_b32 s6, s6
; %bb.69:
	v_add_f32_e64 v0, 0x46800000, |v19|
; %bb.70:
	s_or_b32 exec_lo, exec_lo, s6
.LBB39_71:
	s_delay_alu instid0(SALU_CYCLE_1) | instskip(SKIP_3) | instid1(VALU_DEP_2)
	s_or_b32 exec_lo, exec_lo, s3
	v_cvt_f32_f16_e32 v1, v1
	v_mov_b32_e32 v33, 0x7f
	s_mov_b32 s3, exec_lo
	v_mul_f32_e32 v1, v21, v1
	s_delay_alu instid0(VALU_DEP_1) | instskip(SKIP_1) | instid1(VALU_DEP_2)
	v_maxmin_f32 v34, v1, v22, v23
	v_mov_b32_e32 v1, 0x7f
	v_and_b32_e32 v35, 0x7fffffff, v34
	s_delay_alu instid0(VALU_DEP_1)
	v_cmpx_gt_u32_e32 0x43f00000, v35
	s_cbranch_execz .LBB39_77
; %bb.72:
	s_mov_b32 s6, exec_lo
                                        ; implicit-def: $vgpr33
	v_cmpx_lt_u32_e32 0x3c7fffff, v35
	s_xor_b32 s6, exec_lo, s6
; %bb.73:
	v_bfe_u32 v33, v34, 20, 1
	s_delay_alu instid0(VALU_DEP_1) | instskip(NEXT) | instid1(VALU_DEP_1)
	v_add3_u32 v33, v34, v33, 0x407ffff
	v_lshrrev_b32_e32 v33, 20, v33
; %bb.74:
	s_and_not1_saveexec_b32 s6, s6
; %bb.75:
	v_add_f32_e64 v33, 0x46800000, |v34|
; %bb.76:
	s_or_b32 exec_lo, exec_lo, s6
.LBB39_77:
	s_delay_alu instid0(SALU_CYCLE_1) | instskip(SKIP_2) | instid1(VALU_DEP_1)
	s_or_b32 exec_lo, exec_lo, s3
	v_cvt_f32_f16_e32 v18, v18
	s_mov_b32 s3, exec_lo
	v_mul_f32_e32 v18, v21, v18
	s_delay_alu instid0(VALU_DEP_1) | instskip(NEXT) | instid1(VALU_DEP_1)
	v_maxmin_f32 v18, v18, v22, v23
	v_and_b32_e32 v35, 0x7fffffff, v18
	s_delay_alu instid0(VALU_DEP_1)
	v_cmpx_gt_u32_e32 0x43f00000, v35
	s_cbranch_execz .LBB39_83
; %bb.78:
	s_mov_b32 s6, exec_lo
                                        ; implicit-def: $vgpr1
	v_cmpx_lt_u32_e32 0x3c7fffff, v35
	s_xor_b32 s6, exec_lo, s6
; %bb.79:
	v_bfe_u32 v1, v18, 20, 1
	s_delay_alu instid0(VALU_DEP_1) | instskip(NEXT) | instid1(VALU_DEP_1)
	v_add3_u32 v1, v18, v1, 0x407ffff
	v_lshrrev_b32_e32 v1, 20, v1
; %bb.80:
	s_and_not1_saveexec_b32 s6, s6
; %bb.81:
	v_add_f32_e64 v1, 0x46800000, |v18|
; %bb.82:
	s_or_b32 exec_lo, exec_lo, s6
.LBB39_83:
	s_delay_alu instid0(SALU_CYCLE_1) | instskip(SKIP_2) | instid1(VALU_DEP_1)
	s_or_b32 exec_lo, exec_lo, s3
	v_cvt_f32_f16_e32 v2, v2
	s_mov_b32 s3, exec_lo
	v_dual_mov_b32 v35, 0x7f :: v_dual_mul_f32 v2, v21, v2
	s_delay_alu instid0(VALU_DEP_1) | instskip(SKIP_1) | instid1(VALU_DEP_2)
	v_maxmin_f32 v36, v2, v22, v23
	v_mov_b32_e32 v2, 0x7f
	v_and_b32_e32 v37, 0x7fffffff, v36
	s_delay_alu instid0(VALU_DEP_1)
	v_cmpx_gt_u32_e32 0x43f00000, v37
	s_cbranch_execz .LBB39_89
; %bb.84:
	s_mov_b32 s6, exec_lo
                                        ; implicit-def: $vgpr35
	v_cmpx_lt_u32_e32 0x3c7fffff, v37
	s_xor_b32 s6, exec_lo, s6
; %bb.85:
	v_bfe_u32 v35, v36, 20, 1
	s_delay_alu instid0(VALU_DEP_1) | instskip(NEXT) | instid1(VALU_DEP_1)
	v_add3_u32 v35, v36, v35, 0x407ffff
	v_lshrrev_b32_e32 v35, 20, v35
; %bb.86:
	s_and_not1_saveexec_b32 s6, s6
; %bb.87:
	v_add_f32_e64 v35, 0x46800000, |v36|
; %bb.88:
	s_or_b32 exec_lo, exec_lo, s6
.LBB39_89:
	s_delay_alu instid0(SALU_CYCLE_1) | instskip(SKIP_2) | instid1(VALU_DEP_1)
	s_or_b32 exec_lo, exec_lo, s3
	v_cvt_f32_f16_e32 v17, v17
	s_mov_b32 s3, exec_lo
	v_mul_f32_e32 v17, v21, v17
	s_delay_alu instid0(VALU_DEP_1) | instskip(NEXT) | instid1(VALU_DEP_1)
	v_maxmin_f32 v17, v17, v22, v23
	v_and_b32_e32 v37, 0x7fffffff, v17
	s_delay_alu instid0(VALU_DEP_1)
	v_cmpx_gt_u32_e32 0x43f00000, v37
	s_cbranch_execz .LBB39_95
; %bb.90:
	s_mov_b32 s6, exec_lo
                                        ; implicit-def: $vgpr2
	v_cmpx_lt_u32_e32 0x3c7fffff, v37
	s_xor_b32 s6, exec_lo, s6
; %bb.91:
	v_bfe_u32 v2, v17, 20, 1
	s_delay_alu instid0(VALU_DEP_1) | instskip(NEXT) | instid1(VALU_DEP_1)
	v_add3_u32 v2, v17, v2, 0x407ffff
	v_lshrrev_b32_e32 v2, 20, v2
; %bb.92:
	s_and_not1_saveexec_b32 s6, s6
; %bb.93:
	v_add_f32_e64 v2, 0x46800000, |v17|
; %bb.94:
	s_or_b32 exec_lo, exec_lo, s6
.LBB39_95:
	s_delay_alu instid0(SALU_CYCLE_1) | instskip(SKIP_3) | instid1(VALU_DEP_2)
	s_or_b32 exec_lo, exec_lo, s3
	v_cvt_f32_f16_e32 v3, v3
	v_mov_b32_e32 v37, 0x7f
	s_mov_b32 s3, exec_lo
	v_mul_f32_e32 v3, v21, v3
	s_delay_alu instid0(VALU_DEP_1) | instskip(SKIP_1) | instid1(VALU_DEP_2)
	v_maxmin_f32 v38, v3, v22, v23
	v_mov_b32_e32 v3, 0x7f
	v_and_b32_e32 v39, 0x7fffffff, v38
	s_delay_alu instid0(VALU_DEP_1)
	v_cmpx_gt_u32_e32 0x43f00000, v39
	s_cbranch_execz .LBB39_101
; %bb.96:
	s_mov_b32 s6, exec_lo
                                        ; implicit-def: $vgpr37
	v_cmpx_lt_u32_e32 0x3c7fffff, v39
	s_xor_b32 s6, exec_lo, s6
; %bb.97:
	v_bfe_u32 v37, v38, 20, 1
	s_delay_alu instid0(VALU_DEP_1) | instskip(NEXT) | instid1(VALU_DEP_1)
	v_add3_u32 v37, v38, v37, 0x407ffff
	v_lshrrev_b32_e32 v37, 20, v37
; %bb.98:
	s_and_not1_saveexec_b32 s6, s6
; %bb.99:
	v_add_f32_e64 v37, 0x46800000, |v38|
; %bb.100:
	s_or_b32 exec_lo, exec_lo, s6
.LBB39_101:
	s_delay_alu instid0(SALU_CYCLE_1) | instskip(SKIP_2) | instid1(VALU_DEP_1)
	s_or_b32 exec_lo, exec_lo, s3
	v_cvt_f32_f16_e32 v14, v14
	s_mov_b32 s3, exec_lo
	v_mul_f32_e32 v14, v21, v14
	s_delay_alu instid0(VALU_DEP_1) | instskip(NEXT) | instid1(VALU_DEP_1)
	v_maxmin_f32 v14, v14, v22, v23
	v_and_b32_e32 v21, 0x7fffffff, v14
	s_delay_alu instid0(VALU_DEP_1)
	v_cmpx_gt_u32_e32 0x43f00000, v21
	s_cbranch_execz .LBB39_107
; %bb.102:
	s_mov_b32 s6, exec_lo
                                        ; implicit-def: $vgpr3
	v_cmpx_lt_u32_e32 0x3c7fffff, v21
	s_xor_b32 s6, exec_lo, s6
; %bb.103:
	v_bfe_u32 v3, v14, 20, 1
	s_delay_alu instid0(VALU_DEP_1) | instskip(NEXT) | instid1(VALU_DEP_1)
	v_add3_u32 v3, v14, v3, 0x407ffff
	v_lshrrev_b32_e32 v3, 20, v3
; %bb.104:
	s_and_not1_saveexec_b32 s6, s6
; %bb.105:
	v_add_f32_e64 v3, 0x46800000, |v14|
; %bb.106:
	s_or_b32 exec_lo, exec_lo, s6
.LBB39_107:
	s_delay_alu instid0(SALU_CYCLE_1)
	s_or_b32 exec_lo, exec_lo, s3
	v_lshrrev_b32_e32 v21, 24, v36
	v_lshrrev_b32_e32 v17, 24, v17
	;; [unrolled: 1-line block ×5, first 2 shown]
	v_and_b32_e32 v21, 0x80, v21
	v_and_b32_e32 v17, 0x80, v17
	v_lshrrev_b32_e32 v32, 24, v34
	v_and_b32_e32 v23, 0x80, v23
	v_and_b32_e32 v19, 0x80, v19
	v_and_or_b32 v21, 0xff, v35, v21
	v_and_or_b32 v2, 0xff, v2, v17
	v_and_b32_e32 v17, 0x80, v22
	v_and_or_b32 v22, 0xff, v31, v23
	v_and_or_b32 v0, 0xff, v0, v19
	v_and_b32_e32 v19, 0x80, v32
	v_lshl_or_b32 v2, v2, 8, v21
	v_and_or_b32 v17, 0xff, v37, v17
	v_lshrrev_b32_e32 v21, 24, v27
	v_lshl_or_b32 v0, v0, 8, v22
	v_and_or_b32 v19, 0xff, v33, v19
	v_lshrrev_b32_e32 v9, 24, v9
	v_lshl_or_b32 v2, v17, 16, v2
	v_and_b32_e32 v17, 0x80, v21
	v_lshrrev_b32_e32 v21, 24, v28
	v_lshrrev_b32_e32 v10, 24, v10
	v_lshl_or_b32 v0, v19, 16, v0
	v_and_b32_e32 v9, 0x80, v9
	v_lshrrev_b32_e32 v11, 24, v11
	v_and_b32_e32 v19, 0x80, v21
	v_lshrrev_b32_e32 v21, 24, v30
	v_and_b32_e32 v10, 0x80, v10
	v_and_or_b32 v17, 0xff, v26, v17
	v_and_or_b32 v8, 0xff, v8, v9
	;; [unrolled: 1-line block ×3, first 2 shown]
	v_and_b32_e32 v19, 0x80, v21
	v_and_or_b32 v4, 0xff, v4, v10
	v_and_b32_e32 v9, 0x80, v11
	v_lshlrev_b32_e32 v1, 24, v1
	v_lshl_or_b32 v6, v6, 8, v17
	v_and_or_b32 v10, 0xff, v29, v19
	v_lshl_or_b32 v4, v4, 8, v8
	v_and_or_b32 v8, 0xff, v20, v9
	v_and_b32_e32 v9, 0x80000000, v18
	v_lshlrev_b32_e32 v7, 24, v7
	v_lshl_or_b32 v6, v10, 16, v6
	v_and_b32_e32 v11, 0x80000000, v25
	v_lshl_or_b32 v4, v8, 16, v4
	v_lshlrev_b32_e32 v5, 24, v5
	v_and_b32_e32 v8, 0x80000000, v24
	v_and_b32_e32 v14, 0x80000000, v14
	v_lshlrev_b32_e32 v3, 24, v3
	v_or3_b32 v10, v9, v1, v0
	v_or3_b32 v9, v11, v7, v6
	;; [unrolled: 1-line block ×3, first 2 shown]
	s_or_b32 s5, s5, exec_lo
	v_or3_b32 v11, v14, v3, v2
.LBB39_108:
	s_or_b32 exec_lo, exec_lo, s2
	s_delay_alu instid0(SALU_CYCLE_1)
	s_and_b32 exec_lo, exec_lo, s5
	s_cbranch_execz .LBB39_110
; %bb.109:
	s_load_b64 s[0:1], s[0:1], 0x8
	v_lshlrev_b32_e32 v2, 7, v12
	v_alignbit_b32 v0, v16, v12, 25
	s_ashr_i32 s2, s4, 31
	s_delay_alu instid0(VALU_DEP_2) | instid1(SALU_CYCLE_1)
	v_mul_lo_u32 v3, v2, s2
	s_delay_alu instid0(VALU_DEP_2) | instskip(SKIP_3) | instid1(VALU_DEP_2)
	v_mul_lo_u32 v4, v0, s4
	s_waitcnt lgkmcnt(0)
	v_mad_u64_u32 v[0:1], null, v2, s4, s[0:1]
	v_ashrrev_i32_e32 v2, 31, v13
	v_add3_u32 v1, v4, v1, v3
	v_lshlrev_b32_e32 v3, 4, v15
	s_delay_alu instid0(VALU_DEP_4) | instskip(NEXT) | instid1(VALU_DEP_3)
	v_add_co_u32 v0, vcc_lo, v0, v13
	v_add_co_ci_u32_e32 v1, vcc_lo, v1, v2, vcc_lo
	s_delay_alu instid0(VALU_DEP_2) | instskip(NEXT) | instid1(VALU_DEP_2)
	v_add_co_u32 v0, vcc_lo, v0, v3
	v_add_co_ci_u32_e32 v1, vcc_lo, 0, v1, vcc_lo
	global_store_b128 v[0:1], v[8:11], off
.LBB39_110:
	s_nop 0
	s_sendmsg sendmsg(MSG_DEALLOC_VGPRS)
	s_endpgm
	.section	.rodata,"a",@progbits
	.p2align	6, 0x0
	.amdhsa_kernel _Z49per_token_group_quant_8bit_packed_register_kernelIN3c104HalfENS0_13Float8_e4m3fnELi128ELi16ELi1EEvPKT_PvPjiiiiilfff
		.amdhsa_group_segment_fixed_size 0
		.amdhsa_private_segment_fixed_size 0
		.amdhsa_kernarg_size 68
		.amdhsa_user_sgpr_count 14
		.amdhsa_user_sgpr_dispatch_ptr 0
		.amdhsa_user_sgpr_queue_ptr 0
		.amdhsa_user_sgpr_kernarg_segment_ptr 1
		.amdhsa_user_sgpr_dispatch_id 0
		.amdhsa_user_sgpr_private_segment_size 0
		.amdhsa_wavefront_size32 1
		.amdhsa_uses_dynamic_stack 0
		.amdhsa_enable_private_segment 0
		.amdhsa_system_sgpr_workgroup_id_x 1
		.amdhsa_system_sgpr_workgroup_id_y 1
		.amdhsa_system_sgpr_workgroup_id_z 0
		.amdhsa_system_sgpr_workgroup_info 0
		.amdhsa_system_vgpr_workitem_id 0
		.amdhsa_next_free_vgpr 40
		.amdhsa_next_free_sgpr 16
		.amdhsa_reserve_vcc 1
		.amdhsa_float_round_mode_32 0
		.amdhsa_float_round_mode_16_64 0
		.amdhsa_float_denorm_mode_32 3
		.amdhsa_float_denorm_mode_16_64 3
		.amdhsa_dx10_clamp 1
		.amdhsa_ieee_mode 1
		.amdhsa_fp16_overflow 0
		.amdhsa_workgroup_processor_mode 1
		.amdhsa_memory_ordered 1
		.amdhsa_forward_progress 0
		.amdhsa_shared_vgpr_count 0
		.amdhsa_exception_fp_ieee_invalid_op 0
		.amdhsa_exception_fp_denorm_src 0
		.amdhsa_exception_fp_ieee_div_zero 0
		.amdhsa_exception_fp_ieee_overflow 0
		.amdhsa_exception_fp_ieee_underflow 0
		.amdhsa_exception_fp_ieee_inexact 0
		.amdhsa_exception_int_div_zero 0
	.end_amdhsa_kernel
	.section	.text._Z49per_token_group_quant_8bit_packed_register_kernelIN3c104HalfENS0_13Float8_e4m3fnELi128ELi16ELi1EEvPKT_PvPjiiiiilfff,"axG",@progbits,_Z49per_token_group_quant_8bit_packed_register_kernelIN3c104HalfENS0_13Float8_e4m3fnELi128ELi16ELi1EEvPKT_PvPjiiiiilfff,comdat
.Lfunc_end39:
	.size	_Z49per_token_group_quant_8bit_packed_register_kernelIN3c104HalfENS0_13Float8_e4m3fnELi128ELi16ELi1EEvPKT_PvPjiiiiilfff, .Lfunc_end39-_Z49per_token_group_quant_8bit_packed_register_kernelIN3c104HalfENS0_13Float8_e4m3fnELi128ELi16ELi1EEvPKT_PvPjiiiiilfff
                                        ; -- End function
	.section	.AMDGPU.csdata,"",@progbits
; Kernel info:
; codeLenInByte = 3800
; NumSgprs: 18
; NumVgprs: 40
; ScratchSize: 0
; MemoryBound: 0
; FloatMode: 240
; IeeeMode: 1
; LDSByteSize: 0 bytes/workgroup (compile time only)
; SGPRBlocks: 2
; VGPRBlocks: 4
; NumSGPRsForWavesPerEU: 18
; NumVGPRsForWavesPerEU: 40
; Occupancy: 16
; WaveLimiterHint : 0
; COMPUTE_PGM_RSRC2:SCRATCH_EN: 0
; COMPUTE_PGM_RSRC2:USER_SGPR: 14
; COMPUTE_PGM_RSRC2:TRAP_HANDLER: 0
; COMPUTE_PGM_RSRC2:TGID_X_EN: 1
; COMPUTE_PGM_RSRC2:TGID_Y_EN: 1
; COMPUTE_PGM_RSRC2:TGID_Z_EN: 0
; COMPUTE_PGM_RSRC2:TIDIG_COMP_CNT: 0
	.section	.text._Z49per_token_group_quant_8bit_packed_register_kernelIN3c104HalfENS0_13Float8_e4m3fnELi128ELi8ELi2EEvPKT_PvPjiiiiilfff,"axG",@progbits,_Z49per_token_group_quant_8bit_packed_register_kernelIN3c104HalfENS0_13Float8_e4m3fnELi128ELi8ELi2EEvPKT_PvPjiiiiilfff,comdat
	.protected	_Z49per_token_group_quant_8bit_packed_register_kernelIN3c104HalfENS0_13Float8_e4m3fnELi128ELi8ELi2EEvPKT_PvPjiiiiilfff ; -- Begin function _Z49per_token_group_quant_8bit_packed_register_kernelIN3c104HalfENS0_13Float8_e4m3fnELi128ELi8ELi2EEvPKT_PvPjiiiiilfff
	.globl	_Z49per_token_group_quant_8bit_packed_register_kernelIN3c104HalfENS0_13Float8_e4m3fnELi128ELi8ELi2EEvPKT_PvPjiiiiilfff
	.p2align	8
	.type	_Z49per_token_group_quant_8bit_packed_register_kernelIN3c104HalfENS0_13Float8_e4m3fnELi128ELi8ELi2EEvPKT_PvPjiiiiilfff,@function
_Z49per_token_group_quant_8bit_packed_register_kernelIN3c104HalfENS0_13Float8_e4m3fnELi128ELi8ELi2EEvPKT_PvPjiiiiilfff: ; @_Z49per_token_group_quant_8bit_packed_register_kernelIN3c104HalfENS0_13Float8_e4m3fnELi128ELi8ELi2EEvPKT_PvPjiiiiilfff
; %bb.0:
	s_load_b128 s[4:7], s[0:1], 0x1c
	v_lshrrev_b32_e32 v1, 6, v0
	s_mov_b32 s2, exec_lo
	s_delay_alu instid0(VALU_DEP_1) | instskip(SKIP_1) | instid1(VALU_DEP_1)
	v_lshl_add_u32 v12, s15, 1, v1
	s_waitcnt lgkmcnt(0)
	v_cmpx_gt_i32_e64 s7, v12
	s_cbranch_execz .LBB40_110
; %bb.1:
	s_load_b128 s[8:11], s[0:1], 0x38
	v_lshrrev_b32_e32 v1, 3, v0
	s_lshl_b32 s2, s14, 3
	v_and_b32_e32 v15, 7, v0
	v_ashrrev_i32_e32 v16, 31, v12
                                        ; implicit-def: $vgpr14
                                        ; implicit-def: $vgpr3
                                        ; implicit-def: $vgpr17
                                        ; implicit-def: $vgpr18
                                        ; implicit-def: $vgpr19
                                        ; implicit-def: $vgpr25
                                        ; implicit-def: $vgpr7
                                        ; implicit-def: $vgpr28
                                        ; implicit-def: $vgpr24
                                        ; implicit-def: $vgpr20
	s_delay_alu instid0(VALU_DEP_3) | instskip(SKIP_1) | instid1(VALU_DEP_2)
	v_and_or_b32 v10, v1, 7, s2
	v_cmp_gt_i32_e64 s2, s5, v12
	v_cmp_gt_i32_e64 s3, s4, v10
	v_lshlrev_b32_e32 v13, 7, v10
	s_waitcnt lgkmcnt(0)
	s_delay_alu instid0(VALU_DEP_2)
	s_and_b32 s11, s2, s3
	v_mov_b32_e32 v8, s8
	s_and_saveexec_b32 s5, s11
	s_cbranch_execz .LBB40_3
; %bb.2:
	s_load_b64 s[12:13], s[0:1], 0x0
	v_lshlrev_b32_e32 v2, 8, v12
	v_alignbit_b32 v0, v16, v12, 24
	s_ashr_i32 s14, s4, 31
	v_ashrrev_i32_e32 v14, 31, v13
	s_delay_alu instid0(VALU_DEP_3) | instskip(NEXT) | instid1(VALU_DEP_3)
	v_mul_lo_u32 v4, v2, s14
	v_mul_lo_u32 v5, v0, s4
	s_waitcnt lgkmcnt(0)
	v_mad_u64_u32 v[0:1], null, v2, s4, s[12:13]
	v_lshlrev_b64 v[2:3], 1, v[13:14]
	s_delay_alu instid0(VALU_DEP_2) | instskip(SKIP_1) | instid1(VALU_DEP_3)
	v_add3_u32 v1, v5, v1, v4
	v_lshlrev_b32_e32 v4, 5, v15
	v_add_co_u32 v0, vcc_lo, v0, v2
	s_delay_alu instid0(VALU_DEP_3) | instskip(NEXT) | instid1(VALU_DEP_2)
	v_add_co_ci_u32_e32 v1, vcc_lo, v1, v3, vcc_lo
	v_add_co_u32 v0, vcc_lo, v0, v4
	s_delay_alu instid0(VALU_DEP_2)
	v_add_co_ci_u32_e32 v1, vcc_lo, 0, v1, vcc_lo
	s_clause 0x1
	global_load_b128 v[4:7], v[0:1], off
	global_load_b128 v[0:3], v[0:1], off offset:16
	s_waitcnt vmcnt(1)
	v_lshrrev_b32_e32 v20, 16, v4
	v_lshrrev_b32_e32 v24, 16, v5
	v_cvt_f32_f16_e64 v8, |v4|
	v_lshrrev_b32_e32 v28, 16, v6
	v_cvt_f32_f16_e64 v11, |v5|
	v_cvt_f32_f16_e64 v9, |v20|
	;; [unrolled: 1-line block ×3, first 2 shown]
	v_lshrrev_b32_e32 v25, 16, v7
	v_cvt_f32_f16_e64 v17, |v28|
	s_waitcnt vmcnt(0)
	v_lshrrev_b32_e32 v19, 16, v0
	v_max3_f32 v8, s8, v8, v9
	v_cvt_f32_f16_e64 v9, |v6|
	v_lshrrev_b32_e32 v18, 16, v1
	s_delay_alu instid0(VALU_DEP_4) | instskip(NEXT) | instid1(VALU_DEP_4)
	v_cvt_f32_f16_e64 v21, |v19|
	v_max3_f32 v8, v8, v11, v14
	v_cvt_f32_f16_e64 v11, |v7|
	v_cvt_f32_f16_e64 v14, |v25|
	s_delay_alu instid0(VALU_DEP_3) | instskip(SKIP_2) | instid1(VALU_DEP_3)
	v_max3_f32 v8, v8, v9, v17
	v_cvt_f32_f16_e64 v9, |v0|
	v_lshrrev_b32_e32 v17, 16, v2
	v_max3_f32 v8, v8, v11, v14
	v_cvt_f32_f16_e64 v11, |v1|
	v_cvt_f32_f16_e64 v14, |v18|
	s_delay_alu instid0(VALU_DEP_3) | instskip(SKIP_2) | instid1(VALU_DEP_3)
	v_max3_f32 v8, v8, v9, v21
	v_cvt_f32_f16_e64 v9, |v2|
	v_cvt_f32_f16_e64 v21, |v17|
	v_max3_f32 v8, v8, v11, v14
	v_lshrrev_b32_e32 v14, 16, v3
	v_cvt_f32_f16_e64 v11, |v3|
	s_delay_alu instid0(VALU_DEP_3) | instskip(NEXT) | instid1(VALU_DEP_3)
	v_max3_f32 v8, v8, v9, v21
	v_cvt_f32_f16_e64 v9, |v14|
	s_delay_alu instid0(VALU_DEP_1)
	v_max3_f32 v8, v8, v11, v9
.LBB40_3:
	s_or_b32 exec_lo, exec_lo, s5
	v_mbcnt_lo_u32_b32 v9, -1, 0
	s_xor_b32 s8, s11, -1
	s_mov_b32 s5, 0
	s_mov_b32 s12, exec_lo
	s_delay_alu instid0(VALU_DEP_1) | instskip(SKIP_2) | instid1(VALU_DEP_3)
	v_and_b32_e32 v11, 24, v9
	v_xor_b32_e32 v21, 4, v9
	v_xor_b32_e32 v22, 2, v9
	v_add_nc_u32_e32 v11, 8, v11
	s_delay_alu instid0(VALU_DEP_1) | instskip(SKIP_1) | instid1(VALU_DEP_4)
	v_cmp_lt_i32_e32 vcc_lo, v21, v11
	v_cndmask_b32_e32 v21, v9, v21, vcc_lo
	v_cmp_lt_i32_e32 vcc_lo, v22, v11
	v_cndmask_b32_e32 v22, v9, v22, vcc_lo
	s_delay_alu instid0(VALU_DEP_1) | instskip(NEXT) | instid1(VALU_DEP_4)
	v_lshlrev_b32_e32 v22, 2, v22
	v_lshlrev_b32_e32 v21, 2, v21
	ds_bpermute_b32 v21, v21, v8
	s_waitcnt lgkmcnt(0)
	v_dual_max_f32 v8, v8, v8 :: v_dual_max_f32 v21, v21, v21
	s_delay_alu instid0(VALU_DEP_1) | instskip(SKIP_2) | instid1(VALU_DEP_1)
	v_max_f32_e32 v8, v8, v21
	ds_bpermute_b32 v21, v22, v8
	v_xor_b32_e32 v22, 1, v9
	v_cmp_lt_i32_e32 vcc_lo, v22, v11
	v_cndmask_b32_e32 v9, v9, v22, vcc_lo
	s_delay_alu instid0(VALU_DEP_1) | instskip(SKIP_2) | instid1(VALU_DEP_1)
	v_lshlrev_b32_e32 v9, 2, v9
	s_waitcnt lgkmcnt(0)
	v_max_f32_e32 v11, v21, v21
	v_max_f32_e32 v8, v8, v11
	ds_bpermute_b32 v9, v9, v8
	s_waitcnt lgkmcnt(0)
	v_max_f32_e32 v9, v9, v9
	s_delay_alu instid0(VALU_DEP_1) | instskip(NEXT) | instid1(VALU_DEP_1)
	v_max_f32_e32 v8, v8, v9
	v_div_scale_f32 v9, null, s10, s10, v8
	s_delay_alu instid0(VALU_DEP_1) | instskip(SKIP_2) | instid1(VALU_DEP_1)
	v_rcp_f32_e32 v11, v9
	s_waitcnt_depctr 0xfff
	v_fma_f32 v21, -v9, v11, 1.0
	v_fmac_f32_e32 v11, v21, v11
	v_div_scale_f32 v22, vcc_lo, v8, s10, v8
	s_delay_alu instid0(VALU_DEP_1) | instskip(NEXT) | instid1(VALU_DEP_1)
	v_mul_f32_e32 v21, v22, v11
	v_fma_f32 v23, -v9, v21, v22
	s_delay_alu instid0(VALU_DEP_1) | instskip(NEXT) | instid1(VALU_DEP_1)
	v_fmac_f32_e32 v21, v23, v11
	v_fma_f32 v9, -v9, v21, v22
	s_delay_alu instid0(VALU_DEP_1) | instskip(NEXT) | instid1(VALU_DEP_1)
	v_div_fmas_f32 v9, v9, v11, v21
	v_div_fixup_f32 v8, v9, s10, v8
	s_delay_alu instid0(VALU_DEP_1) | instskip(NEXT) | instid1(VALU_DEP_1)
	v_max_f32_e32 v8, 0x2edbe6ff, v8
	v_and_b32_e32 v9, 0x7fffff, v8
	v_lshrrev_b32_e32 v8, 23, v8
	s_delay_alu instid0(VALU_DEP_2) | instskip(NEXT) | instid1(VALU_DEP_2)
	v_cmp_ne_u32_e32 vcc_lo, 0, v9
	v_add_co_ci_u32_e32 v21, vcc_lo, 0, v8, vcc_lo
	v_cmpx_eq_u32_e32 0, v15
	s_cbranch_execz .LBB40_8
; %bb.4:
	v_ashrrev_i32_e32 v8, 31, v10
	s_delay_alu instid0(VALU_DEP_1) | instskip(NEXT) | instid1(VALU_DEP_1)
	v_lshrrev_b32_e32 v8, 30, v8
	v_add_nc_u32_e32 v8, v10, v8
	s_delay_alu instid0(VALU_DEP_1) | instskip(NEXT) | instid1(VALU_DEP_1)
	v_ashrrev_i32_e32 v11, 2, v8
	v_mad_u64_u32 v[8:9], null, v11, s7, v[12:13]
	v_mov_b32_e32 v9, v21
	s_and_saveexec_b32 s7, s8
	s_cbranch_execz .LBB40_6
; %bb.5:
	s_load_b64 s[14:15], s[0:1], 0x30
	s_delay_alu instid0(VALU_DEP_2) | instskip(SKIP_2) | instid1(VALU_DEP_1)
	v_ashrrev_i32_e32 v9, 31, v8
	s_and_not1_b32 s11, s11, exec_lo
	s_waitcnt lgkmcnt(0)
	v_cmp_gt_i64_e32 vcc_lo, s[14:15], v[8:9]
	v_mov_b32_e32 v9, 0
	s_and_b32 s13, vcc_lo, exec_lo
	s_delay_alu instid0(SALU_CYCLE_1)
	s_or_b32 s11, s11, s13
.LBB40_6:
	s_or_b32 exec_lo, exec_lo, s7
	s_delay_alu instid0(SALU_CYCLE_1)
	s_and_b32 exec_lo, exec_lo, s11
	s_cbranch_execz .LBB40_8
; %bb.7:
	s_load_b64 s[14:15], s[0:1], 0x10
	v_lshlrev_b32_e32 v11, 2, v11
	s_delay_alu instid0(VALU_DEP_1) | instskip(NEXT) | instid1(VALU_DEP_1)
	v_sub_nc_u32_e32 v10, v10, v11
	v_lshl_add_u32 v8, v8, 2, v10
	s_delay_alu instid0(VALU_DEP_1) | instskip(SKIP_2) | instid1(VALU_DEP_2)
	v_ashrrev_i32_e32 v11, 31, v8
	s_waitcnt lgkmcnt(0)
	v_add_co_u32 v10, vcc_lo, s14, v8
	v_add_co_ci_u32_e32 v11, vcc_lo, s15, v11, vcc_lo
	global_store_b8 v[10:11], v9, off
.LBB40_8:
	s_or_b32 exec_lo, exec_lo, s12
                                        ; implicit-def: $sgpr7
	s_and_saveexec_b32 s11, s8
	s_delay_alu instid0(SALU_CYCLE_1)
	s_xor_b32 s8, exec_lo, s11
; %bb.9:
	v_cmp_gt_i32_e32 vcc_lo, s6, v12
	s_xor_b32 s2, s2, -1
	s_mov_b32 s7, 0
                                        ; implicit-def: $vgpr14
                                        ; implicit-def: $vgpr3
                                        ; implicit-def: $vgpr17
                                        ; implicit-def: $vgpr18
                                        ; implicit-def: $vgpr19
                                        ; implicit-def: $vgpr25
                                        ; implicit-def: $vgpr7
                                        ; implicit-def: $vgpr28
                                        ; implicit-def: $vgpr24
                                        ; implicit-def: $vgpr20
                                        ; implicit-def: $vgpr21
	s_and_b32 s2, vcc_lo, s2
	s_delay_alu instid0(SALU_CYCLE_1) | instskip(NEXT) | instid1(SALU_CYCLE_1)
	s_and_b32 s2, s3, s2
	s_and_b32 s5, s2, exec_lo
; %bb.10:
	s_or_saveexec_b32 s2, s8
	v_dual_mov_b32 v11, s7 :: v_dual_mov_b32 v10, s7
	v_dual_mov_b32 v9, s7 :: v_dual_mov_b32 v8, s7
	s_xor_b32 exec_lo, exec_lo, s2
	s_cbranch_execz .LBB40_108
; %bb.11:
	v_lshlrev_b32_e32 v8, 23, v21
	v_cvt_f32_f16_e32 v4, v4
	v_max_f32_e64 v23, s10, s10
	s_mov_b32 s3, exec_lo
	s_delay_alu instid0(VALU_DEP_3) | instskip(NEXT) | instid1(VALU_DEP_1)
	v_and_b32_e32 v8, 0x7f800000, v8
	v_div_scale_f32 v9, null, v8, v8, 1.0
	v_div_scale_f32 v21, vcc_lo, 1.0, v8, 1.0
	s_delay_alu instid0(VALU_DEP_2) | instskip(SKIP_2) | instid1(VALU_DEP_1)
	v_rcp_f32_e32 v10, v9
	s_waitcnt_depctr 0xfff
	v_fma_f32 v11, -v9, v10, 1.0
	v_fmac_f32_e32 v10, v11, v10
	s_delay_alu instid0(VALU_DEP_1) | instskip(NEXT) | instid1(VALU_DEP_1)
	v_mul_f32_e32 v11, v21, v10
	v_fma_f32 v22, -v9, v11, v21
	s_delay_alu instid0(VALU_DEP_1) | instskip(SKIP_1) | instid1(VALU_DEP_2)
	v_fmac_f32_e32 v11, v22, v10
	v_max_f32_e64 v22, s9, s9
	v_fma_f32 v9, -v9, v11, v21
	s_delay_alu instid0(VALU_DEP_1) | instskip(NEXT) | instid1(VALU_DEP_1)
	v_div_fmas_f32 v9, v9, v10, v11
	v_div_fixup_f32 v21, v9, v8, 1.0
	v_mov_b32_e32 v8, 0x7f
	s_delay_alu instid0(VALU_DEP_2) | instskip(NEXT) | instid1(VALU_DEP_1)
	v_mul_f32_e32 v4, v21, v4
	v_maxmin_f32 v9, v4, v22, v23
	v_mov_b32_e32 v4, 0x7f
	s_delay_alu instid0(VALU_DEP_2) | instskip(NEXT) | instid1(VALU_DEP_1)
	v_and_b32_e32 v10, 0x7fffffff, v9
	v_cmpx_gt_u32_e32 0x43f00000, v10
	s_cbranch_execz .LBB40_17
; %bb.12:
	s_mov_b32 s6, exec_lo
                                        ; implicit-def: $vgpr8
	v_cmpx_lt_u32_e32 0x3c7fffff, v10
	s_xor_b32 s6, exec_lo, s6
; %bb.13:
	v_bfe_u32 v8, v9, 20, 1
	s_delay_alu instid0(VALU_DEP_1) | instskip(NEXT) | instid1(VALU_DEP_1)
	v_add3_u32 v8, v9, v8, 0x407ffff
	v_lshrrev_b32_e32 v8, 20, v8
; %bb.14:
	s_and_not1_saveexec_b32 s6, s6
; %bb.15:
	v_add_f32_e64 v8, 0x46800000, |v9|
; %bb.16:
	s_or_b32 exec_lo, exec_lo, s6
.LBB40_17:
	s_delay_alu instid0(SALU_CYCLE_1) | instskip(SKIP_2) | instid1(VALU_DEP_1)
	s_or_b32 exec_lo, exec_lo, s3
	v_cvt_f32_f16_e32 v10, v20
	s_mov_b32 s3, exec_lo
	v_mul_f32_e32 v10, v21, v10
	s_delay_alu instid0(VALU_DEP_1) | instskip(NEXT) | instid1(VALU_DEP_1)
	v_maxmin_f32 v10, v10, v22, v23
	v_and_b32_e32 v11, 0x7fffffff, v10
	s_delay_alu instid0(VALU_DEP_1)
	v_cmpx_gt_u32_e32 0x43f00000, v11
	s_cbranch_execz .LBB40_23
; %bb.18:
	s_mov_b32 s6, exec_lo
                                        ; implicit-def: $vgpr4
	v_cmpx_lt_u32_e32 0x3c7fffff, v11
	s_xor_b32 s6, exec_lo, s6
; %bb.19:
	v_bfe_u32 v4, v10, 20, 1
	s_delay_alu instid0(VALU_DEP_1) | instskip(NEXT) | instid1(VALU_DEP_1)
	v_add3_u32 v4, v10, v4, 0x407ffff
	v_lshrrev_b32_e32 v4, 20, v4
; %bb.20:
	s_and_not1_saveexec_b32 s6, s6
; %bb.21:
	v_add_f32_e64 v4, 0x46800000, |v10|
; %bb.22:
	s_or_b32 exec_lo, exec_lo, s6
.LBB40_23:
	s_delay_alu instid0(SALU_CYCLE_1) | instskip(SKIP_2) | instid1(VALU_DEP_1)
	s_or_b32 exec_lo, exec_lo, s3
	v_cvt_f32_f16_e32 v5, v5
	s_mov_b32 s3, exec_lo
	v_dual_mov_b32 v20, 0x7f :: v_dual_mul_f32 v5, v21, v5
	s_delay_alu instid0(VALU_DEP_1) | instskip(SKIP_1) | instid1(VALU_DEP_2)
	v_maxmin_f32 v11, v5, v22, v23
	v_mov_b32_e32 v5, 0x7f
	v_and_b32_e32 v26, 0x7fffffff, v11
	s_delay_alu instid0(VALU_DEP_1)
	v_cmpx_gt_u32_e32 0x43f00000, v26
	s_cbranch_execz .LBB40_29
; %bb.24:
	s_mov_b32 s6, exec_lo
                                        ; implicit-def: $vgpr20
	v_cmpx_lt_u32_e32 0x3c7fffff, v26
	s_xor_b32 s6, exec_lo, s6
; %bb.25:
	v_bfe_u32 v20, v11, 20, 1
	s_delay_alu instid0(VALU_DEP_1) | instskip(NEXT) | instid1(VALU_DEP_1)
	v_add3_u32 v20, v11, v20, 0x407ffff
	v_lshrrev_b32_e32 v20, 20, v20
; %bb.26:
	s_and_not1_saveexec_b32 s6, s6
; %bb.27:
	v_add_f32_e64 v20, 0x46800000, |v11|
; %bb.28:
	s_or_b32 exec_lo, exec_lo, s6
.LBB40_29:
	s_delay_alu instid0(SALU_CYCLE_1) | instskip(SKIP_2) | instid1(VALU_DEP_1)
	s_or_b32 exec_lo, exec_lo, s3
	v_cvt_f32_f16_e32 v24, v24
	s_mov_b32 s3, exec_lo
	v_mul_f32_e32 v24, v21, v24
	s_delay_alu instid0(VALU_DEP_1) | instskip(NEXT) | instid1(VALU_DEP_1)
	v_maxmin_f32 v24, v24, v22, v23
	v_and_b32_e32 v26, 0x7fffffff, v24
	s_delay_alu instid0(VALU_DEP_1)
	v_cmpx_gt_u32_e32 0x43f00000, v26
	s_cbranch_execz .LBB40_35
; %bb.30:
	s_mov_b32 s6, exec_lo
                                        ; implicit-def: $vgpr5
	v_cmpx_lt_u32_e32 0x3c7fffff, v26
	s_xor_b32 s6, exec_lo, s6
; %bb.31:
	v_bfe_u32 v5, v24, 20, 1
	s_delay_alu instid0(VALU_DEP_1) | instskip(NEXT) | instid1(VALU_DEP_1)
	v_add3_u32 v5, v24, v5, 0x407ffff
	v_lshrrev_b32_e32 v5, 20, v5
; %bb.32:
	s_and_not1_saveexec_b32 s6, s6
; %bb.33:
	v_add_f32_e64 v5, 0x46800000, |v24|
; %bb.34:
	s_or_b32 exec_lo, exec_lo, s6
.LBB40_35:
	s_delay_alu instid0(SALU_CYCLE_1) | instskip(SKIP_3) | instid1(VALU_DEP_2)
	s_or_b32 exec_lo, exec_lo, s3
	v_cvt_f32_f16_e32 v6, v6
	v_mov_b32_e32 v26, 0x7f
	s_mov_b32 s3, exec_lo
	v_mul_f32_e32 v6, v21, v6
	s_delay_alu instid0(VALU_DEP_1) | instskip(SKIP_1) | instid1(VALU_DEP_2)
	v_maxmin_f32 v27, v6, v22, v23
	v_mov_b32_e32 v6, 0x7f
	v_and_b32_e32 v29, 0x7fffffff, v27
	s_delay_alu instid0(VALU_DEP_1)
	v_cmpx_gt_u32_e32 0x43f00000, v29
	s_cbranch_execz .LBB40_41
; %bb.36:
	s_mov_b32 s6, exec_lo
                                        ; implicit-def: $vgpr26
	v_cmpx_lt_u32_e32 0x3c7fffff, v29
	s_xor_b32 s6, exec_lo, s6
; %bb.37:
	v_bfe_u32 v26, v27, 20, 1
	s_delay_alu instid0(VALU_DEP_1) | instskip(NEXT) | instid1(VALU_DEP_1)
	v_add3_u32 v26, v27, v26, 0x407ffff
	v_lshrrev_b32_e32 v26, 20, v26
; %bb.38:
	s_and_not1_saveexec_b32 s6, s6
; %bb.39:
	v_add_f32_e64 v26, 0x46800000, |v27|
; %bb.40:
	s_or_b32 exec_lo, exec_lo, s6
.LBB40_41:
	s_delay_alu instid0(SALU_CYCLE_1) | instskip(SKIP_2) | instid1(VALU_DEP_1)
	s_or_b32 exec_lo, exec_lo, s3
	v_cvt_f32_f16_e32 v28, v28
	s_mov_b32 s3, exec_lo
	v_mul_f32_e32 v28, v21, v28
	s_delay_alu instid0(VALU_DEP_1) | instskip(NEXT) | instid1(VALU_DEP_1)
	v_maxmin_f32 v28, v28, v22, v23
	v_and_b32_e32 v29, 0x7fffffff, v28
	s_delay_alu instid0(VALU_DEP_1)
	v_cmpx_gt_u32_e32 0x43f00000, v29
	s_cbranch_execz .LBB40_47
; %bb.42:
	s_mov_b32 s6, exec_lo
                                        ; implicit-def: $vgpr6
	v_cmpx_lt_u32_e32 0x3c7fffff, v29
	s_xor_b32 s6, exec_lo, s6
; %bb.43:
	v_bfe_u32 v6, v28, 20, 1
	s_delay_alu instid0(VALU_DEP_1) | instskip(NEXT) | instid1(VALU_DEP_1)
	v_add3_u32 v6, v28, v6, 0x407ffff
	v_lshrrev_b32_e32 v6, 20, v6
; %bb.44:
	s_and_not1_saveexec_b32 s6, s6
; %bb.45:
	v_add_f32_e64 v6, 0x46800000, |v28|
; %bb.46:
	s_or_b32 exec_lo, exec_lo, s6
.LBB40_47:
	s_delay_alu instid0(SALU_CYCLE_1) | instskip(SKIP_3) | instid1(VALU_DEP_2)
	s_or_b32 exec_lo, exec_lo, s3
	v_cvt_f32_f16_e32 v7, v7
	v_mov_b32_e32 v29, 0x7f
	s_mov_b32 s3, exec_lo
	v_mul_f32_e32 v7, v21, v7
	s_delay_alu instid0(VALU_DEP_1) | instskip(SKIP_1) | instid1(VALU_DEP_2)
	v_maxmin_f32 v30, v7, v22, v23
	v_mov_b32_e32 v7, 0x7f
	v_and_b32_e32 v31, 0x7fffffff, v30
	s_delay_alu instid0(VALU_DEP_1)
	v_cmpx_gt_u32_e32 0x43f00000, v31
	s_cbranch_execz .LBB40_53
; %bb.48:
	s_mov_b32 s6, exec_lo
                                        ; implicit-def: $vgpr29
	v_cmpx_lt_u32_e32 0x3c7fffff, v31
	s_xor_b32 s6, exec_lo, s6
; %bb.49:
	v_bfe_u32 v29, v30, 20, 1
	s_delay_alu instid0(VALU_DEP_1) | instskip(NEXT) | instid1(VALU_DEP_1)
	v_add3_u32 v29, v30, v29, 0x407ffff
	v_lshrrev_b32_e32 v29, 20, v29
; %bb.50:
	s_and_not1_saveexec_b32 s6, s6
; %bb.51:
	v_add_f32_e64 v29, 0x46800000, |v30|
; %bb.52:
	s_or_b32 exec_lo, exec_lo, s6
.LBB40_53:
	s_delay_alu instid0(SALU_CYCLE_1) | instskip(SKIP_2) | instid1(VALU_DEP_1)
	s_or_b32 exec_lo, exec_lo, s3
	v_cvt_f32_f16_e32 v25, v25
	s_mov_b32 s3, exec_lo
	v_mul_f32_e32 v25, v21, v25
	s_delay_alu instid0(VALU_DEP_1) | instskip(NEXT) | instid1(VALU_DEP_1)
	v_maxmin_f32 v25, v25, v22, v23
	v_and_b32_e32 v31, 0x7fffffff, v25
	s_delay_alu instid0(VALU_DEP_1)
	v_cmpx_gt_u32_e32 0x43f00000, v31
	s_cbranch_execz .LBB40_59
; %bb.54:
	s_mov_b32 s6, exec_lo
                                        ; implicit-def: $vgpr7
	v_cmpx_lt_u32_e32 0x3c7fffff, v31
	s_xor_b32 s6, exec_lo, s6
; %bb.55:
	v_bfe_u32 v7, v25, 20, 1
	s_delay_alu instid0(VALU_DEP_1) | instskip(NEXT) | instid1(VALU_DEP_1)
	v_add3_u32 v7, v25, v7, 0x407ffff
	v_lshrrev_b32_e32 v7, 20, v7
; %bb.56:
	s_and_not1_saveexec_b32 s6, s6
; %bb.57:
	v_add_f32_e64 v7, 0x46800000, |v25|
; %bb.58:
	s_or_b32 exec_lo, exec_lo, s6
.LBB40_59:
	s_delay_alu instid0(SALU_CYCLE_1) | instskip(SKIP_2) | instid1(VALU_DEP_1)
	s_or_b32 exec_lo, exec_lo, s3
	v_cvt_f32_f16_e32 v0, v0
	s_mov_b32 s3, exec_lo
	v_dual_mov_b32 v31, 0x7f :: v_dual_mul_f32 v0, v21, v0
	s_delay_alu instid0(VALU_DEP_1) | instskip(SKIP_1) | instid1(VALU_DEP_2)
	v_maxmin_f32 v32, v0, v22, v23
	v_mov_b32_e32 v0, 0x7f
	v_and_b32_e32 v33, 0x7fffffff, v32
	s_delay_alu instid0(VALU_DEP_1)
	v_cmpx_gt_u32_e32 0x43f00000, v33
	s_cbranch_execz .LBB40_65
; %bb.60:
	s_mov_b32 s6, exec_lo
                                        ; implicit-def: $vgpr31
	v_cmpx_lt_u32_e32 0x3c7fffff, v33
	s_xor_b32 s6, exec_lo, s6
; %bb.61:
	v_bfe_u32 v31, v32, 20, 1
	s_delay_alu instid0(VALU_DEP_1) | instskip(NEXT) | instid1(VALU_DEP_1)
	v_add3_u32 v31, v32, v31, 0x407ffff
	v_lshrrev_b32_e32 v31, 20, v31
; %bb.62:
	s_and_not1_saveexec_b32 s6, s6
; %bb.63:
	v_add_f32_e64 v31, 0x46800000, |v32|
; %bb.64:
	s_or_b32 exec_lo, exec_lo, s6
.LBB40_65:
	s_delay_alu instid0(SALU_CYCLE_1) | instskip(SKIP_2) | instid1(VALU_DEP_1)
	s_or_b32 exec_lo, exec_lo, s3
	v_cvt_f32_f16_e32 v19, v19
	s_mov_b32 s3, exec_lo
	v_mul_f32_e32 v19, v21, v19
	s_delay_alu instid0(VALU_DEP_1) | instskip(NEXT) | instid1(VALU_DEP_1)
	v_maxmin_f32 v19, v19, v22, v23
	v_and_b32_e32 v33, 0x7fffffff, v19
	s_delay_alu instid0(VALU_DEP_1)
	v_cmpx_gt_u32_e32 0x43f00000, v33
	s_cbranch_execz .LBB40_71
; %bb.66:
	s_mov_b32 s6, exec_lo
                                        ; implicit-def: $vgpr0
	v_cmpx_lt_u32_e32 0x3c7fffff, v33
	s_xor_b32 s6, exec_lo, s6
; %bb.67:
	v_bfe_u32 v0, v19, 20, 1
	s_delay_alu instid0(VALU_DEP_1) | instskip(NEXT) | instid1(VALU_DEP_1)
	v_add3_u32 v0, v19, v0, 0x407ffff
	v_lshrrev_b32_e32 v0, 20, v0
; %bb.68:
	s_and_not1_saveexec_b32 s6, s6
; %bb.69:
	v_add_f32_e64 v0, 0x46800000, |v19|
; %bb.70:
	s_or_b32 exec_lo, exec_lo, s6
.LBB40_71:
	s_delay_alu instid0(SALU_CYCLE_1) | instskip(SKIP_3) | instid1(VALU_DEP_2)
	s_or_b32 exec_lo, exec_lo, s3
	v_cvt_f32_f16_e32 v1, v1
	v_mov_b32_e32 v33, 0x7f
	s_mov_b32 s3, exec_lo
	v_mul_f32_e32 v1, v21, v1
	s_delay_alu instid0(VALU_DEP_1) | instskip(SKIP_1) | instid1(VALU_DEP_2)
	v_maxmin_f32 v34, v1, v22, v23
	v_mov_b32_e32 v1, 0x7f
	v_and_b32_e32 v35, 0x7fffffff, v34
	s_delay_alu instid0(VALU_DEP_1)
	v_cmpx_gt_u32_e32 0x43f00000, v35
	s_cbranch_execz .LBB40_77
; %bb.72:
	s_mov_b32 s6, exec_lo
                                        ; implicit-def: $vgpr33
	v_cmpx_lt_u32_e32 0x3c7fffff, v35
	s_xor_b32 s6, exec_lo, s6
; %bb.73:
	v_bfe_u32 v33, v34, 20, 1
	s_delay_alu instid0(VALU_DEP_1) | instskip(NEXT) | instid1(VALU_DEP_1)
	v_add3_u32 v33, v34, v33, 0x407ffff
	v_lshrrev_b32_e32 v33, 20, v33
; %bb.74:
	s_and_not1_saveexec_b32 s6, s6
; %bb.75:
	v_add_f32_e64 v33, 0x46800000, |v34|
; %bb.76:
	s_or_b32 exec_lo, exec_lo, s6
.LBB40_77:
	s_delay_alu instid0(SALU_CYCLE_1) | instskip(SKIP_2) | instid1(VALU_DEP_1)
	s_or_b32 exec_lo, exec_lo, s3
	v_cvt_f32_f16_e32 v18, v18
	s_mov_b32 s3, exec_lo
	v_mul_f32_e32 v18, v21, v18
	s_delay_alu instid0(VALU_DEP_1) | instskip(NEXT) | instid1(VALU_DEP_1)
	v_maxmin_f32 v18, v18, v22, v23
	v_and_b32_e32 v35, 0x7fffffff, v18
	s_delay_alu instid0(VALU_DEP_1)
	v_cmpx_gt_u32_e32 0x43f00000, v35
	s_cbranch_execz .LBB40_83
; %bb.78:
	s_mov_b32 s6, exec_lo
                                        ; implicit-def: $vgpr1
	v_cmpx_lt_u32_e32 0x3c7fffff, v35
	s_xor_b32 s6, exec_lo, s6
; %bb.79:
	v_bfe_u32 v1, v18, 20, 1
	s_delay_alu instid0(VALU_DEP_1) | instskip(NEXT) | instid1(VALU_DEP_1)
	v_add3_u32 v1, v18, v1, 0x407ffff
	v_lshrrev_b32_e32 v1, 20, v1
; %bb.80:
	s_and_not1_saveexec_b32 s6, s6
; %bb.81:
	v_add_f32_e64 v1, 0x46800000, |v18|
; %bb.82:
	s_or_b32 exec_lo, exec_lo, s6
.LBB40_83:
	s_delay_alu instid0(SALU_CYCLE_1) | instskip(SKIP_2) | instid1(VALU_DEP_1)
	s_or_b32 exec_lo, exec_lo, s3
	v_cvt_f32_f16_e32 v2, v2
	s_mov_b32 s3, exec_lo
	v_dual_mov_b32 v35, 0x7f :: v_dual_mul_f32 v2, v21, v2
	s_delay_alu instid0(VALU_DEP_1) | instskip(SKIP_1) | instid1(VALU_DEP_2)
	v_maxmin_f32 v36, v2, v22, v23
	v_mov_b32_e32 v2, 0x7f
	v_and_b32_e32 v37, 0x7fffffff, v36
	s_delay_alu instid0(VALU_DEP_1)
	v_cmpx_gt_u32_e32 0x43f00000, v37
	s_cbranch_execz .LBB40_89
; %bb.84:
	s_mov_b32 s6, exec_lo
                                        ; implicit-def: $vgpr35
	v_cmpx_lt_u32_e32 0x3c7fffff, v37
	s_xor_b32 s6, exec_lo, s6
; %bb.85:
	v_bfe_u32 v35, v36, 20, 1
	s_delay_alu instid0(VALU_DEP_1) | instskip(NEXT) | instid1(VALU_DEP_1)
	v_add3_u32 v35, v36, v35, 0x407ffff
	v_lshrrev_b32_e32 v35, 20, v35
; %bb.86:
	s_and_not1_saveexec_b32 s6, s6
; %bb.87:
	v_add_f32_e64 v35, 0x46800000, |v36|
; %bb.88:
	s_or_b32 exec_lo, exec_lo, s6
.LBB40_89:
	s_delay_alu instid0(SALU_CYCLE_1) | instskip(SKIP_2) | instid1(VALU_DEP_1)
	s_or_b32 exec_lo, exec_lo, s3
	v_cvt_f32_f16_e32 v17, v17
	s_mov_b32 s3, exec_lo
	v_mul_f32_e32 v17, v21, v17
	s_delay_alu instid0(VALU_DEP_1) | instskip(NEXT) | instid1(VALU_DEP_1)
	v_maxmin_f32 v17, v17, v22, v23
	v_and_b32_e32 v37, 0x7fffffff, v17
	s_delay_alu instid0(VALU_DEP_1)
	v_cmpx_gt_u32_e32 0x43f00000, v37
	s_cbranch_execz .LBB40_95
; %bb.90:
	s_mov_b32 s6, exec_lo
                                        ; implicit-def: $vgpr2
	v_cmpx_lt_u32_e32 0x3c7fffff, v37
	s_xor_b32 s6, exec_lo, s6
; %bb.91:
	v_bfe_u32 v2, v17, 20, 1
	s_delay_alu instid0(VALU_DEP_1) | instskip(NEXT) | instid1(VALU_DEP_1)
	v_add3_u32 v2, v17, v2, 0x407ffff
	v_lshrrev_b32_e32 v2, 20, v2
; %bb.92:
	s_and_not1_saveexec_b32 s6, s6
; %bb.93:
	v_add_f32_e64 v2, 0x46800000, |v17|
; %bb.94:
	s_or_b32 exec_lo, exec_lo, s6
.LBB40_95:
	s_delay_alu instid0(SALU_CYCLE_1) | instskip(SKIP_3) | instid1(VALU_DEP_2)
	s_or_b32 exec_lo, exec_lo, s3
	v_cvt_f32_f16_e32 v3, v3
	v_mov_b32_e32 v37, 0x7f
	s_mov_b32 s3, exec_lo
	v_mul_f32_e32 v3, v21, v3
	s_delay_alu instid0(VALU_DEP_1) | instskip(SKIP_1) | instid1(VALU_DEP_2)
	v_maxmin_f32 v38, v3, v22, v23
	v_mov_b32_e32 v3, 0x7f
	v_and_b32_e32 v39, 0x7fffffff, v38
	s_delay_alu instid0(VALU_DEP_1)
	v_cmpx_gt_u32_e32 0x43f00000, v39
	s_cbranch_execz .LBB40_101
; %bb.96:
	s_mov_b32 s6, exec_lo
                                        ; implicit-def: $vgpr37
	v_cmpx_lt_u32_e32 0x3c7fffff, v39
	s_xor_b32 s6, exec_lo, s6
; %bb.97:
	v_bfe_u32 v37, v38, 20, 1
	s_delay_alu instid0(VALU_DEP_1) | instskip(NEXT) | instid1(VALU_DEP_1)
	v_add3_u32 v37, v38, v37, 0x407ffff
	v_lshrrev_b32_e32 v37, 20, v37
; %bb.98:
	s_and_not1_saveexec_b32 s6, s6
; %bb.99:
	v_add_f32_e64 v37, 0x46800000, |v38|
; %bb.100:
	s_or_b32 exec_lo, exec_lo, s6
.LBB40_101:
	s_delay_alu instid0(SALU_CYCLE_1) | instskip(SKIP_2) | instid1(VALU_DEP_1)
	s_or_b32 exec_lo, exec_lo, s3
	v_cvt_f32_f16_e32 v14, v14
	s_mov_b32 s3, exec_lo
	v_mul_f32_e32 v14, v21, v14
	s_delay_alu instid0(VALU_DEP_1) | instskip(NEXT) | instid1(VALU_DEP_1)
	v_maxmin_f32 v14, v14, v22, v23
	v_and_b32_e32 v21, 0x7fffffff, v14
	s_delay_alu instid0(VALU_DEP_1)
	v_cmpx_gt_u32_e32 0x43f00000, v21
	s_cbranch_execz .LBB40_107
; %bb.102:
	s_mov_b32 s6, exec_lo
                                        ; implicit-def: $vgpr3
	v_cmpx_lt_u32_e32 0x3c7fffff, v21
	s_xor_b32 s6, exec_lo, s6
; %bb.103:
	v_bfe_u32 v3, v14, 20, 1
	s_delay_alu instid0(VALU_DEP_1) | instskip(NEXT) | instid1(VALU_DEP_1)
	v_add3_u32 v3, v14, v3, 0x407ffff
	v_lshrrev_b32_e32 v3, 20, v3
; %bb.104:
	s_and_not1_saveexec_b32 s6, s6
; %bb.105:
	v_add_f32_e64 v3, 0x46800000, |v14|
; %bb.106:
	s_or_b32 exec_lo, exec_lo, s6
.LBB40_107:
	s_delay_alu instid0(SALU_CYCLE_1)
	s_or_b32 exec_lo, exec_lo, s3
	v_lshrrev_b32_e32 v21, 24, v36
	v_lshrrev_b32_e32 v17, 24, v17
	;; [unrolled: 1-line block ×5, first 2 shown]
	v_and_b32_e32 v21, 0x80, v21
	v_and_b32_e32 v17, 0x80, v17
	v_lshrrev_b32_e32 v32, 24, v34
	v_and_b32_e32 v23, 0x80, v23
	v_and_b32_e32 v19, 0x80, v19
	v_and_or_b32 v21, 0xff, v35, v21
	v_and_or_b32 v2, 0xff, v2, v17
	v_and_b32_e32 v17, 0x80, v22
	v_and_or_b32 v22, 0xff, v31, v23
	v_and_or_b32 v0, 0xff, v0, v19
	v_and_b32_e32 v19, 0x80, v32
	v_lshl_or_b32 v2, v2, 8, v21
	v_and_or_b32 v17, 0xff, v37, v17
	v_lshrrev_b32_e32 v21, 24, v27
	v_lshl_or_b32 v0, v0, 8, v22
	v_and_or_b32 v19, 0xff, v33, v19
	v_lshrrev_b32_e32 v9, 24, v9
	v_lshl_or_b32 v2, v17, 16, v2
	v_and_b32_e32 v17, 0x80, v21
	v_lshrrev_b32_e32 v21, 24, v28
	v_lshrrev_b32_e32 v10, 24, v10
	v_lshl_or_b32 v0, v19, 16, v0
	v_and_b32_e32 v9, 0x80, v9
	v_lshrrev_b32_e32 v11, 24, v11
	v_and_b32_e32 v19, 0x80, v21
	v_lshrrev_b32_e32 v21, 24, v30
	v_and_b32_e32 v10, 0x80, v10
	v_and_or_b32 v17, 0xff, v26, v17
	v_and_or_b32 v8, 0xff, v8, v9
	;; [unrolled: 1-line block ×3, first 2 shown]
	v_and_b32_e32 v19, 0x80, v21
	v_and_or_b32 v4, 0xff, v4, v10
	v_and_b32_e32 v9, 0x80, v11
	v_lshlrev_b32_e32 v1, 24, v1
	v_lshl_or_b32 v6, v6, 8, v17
	v_and_or_b32 v10, 0xff, v29, v19
	v_lshl_or_b32 v4, v4, 8, v8
	v_and_or_b32 v8, 0xff, v20, v9
	v_and_b32_e32 v9, 0x80000000, v18
	v_lshlrev_b32_e32 v7, 24, v7
	v_lshl_or_b32 v6, v10, 16, v6
	v_and_b32_e32 v11, 0x80000000, v25
	v_lshl_or_b32 v4, v8, 16, v4
	v_lshlrev_b32_e32 v5, 24, v5
	v_and_b32_e32 v8, 0x80000000, v24
	v_and_b32_e32 v14, 0x80000000, v14
	v_lshlrev_b32_e32 v3, 24, v3
	v_or3_b32 v10, v9, v1, v0
	v_or3_b32 v9, v11, v7, v6
	;; [unrolled: 1-line block ×3, first 2 shown]
	s_or_b32 s5, s5, exec_lo
	v_or3_b32 v11, v14, v3, v2
.LBB40_108:
	s_or_b32 exec_lo, exec_lo, s2
	s_delay_alu instid0(SALU_CYCLE_1)
	s_and_b32 exec_lo, exec_lo, s5
	s_cbranch_execz .LBB40_110
; %bb.109:
	s_load_b64 s[0:1], s[0:1], 0x8
	v_lshlrev_b32_e32 v2, 7, v12
	v_alignbit_b32 v0, v16, v12, 25
	s_ashr_i32 s2, s4, 31
	s_delay_alu instid0(VALU_DEP_2) | instid1(SALU_CYCLE_1)
	v_mul_lo_u32 v3, v2, s2
	s_delay_alu instid0(VALU_DEP_2) | instskip(SKIP_3) | instid1(VALU_DEP_2)
	v_mul_lo_u32 v4, v0, s4
	s_waitcnt lgkmcnt(0)
	v_mad_u64_u32 v[0:1], null, v2, s4, s[0:1]
	v_ashrrev_i32_e32 v2, 31, v13
	v_add3_u32 v1, v4, v1, v3
	v_lshlrev_b32_e32 v3, 4, v15
	s_delay_alu instid0(VALU_DEP_4) | instskip(NEXT) | instid1(VALU_DEP_3)
	v_add_co_u32 v0, vcc_lo, v0, v13
	v_add_co_ci_u32_e32 v1, vcc_lo, v1, v2, vcc_lo
	s_delay_alu instid0(VALU_DEP_2) | instskip(NEXT) | instid1(VALU_DEP_2)
	v_add_co_u32 v0, vcc_lo, v0, v3
	v_add_co_ci_u32_e32 v1, vcc_lo, 0, v1, vcc_lo
	global_store_b128 v[0:1], v[8:11], off
.LBB40_110:
	s_nop 0
	s_sendmsg sendmsg(MSG_DEALLOC_VGPRS)
	s_endpgm
	.section	.rodata,"a",@progbits
	.p2align	6, 0x0
	.amdhsa_kernel _Z49per_token_group_quant_8bit_packed_register_kernelIN3c104HalfENS0_13Float8_e4m3fnELi128ELi8ELi2EEvPKT_PvPjiiiiilfff
		.amdhsa_group_segment_fixed_size 0
		.amdhsa_private_segment_fixed_size 0
		.amdhsa_kernarg_size 68
		.amdhsa_user_sgpr_count 14
		.amdhsa_user_sgpr_dispatch_ptr 0
		.amdhsa_user_sgpr_queue_ptr 0
		.amdhsa_user_sgpr_kernarg_segment_ptr 1
		.amdhsa_user_sgpr_dispatch_id 0
		.amdhsa_user_sgpr_private_segment_size 0
		.amdhsa_wavefront_size32 1
		.amdhsa_uses_dynamic_stack 0
		.amdhsa_enable_private_segment 0
		.amdhsa_system_sgpr_workgroup_id_x 1
		.amdhsa_system_sgpr_workgroup_id_y 1
		.amdhsa_system_sgpr_workgroup_id_z 0
		.amdhsa_system_sgpr_workgroup_info 0
		.amdhsa_system_vgpr_workitem_id 0
		.amdhsa_next_free_vgpr 40
		.amdhsa_next_free_sgpr 16
		.amdhsa_reserve_vcc 1
		.amdhsa_float_round_mode_32 0
		.amdhsa_float_round_mode_16_64 0
		.amdhsa_float_denorm_mode_32 3
		.amdhsa_float_denorm_mode_16_64 3
		.amdhsa_dx10_clamp 1
		.amdhsa_ieee_mode 1
		.amdhsa_fp16_overflow 0
		.amdhsa_workgroup_processor_mode 1
		.amdhsa_memory_ordered 1
		.amdhsa_forward_progress 0
		.amdhsa_shared_vgpr_count 0
		.amdhsa_exception_fp_ieee_invalid_op 0
		.amdhsa_exception_fp_denorm_src 0
		.amdhsa_exception_fp_ieee_div_zero 0
		.amdhsa_exception_fp_ieee_overflow 0
		.amdhsa_exception_fp_ieee_underflow 0
		.amdhsa_exception_fp_ieee_inexact 0
		.amdhsa_exception_int_div_zero 0
	.end_amdhsa_kernel
	.section	.text._Z49per_token_group_quant_8bit_packed_register_kernelIN3c104HalfENS0_13Float8_e4m3fnELi128ELi8ELi2EEvPKT_PvPjiiiiilfff,"axG",@progbits,_Z49per_token_group_quant_8bit_packed_register_kernelIN3c104HalfENS0_13Float8_e4m3fnELi128ELi8ELi2EEvPKT_PvPjiiiiilfff,comdat
.Lfunc_end40:
	.size	_Z49per_token_group_quant_8bit_packed_register_kernelIN3c104HalfENS0_13Float8_e4m3fnELi128ELi8ELi2EEvPKT_PvPjiiiiilfff, .Lfunc_end40-_Z49per_token_group_quant_8bit_packed_register_kernelIN3c104HalfENS0_13Float8_e4m3fnELi128ELi8ELi2EEvPKT_PvPjiiiiilfff
                                        ; -- End function
	.section	.AMDGPU.csdata,"",@progbits
; Kernel info:
; codeLenInByte = 3804
; NumSgprs: 18
; NumVgprs: 40
; ScratchSize: 0
; MemoryBound: 0
; FloatMode: 240
; IeeeMode: 1
; LDSByteSize: 0 bytes/workgroup (compile time only)
; SGPRBlocks: 2
; VGPRBlocks: 4
; NumSGPRsForWavesPerEU: 18
; NumVGPRsForWavesPerEU: 40
; Occupancy: 16
; WaveLimiterHint : 0
; COMPUTE_PGM_RSRC2:SCRATCH_EN: 0
; COMPUTE_PGM_RSRC2:USER_SGPR: 14
; COMPUTE_PGM_RSRC2:TRAP_HANDLER: 0
; COMPUTE_PGM_RSRC2:TGID_X_EN: 1
; COMPUTE_PGM_RSRC2:TGID_Y_EN: 1
; COMPUTE_PGM_RSRC2:TGID_Z_EN: 0
; COMPUTE_PGM_RSRC2:TIDIG_COMP_CNT: 0
	.section	.text._Z49per_token_group_quant_8bit_packed_register_kernelIN3c104HalfENS0_13Float8_e4m3fnELi128ELi4ELi4EEvPKT_PvPjiiiiilfff,"axG",@progbits,_Z49per_token_group_quant_8bit_packed_register_kernelIN3c104HalfENS0_13Float8_e4m3fnELi128ELi4ELi4EEvPKT_PvPjiiiiilfff,comdat
	.protected	_Z49per_token_group_quant_8bit_packed_register_kernelIN3c104HalfENS0_13Float8_e4m3fnELi128ELi4ELi4EEvPKT_PvPjiiiiilfff ; -- Begin function _Z49per_token_group_quant_8bit_packed_register_kernelIN3c104HalfENS0_13Float8_e4m3fnELi128ELi4ELi4EEvPKT_PvPjiiiiilfff
	.globl	_Z49per_token_group_quant_8bit_packed_register_kernelIN3c104HalfENS0_13Float8_e4m3fnELi128ELi4ELi4EEvPKT_PvPjiiiiilfff
	.p2align	8
	.type	_Z49per_token_group_quant_8bit_packed_register_kernelIN3c104HalfENS0_13Float8_e4m3fnELi128ELi4ELi4EEvPKT_PvPjiiiiilfff,@function
_Z49per_token_group_quant_8bit_packed_register_kernelIN3c104HalfENS0_13Float8_e4m3fnELi128ELi4ELi4EEvPKT_PvPjiiiiilfff: ; @_Z49per_token_group_quant_8bit_packed_register_kernelIN3c104HalfENS0_13Float8_e4m3fnELi128ELi4ELi4EEvPKT_PvPjiiiiilfff
; %bb.0:
	s_load_b128 s[4:7], s[0:1], 0x1c
	v_lshrrev_b32_e32 v1, 5, v0
	s_mov_b32 s2, exec_lo
	s_delay_alu instid0(VALU_DEP_1) | instskip(SKIP_1) | instid1(VALU_DEP_1)
	v_lshl_add_u32 v12, s15, 2, v1
	s_waitcnt lgkmcnt(0)
	v_cmpx_gt_i32_e64 s7, v12
	s_cbranch_execz .LBB41_110
; %bb.1:
	s_load_b128 s[8:11], s[0:1], 0x38
	v_lshrrev_b32_e32 v1, 3, v0
	s_lshl_b32 s2, s14, 2
	v_and_b32_e32 v15, 7, v0
	v_ashrrev_i32_e32 v16, 31, v12
                                        ; implicit-def: $vgpr14
                                        ; implicit-def: $vgpr3
                                        ; implicit-def: $vgpr17
                                        ; implicit-def: $vgpr18
                                        ; implicit-def: $vgpr19
                                        ; implicit-def: $vgpr25
                                        ; implicit-def: $vgpr7
                                        ; implicit-def: $vgpr28
                                        ; implicit-def: $vgpr24
                                        ; implicit-def: $vgpr20
	s_delay_alu instid0(VALU_DEP_3) | instskip(SKIP_1) | instid1(VALU_DEP_2)
	v_and_or_b32 v10, v1, 3, s2
	v_cmp_gt_i32_e64 s2, s5, v12
	v_cmp_gt_i32_e64 s3, s4, v10
	v_lshlrev_b32_e32 v13, 7, v10
	s_waitcnt lgkmcnt(0)
	s_delay_alu instid0(VALU_DEP_2)
	s_and_b32 s11, s2, s3
	v_mov_b32_e32 v8, s8
	s_and_saveexec_b32 s5, s11
	s_cbranch_execz .LBB41_3
; %bb.2:
	s_load_b64 s[12:13], s[0:1], 0x0
	v_lshlrev_b32_e32 v2, 8, v12
	v_alignbit_b32 v0, v16, v12, 24
	s_ashr_i32 s14, s4, 31
	v_ashrrev_i32_e32 v14, 31, v13
	s_delay_alu instid0(VALU_DEP_3) | instskip(NEXT) | instid1(VALU_DEP_3)
	v_mul_lo_u32 v4, v2, s14
	v_mul_lo_u32 v5, v0, s4
	s_waitcnt lgkmcnt(0)
	v_mad_u64_u32 v[0:1], null, v2, s4, s[12:13]
	v_lshlrev_b64 v[2:3], 1, v[13:14]
	s_delay_alu instid0(VALU_DEP_2) | instskip(SKIP_1) | instid1(VALU_DEP_3)
	v_add3_u32 v1, v5, v1, v4
	v_lshlrev_b32_e32 v4, 5, v15
	v_add_co_u32 v0, vcc_lo, v0, v2
	s_delay_alu instid0(VALU_DEP_3) | instskip(NEXT) | instid1(VALU_DEP_2)
	v_add_co_ci_u32_e32 v1, vcc_lo, v1, v3, vcc_lo
	v_add_co_u32 v0, vcc_lo, v0, v4
	s_delay_alu instid0(VALU_DEP_2)
	v_add_co_ci_u32_e32 v1, vcc_lo, 0, v1, vcc_lo
	s_clause 0x1
	global_load_b128 v[4:7], v[0:1], off
	global_load_b128 v[0:3], v[0:1], off offset:16
	s_waitcnt vmcnt(1)
	v_lshrrev_b32_e32 v20, 16, v4
	v_lshrrev_b32_e32 v24, 16, v5
	v_cvt_f32_f16_e64 v8, |v4|
	v_lshrrev_b32_e32 v28, 16, v6
	v_cvt_f32_f16_e64 v11, |v5|
	v_cvt_f32_f16_e64 v9, |v20|
	;; [unrolled: 1-line block ×3, first 2 shown]
	v_lshrrev_b32_e32 v25, 16, v7
	v_cvt_f32_f16_e64 v17, |v28|
	s_waitcnt vmcnt(0)
	v_lshrrev_b32_e32 v19, 16, v0
	v_max3_f32 v8, s8, v8, v9
	v_cvt_f32_f16_e64 v9, |v6|
	v_lshrrev_b32_e32 v18, 16, v1
	s_delay_alu instid0(VALU_DEP_4) | instskip(NEXT) | instid1(VALU_DEP_4)
	v_cvt_f32_f16_e64 v21, |v19|
	v_max3_f32 v8, v8, v11, v14
	v_cvt_f32_f16_e64 v11, |v7|
	v_cvt_f32_f16_e64 v14, |v25|
	s_delay_alu instid0(VALU_DEP_3) | instskip(SKIP_2) | instid1(VALU_DEP_3)
	v_max3_f32 v8, v8, v9, v17
	v_cvt_f32_f16_e64 v9, |v0|
	v_lshrrev_b32_e32 v17, 16, v2
	v_max3_f32 v8, v8, v11, v14
	v_cvt_f32_f16_e64 v11, |v1|
	v_cvt_f32_f16_e64 v14, |v18|
	s_delay_alu instid0(VALU_DEP_3) | instskip(SKIP_2) | instid1(VALU_DEP_3)
	v_max3_f32 v8, v8, v9, v21
	v_cvt_f32_f16_e64 v9, |v2|
	v_cvt_f32_f16_e64 v21, |v17|
	v_max3_f32 v8, v8, v11, v14
	v_lshrrev_b32_e32 v14, 16, v3
	v_cvt_f32_f16_e64 v11, |v3|
	s_delay_alu instid0(VALU_DEP_3) | instskip(NEXT) | instid1(VALU_DEP_3)
	v_max3_f32 v8, v8, v9, v21
	v_cvt_f32_f16_e64 v9, |v14|
	s_delay_alu instid0(VALU_DEP_1)
	v_max3_f32 v8, v8, v11, v9
.LBB41_3:
	s_or_b32 exec_lo, exec_lo, s5
	v_mbcnt_lo_u32_b32 v9, -1, 0
	s_xor_b32 s8, s11, -1
	s_mov_b32 s5, 0
	s_mov_b32 s12, exec_lo
	s_delay_alu instid0(VALU_DEP_1) | instskip(SKIP_2) | instid1(VALU_DEP_3)
	v_and_b32_e32 v11, 24, v9
	v_xor_b32_e32 v21, 4, v9
	v_xor_b32_e32 v22, 2, v9
	v_add_nc_u32_e32 v11, 8, v11
	s_delay_alu instid0(VALU_DEP_1) | instskip(SKIP_1) | instid1(VALU_DEP_4)
	v_cmp_lt_i32_e32 vcc_lo, v21, v11
	v_cndmask_b32_e32 v21, v9, v21, vcc_lo
	v_cmp_lt_i32_e32 vcc_lo, v22, v11
	v_cndmask_b32_e32 v22, v9, v22, vcc_lo
	s_delay_alu instid0(VALU_DEP_1) | instskip(NEXT) | instid1(VALU_DEP_4)
	v_lshlrev_b32_e32 v22, 2, v22
	v_lshlrev_b32_e32 v21, 2, v21
	ds_bpermute_b32 v21, v21, v8
	s_waitcnt lgkmcnt(0)
	v_dual_max_f32 v8, v8, v8 :: v_dual_max_f32 v21, v21, v21
	s_delay_alu instid0(VALU_DEP_1) | instskip(SKIP_2) | instid1(VALU_DEP_1)
	v_max_f32_e32 v8, v8, v21
	ds_bpermute_b32 v21, v22, v8
	v_xor_b32_e32 v22, 1, v9
	v_cmp_lt_i32_e32 vcc_lo, v22, v11
	v_cndmask_b32_e32 v9, v9, v22, vcc_lo
	s_delay_alu instid0(VALU_DEP_1) | instskip(SKIP_2) | instid1(VALU_DEP_1)
	v_lshlrev_b32_e32 v9, 2, v9
	s_waitcnt lgkmcnt(0)
	v_max_f32_e32 v11, v21, v21
	v_max_f32_e32 v8, v8, v11
	ds_bpermute_b32 v9, v9, v8
	s_waitcnt lgkmcnt(0)
	v_max_f32_e32 v9, v9, v9
	s_delay_alu instid0(VALU_DEP_1) | instskip(NEXT) | instid1(VALU_DEP_1)
	v_max_f32_e32 v8, v8, v9
	v_div_scale_f32 v9, null, s10, s10, v8
	s_delay_alu instid0(VALU_DEP_1) | instskip(SKIP_2) | instid1(VALU_DEP_1)
	v_rcp_f32_e32 v11, v9
	s_waitcnt_depctr 0xfff
	v_fma_f32 v21, -v9, v11, 1.0
	v_fmac_f32_e32 v11, v21, v11
	v_div_scale_f32 v22, vcc_lo, v8, s10, v8
	s_delay_alu instid0(VALU_DEP_1) | instskip(NEXT) | instid1(VALU_DEP_1)
	v_mul_f32_e32 v21, v22, v11
	v_fma_f32 v23, -v9, v21, v22
	s_delay_alu instid0(VALU_DEP_1) | instskip(NEXT) | instid1(VALU_DEP_1)
	v_fmac_f32_e32 v21, v23, v11
	v_fma_f32 v9, -v9, v21, v22
	s_delay_alu instid0(VALU_DEP_1) | instskip(NEXT) | instid1(VALU_DEP_1)
	v_div_fmas_f32 v9, v9, v11, v21
	v_div_fixup_f32 v8, v9, s10, v8
	s_delay_alu instid0(VALU_DEP_1) | instskip(NEXT) | instid1(VALU_DEP_1)
	v_max_f32_e32 v8, 0x2edbe6ff, v8
	v_and_b32_e32 v9, 0x7fffff, v8
	v_lshrrev_b32_e32 v8, 23, v8
	s_delay_alu instid0(VALU_DEP_2) | instskip(NEXT) | instid1(VALU_DEP_2)
	v_cmp_ne_u32_e32 vcc_lo, 0, v9
	v_add_co_ci_u32_e32 v21, vcc_lo, 0, v8, vcc_lo
	v_cmpx_eq_u32_e32 0, v15
	s_cbranch_execz .LBB41_8
; %bb.4:
	v_ashrrev_i32_e32 v8, 31, v10
	s_delay_alu instid0(VALU_DEP_1) | instskip(NEXT) | instid1(VALU_DEP_1)
	v_lshrrev_b32_e32 v8, 30, v8
	v_add_nc_u32_e32 v8, v10, v8
	s_delay_alu instid0(VALU_DEP_1) | instskip(NEXT) | instid1(VALU_DEP_1)
	v_ashrrev_i32_e32 v11, 2, v8
	v_mad_u64_u32 v[8:9], null, v11, s7, v[12:13]
	v_mov_b32_e32 v9, v21
	s_and_saveexec_b32 s7, s8
	s_cbranch_execz .LBB41_6
; %bb.5:
	s_load_b64 s[14:15], s[0:1], 0x30
	s_delay_alu instid0(VALU_DEP_2) | instskip(SKIP_2) | instid1(VALU_DEP_1)
	v_ashrrev_i32_e32 v9, 31, v8
	s_and_not1_b32 s11, s11, exec_lo
	s_waitcnt lgkmcnt(0)
	v_cmp_gt_i64_e32 vcc_lo, s[14:15], v[8:9]
	v_mov_b32_e32 v9, 0
	s_and_b32 s13, vcc_lo, exec_lo
	s_delay_alu instid0(SALU_CYCLE_1)
	s_or_b32 s11, s11, s13
.LBB41_6:
	s_or_b32 exec_lo, exec_lo, s7
	s_delay_alu instid0(SALU_CYCLE_1)
	s_and_b32 exec_lo, exec_lo, s11
	s_cbranch_execz .LBB41_8
; %bb.7:
	s_load_b64 s[14:15], s[0:1], 0x10
	v_lshlrev_b32_e32 v11, 2, v11
	s_delay_alu instid0(VALU_DEP_1) | instskip(NEXT) | instid1(VALU_DEP_1)
	v_sub_nc_u32_e32 v10, v10, v11
	v_lshl_add_u32 v8, v8, 2, v10
	s_delay_alu instid0(VALU_DEP_1) | instskip(SKIP_2) | instid1(VALU_DEP_2)
	v_ashrrev_i32_e32 v11, 31, v8
	s_waitcnt lgkmcnt(0)
	v_add_co_u32 v10, vcc_lo, s14, v8
	v_add_co_ci_u32_e32 v11, vcc_lo, s15, v11, vcc_lo
	global_store_b8 v[10:11], v9, off
.LBB41_8:
	s_or_b32 exec_lo, exec_lo, s12
                                        ; implicit-def: $sgpr7
	s_and_saveexec_b32 s11, s8
	s_delay_alu instid0(SALU_CYCLE_1)
	s_xor_b32 s8, exec_lo, s11
; %bb.9:
	v_cmp_gt_i32_e32 vcc_lo, s6, v12
	s_xor_b32 s2, s2, -1
	s_mov_b32 s7, 0
                                        ; implicit-def: $vgpr14
                                        ; implicit-def: $vgpr3
                                        ; implicit-def: $vgpr17
                                        ; implicit-def: $vgpr18
                                        ; implicit-def: $vgpr19
                                        ; implicit-def: $vgpr25
                                        ; implicit-def: $vgpr7
                                        ; implicit-def: $vgpr28
                                        ; implicit-def: $vgpr24
                                        ; implicit-def: $vgpr20
                                        ; implicit-def: $vgpr21
	s_and_b32 s2, vcc_lo, s2
	s_delay_alu instid0(SALU_CYCLE_1) | instskip(NEXT) | instid1(SALU_CYCLE_1)
	s_and_b32 s2, s3, s2
	s_and_b32 s5, s2, exec_lo
; %bb.10:
	s_or_saveexec_b32 s2, s8
	v_dual_mov_b32 v11, s7 :: v_dual_mov_b32 v10, s7
	v_dual_mov_b32 v9, s7 :: v_dual_mov_b32 v8, s7
	s_xor_b32 exec_lo, exec_lo, s2
	s_cbranch_execz .LBB41_108
; %bb.11:
	v_lshlrev_b32_e32 v8, 23, v21
	v_cvt_f32_f16_e32 v4, v4
	v_max_f32_e64 v23, s10, s10
	s_mov_b32 s3, exec_lo
	s_delay_alu instid0(VALU_DEP_3) | instskip(NEXT) | instid1(VALU_DEP_1)
	v_and_b32_e32 v8, 0x7f800000, v8
	v_div_scale_f32 v9, null, v8, v8, 1.0
	v_div_scale_f32 v21, vcc_lo, 1.0, v8, 1.0
	s_delay_alu instid0(VALU_DEP_2) | instskip(SKIP_2) | instid1(VALU_DEP_1)
	v_rcp_f32_e32 v10, v9
	s_waitcnt_depctr 0xfff
	v_fma_f32 v11, -v9, v10, 1.0
	v_fmac_f32_e32 v10, v11, v10
	s_delay_alu instid0(VALU_DEP_1) | instskip(NEXT) | instid1(VALU_DEP_1)
	v_mul_f32_e32 v11, v21, v10
	v_fma_f32 v22, -v9, v11, v21
	s_delay_alu instid0(VALU_DEP_1) | instskip(SKIP_1) | instid1(VALU_DEP_2)
	v_fmac_f32_e32 v11, v22, v10
	v_max_f32_e64 v22, s9, s9
	v_fma_f32 v9, -v9, v11, v21
	s_delay_alu instid0(VALU_DEP_1) | instskip(NEXT) | instid1(VALU_DEP_1)
	v_div_fmas_f32 v9, v9, v10, v11
	v_div_fixup_f32 v21, v9, v8, 1.0
	v_mov_b32_e32 v8, 0x7f
	s_delay_alu instid0(VALU_DEP_2) | instskip(NEXT) | instid1(VALU_DEP_1)
	v_mul_f32_e32 v4, v21, v4
	v_maxmin_f32 v9, v4, v22, v23
	v_mov_b32_e32 v4, 0x7f
	s_delay_alu instid0(VALU_DEP_2) | instskip(NEXT) | instid1(VALU_DEP_1)
	v_and_b32_e32 v10, 0x7fffffff, v9
	v_cmpx_gt_u32_e32 0x43f00000, v10
	s_cbranch_execz .LBB41_17
; %bb.12:
	s_mov_b32 s6, exec_lo
                                        ; implicit-def: $vgpr8
	v_cmpx_lt_u32_e32 0x3c7fffff, v10
	s_xor_b32 s6, exec_lo, s6
; %bb.13:
	v_bfe_u32 v8, v9, 20, 1
	s_delay_alu instid0(VALU_DEP_1) | instskip(NEXT) | instid1(VALU_DEP_1)
	v_add3_u32 v8, v9, v8, 0x407ffff
	v_lshrrev_b32_e32 v8, 20, v8
; %bb.14:
	s_and_not1_saveexec_b32 s6, s6
; %bb.15:
	v_add_f32_e64 v8, 0x46800000, |v9|
; %bb.16:
	s_or_b32 exec_lo, exec_lo, s6
.LBB41_17:
	s_delay_alu instid0(SALU_CYCLE_1) | instskip(SKIP_2) | instid1(VALU_DEP_1)
	s_or_b32 exec_lo, exec_lo, s3
	v_cvt_f32_f16_e32 v10, v20
	s_mov_b32 s3, exec_lo
	v_mul_f32_e32 v10, v21, v10
	s_delay_alu instid0(VALU_DEP_1) | instskip(NEXT) | instid1(VALU_DEP_1)
	v_maxmin_f32 v10, v10, v22, v23
	v_and_b32_e32 v11, 0x7fffffff, v10
	s_delay_alu instid0(VALU_DEP_1)
	v_cmpx_gt_u32_e32 0x43f00000, v11
	s_cbranch_execz .LBB41_23
; %bb.18:
	s_mov_b32 s6, exec_lo
                                        ; implicit-def: $vgpr4
	v_cmpx_lt_u32_e32 0x3c7fffff, v11
	s_xor_b32 s6, exec_lo, s6
; %bb.19:
	v_bfe_u32 v4, v10, 20, 1
	s_delay_alu instid0(VALU_DEP_1) | instskip(NEXT) | instid1(VALU_DEP_1)
	v_add3_u32 v4, v10, v4, 0x407ffff
	v_lshrrev_b32_e32 v4, 20, v4
; %bb.20:
	s_and_not1_saveexec_b32 s6, s6
; %bb.21:
	v_add_f32_e64 v4, 0x46800000, |v10|
; %bb.22:
	s_or_b32 exec_lo, exec_lo, s6
.LBB41_23:
	s_delay_alu instid0(SALU_CYCLE_1) | instskip(SKIP_2) | instid1(VALU_DEP_1)
	s_or_b32 exec_lo, exec_lo, s3
	v_cvt_f32_f16_e32 v5, v5
	s_mov_b32 s3, exec_lo
	v_dual_mov_b32 v20, 0x7f :: v_dual_mul_f32 v5, v21, v5
	s_delay_alu instid0(VALU_DEP_1) | instskip(SKIP_1) | instid1(VALU_DEP_2)
	v_maxmin_f32 v11, v5, v22, v23
	v_mov_b32_e32 v5, 0x7f
	v_and_b32_e32 v26, 0x7fffffff, v11
	s_delay_alu instid0(VALU_DEP_1)
	v_cmpx_gt_u32_e32 0x43f00000, v26
	s_cbranch_execz .LBB41_29
; %bb.24:
	s_mov_b32 s6, exec_lo
                                        ; implicit-def: $vgpr20
	v_cmpx_lt_u32_e32 0x3c7fffff, v26
	s_xor_b32 s6, exec_lo, s6
; %bb.25:
	v_bfe_u32 v20, v11, 20, 1
	s_delay_alu instid0(VALU_DEP_1) | instskip(NEXT) | instid1(VALU_DEP_1)
	v_add3_u32 v20, v11, v20, 0x407ffff
	v_lshrrev_b32_e32 v20, 20, v20
; %bb.26:
	s_and_not1_saveexec_b32 s6, s6
; %bb.27:
	v_add_f32_e64 v20, 0x46800000, |v11|
; %bb.28:
	s_or_b32 exec_lo, exec_lo, s6
.LBB41_29:
	s_delay_alu instid0(SALU_CYCLE_1) | instskip(SKIP_2) | instid1(VALU_DEP_1)
	s_or_b32 exec_lo, exec_lo, s3
	v_cvt_f32_f16_e32 v24, v24
	s_mov_b32 s3, exec_lo
	v_mul_f32_e32 v24, v21, v24
	s_delay_alu instid0(VALU_DEP_1) | instskip(NEXT) | instid1(VALU_DEP_1)
	v_maxmin_f32 v24, v24, v22, v23
	v_and_b32_e32 v26, 0x7fffffff, v24
	s_delay_alu instid0(VALU_DEP_1)
	v_cmpx_gt_u32_e32 0x43f00000, v26
	s_cbranch_execz .LBB41_35
; %bb.30:
	s_mov_b32 s6, exec_lo
                                        ; implicit-def: $vgpr5
	v_cmpx_lt_u32_e32 0x3c7fffff, v26
	s_xor_b32 s6, exec_lo, s6
; %bb.31:
	v_bfe_u32 v5, v24, 20, 1
	s_delay_alu instid0(VALU_DEP_1) | instskip(NEXT) | instid1(VALU_DEP_1)
	v_add3_u32 v5, v24, v5, 0x407ffff
	v_lshrrev_b32_e32 v5, 20, v5
; %bb.32:
	s_and_not1_saveexec_b32 s6, s6
; %bb.33:
	v_add_f32_e64 v5, 0x46800000, |v24|
; %bb.34:
	s_or_b32 exec_lo, exec_lo, s6
.LBB41_35:
	s_delay_alu instid0(SALU_CYCLE_1) | instskip(SKIP_3) | instid1(VALU_DEP_2)
	s_or_b32 exec_lo, exec_lo, s3
	v_cvt_f32_f16_e32 v6, v6
	v_mov_b32_e32 v26, 0x7f
	s_mov_b32 s3, exec_lo
	v_mul_f32_e32 v6, v21, v6
	s_delay_alu instid0(VALU_DEP_1) | instskip(SKIP_1) | instid1(VALU_DEP_2)
	v_maxmin_f32 v27, v6, v22, v23
	v_mov_b32_e32 v6, 0x7f
	v_and_b32_e32 v29, 0x7fffffff, v27
	s_delay_alu instid0(VALU_DEP_1)
	v_cmpx_gt_u32_e32 0x43f00000, v29
	s_cbranch_execz .LBB41_41
; %bb.36:
	s_mov_b32 s6, exec_lo
                                        ; implicit-def: $vgpr26
	v_cmpx_lt_u32_e32 0x3c7fffff, v29
	s_xor_b32 s6, exec_lo, s6
; %bb.37:
	v_bfe_u32 v26, v27, 20, 1
	s_delay_alu instid0(VALU_DEP_1) | instskip(NEXT) | instid1(VALU_DEP_1)
	v_add3_u32 v26, v27, v26, 0x407ffff
	v_lshrrev_b32_e32 v26, 20, v26
; %bb.38:
	s_and_not1_saveexec_b32 s6, s6
; %bb.39:
	v_add_f32_e64 v26, 0x46800000, |v27|
; %bb.40:
	s_or_b32 exec_lo, exec_lo, s6
.LBB41_41:
	s_delay_alu instid0(SALU_CYCLE_1) | instskip(SKIP_2) | instid1(VALU_DEP_1)
	s_or_b32 exec_lo, exec_lo, s3
	v_cvt_f32_f16_e32 v28, v28
	s_mov_b32 s3, exec_lo
	v_mul_f32_e32 v28, v21, v28
	s_delay_alu instid0(VALU_DEP_1) | instskip(NEXT) | instid1(VALU_DEP_1)
	v_maxmin_f32 v28, v28, v22, v23
	v_and_b32_e32 v29, 0x7fffffff, v28
	s_delay_alu instid0(VALU_DEP_1)
	v_cmpx_gt_u32_e32 0x43f00000, v29
	s_cbranch_execz .LBB41_47
; %bb.42:
	s_mov_b32 s6, exec_lo
                                        ; implicit-def: $vgpr6
	v_cmpx_lt_u32_e32 0x3c7fffff, v29
	s_xor_b32 s6, exec_lo, s6
; %bb.43:
	v_bfe_u32 v6, v28, 20, 1
	s_delay_alu instid0(VALU_DEP_1) | instskip(NEXT) | instid1(VALU_DEP_1)
	v_add3_u32 v6, v28, v6, 0x407ffff
	v_lshrrev_b32_e32 v6, 20, v6
; %bb.44:
	s_and_not1_saveexec_b32 s6, s6
; %bb.45:
	v_add_f32_e64 v6, 0x46800000, |v28|
; %bb.46:
	s_or_b32 exec_lo, exec_lo, s6
.LBB41_47:
	s_delay_alu instid0(SALU_CYCLE_1) | instskip(SKIP_3) | instid1(VALU_DEP_2)
	s_or_b32 exec_lo, exec_lo, s3
	v_cvt_f32_f16_e32 v7, v7
	v_mov_b32_e32 v29, 0x7f
	s_mov_b32 s3, exec_lo
	v_mul_f32_e32 v7, v21, v7
	s_delay_alu instid0(VALU_DEP_1) | instskip(SKIP_1) | instid1(VALU_DEP_2)
	v_maxmin_f32 v30, v7, v22, v23
	v_mov_b32_e32 v7, 0x7f
	v_and_b32_e32 v31, 0x7fffffff, v30
	s_delay_alu instid0(VALU_DEP_1)
	v_cmpx_gt_u32_e32 0x43f00000, v31
	s_cbranch_execz .LBB41_53
; %bb.48:
	s_mov_b32 s6, exec_lo
                                        ; implicit-def: $vgpr29
	v_cmpx_lt_u32_e32 0x3c7fffff, v31
	s_xor_b32 s6, exec_lo, s6
; %bb.49:
	v_bfe_u32 v29, v30, 20, 1
	s_delay_alu instid0(VALU_DEP_1) | instskip(NEXT) | instid1(VALU_DEP_1)
	v_add3_u32 v29, v30, v29, 0x407ffff
	v_lshrrev_b32_e32 v29, 20, v29
; %bb.50:
	s_and_not1_saveexec_b32 s6, s6
; %bb.51:
	v_add_f32_e64 v29, 0x46800000, |v30|
; %bb.52:
	s_or_b32 exec_lo, exec_lo, s6
.LBB41_53:
	s_delay_alu instid0(SALU_CYCLE_1) | instskip(SKIP_2) | instid1(VALU_DEP_1)
	s_or_b32 exec_lo, exec_lo, s3
	v_cvt_f32_f16_e32 v25, v25
	s_mov_b32 s3, exec_lo
	v_mul_f32_e32 v25, v21, v25
	s_delay_alu instid0(VALU_DEP_1) | instskip(NEXT) | instid1(VALU_DEP_1)
	v_maxmin_f32 v25, v25, v22, v23
	v_and_b32_e32 v31, 0x7fffffff, v25
	s_delay_alu instid0(VALU_DEP_1)
	v_cmpx_gt_u32_e32 0x43f00000, v31
	s_cbranch_execz .LBB41_59
; %bb.54:
	s_mov_b32 s6, exec_lo
                                        ; implicit-def: $vgpr7
	v_cmpx_lt_u32_e32 0x3c7fffff, v31
	s_xor_b32 s6, exec_lo, s6
; %bb.55:
	v_bfe_u32 v7, v25, 20, 1
	s_delay_alu instid0(VALU_DEP_1) | instskip(NEXT) | instid1(VALU_DEP_1)
	v_add3_u32 v7, v25, v7, 0x407ffff
	v_lshrrev_b32_e32 v7, 20, v7
; %bb.56:
	s_and_not1_saveexec_b32 s6, s6
; %bb.57:
	v_add_f32_e64 v7, 0x46800000, |v25|
; %bb.58:
	s_or_b32 exec_lo, exec_lo, s6
.LBB41_59:
	s_delay_alu instid0(SALU_CYCLE_1) | instskip(SKIP_2) | instid1(VALU_DEP_1)
	s_or_b32 exec_lo, exec_lo, s3
	v_cvt_f32_f16_e32 v0, v0
	s_mov_b32 s3, exec_lo
	v_dual_mov_b32 v31, 0x7f :: v_dual_mul_f32 v0, v21, v0
	s_delay_alu instid0(VALU_DEP_1) | instskip(SKIP_1) | instid1(VALU_DEP_2)
	v_maxmin_f32 v32, v0, v22, v23
	v_mov_b32_e32 v0, 0x7f
	v_and_b32_e32 v33, 0x7fffffff, v32
	s_delay_alu instid0(VALU_DEP_1)
	v_cmpx_gt_u32_e32 0x43f00000, v33
	s_cbranch_execz .LBB41_65
; %bb.60:
	s_mov_b32 s6, exec_lo
                                        ; implicit-def: $vgpr31
	v_cmpx_lt_u32_e32 0x3c7fffff, v33
	s_xor_b32 s6, exec_lo, s6
; %bb.61:
	v_bfe_u32 v31, v32, 20, 1
	s_delay_alu instid0(VALU_DEP_1) | instskip(NEXT) | instid1(VALU_DEP_1)
	v_add3_u32 v31, v32, v31, 0x407ffff
	v_lshrrev_b32_e32 v31, 20, v31
; %bb.62:
	s_and_not1_saveexec_b32 s6, s6
; %bb.63:
	v_add_f32_e64 v31, 0x46800000, |v32|
; %bb.64:
	s_or_b32 exec_lo, exec_lo, s6
.LBB41_65:
	s_delay_alu instid0(SALU_CYCLE_1) | instskip(SKIP_2) | instid1(VALU_DEP_1)
	s_or_b32 exec_lo, exec_lo, s3
	v_cvt_f32_f16_e32 v19, v19
	s_mov_b32 s3, exec_lo
	v_mul_f32_e32 v19, v21, v19
	s_delay_alu instid0(VALU_DEP_1) | instskip(NEXT) | instid1(VALU_DEP_1)
	v_maxmin_f32 v19, v19, v22, v23
	v_and_b32_e32 v33, 0x7fffffff, v19
	s_delay_alu instid0(VALU_DEP_1)
	v_cmpx_gt_u32_e32 0x43f00000, v33
	s_cbranch_execz .LBB41_71
; %bb.66:
	s_mov_b32 s6, exec_lo
                                        ; implicit-def: $vgpr0
	v_cmpx_lt_u32_e32 0x3c7fffff, v33
	s_xor_b32 s6, exec_lo, s6
; %bb.67:
	v_bfe_u32 v0, v19, 20, 1
	s_delay_alu instid0(VALU_DEP_1) | instskip(NEXT) | instid1(VALU_DEP_1)
	v_add3_u32 v0, v19, v0, 0x407ffff
	v_lshrrev_b32_e32 v0, 20, v0
; %bb.68:
	s_and_not1_saveexec_b32 s6, s6
; %bb.69:
	v_add_f32_e64 v0, 0x46800000, |v19|
; %bb.70:
	s_or_b32 exec_lo, exec_lo, s6
.LBB41_71:
	s_delay_alu instid0(SALU_CYCLE_1) | instskip(SKIP_3) | instid1(VALU_DEP_2)
	s_or_b32 exec_lo, exec_lo, s3
	v_cvt_f32_f16_e32 v1, v1
	v_mov_b32_e32 v33, 0x7f
	s_mov_b32 s3, exec_lo
	v_mul_f32_e32 v1, v21, v1
	s_delay_alu instid0(VALU_DEP_1) | instskip(SKIP_1) | instid1(VALU_DEP_2)
	v_maxmin_f32 v34, v1, v22, v23
	v_mov_b32_e32 v1, 0x7f
	v_and_b32_e32 v35, 0x7fffffff, v34
	s_delay_alu instid0(VALU_DEP_1)
	v_cmpx_gt_u32_e32 0x43f00000, v35
	s_cbranch_execz .LBB41_77
; %bb.72:
	s_mov_b32 s6, exec_lo
                                        ; implicit-def: $vgpr33
	v_cmpx_lt_u32_e32 0x3c7fffff, v35
	s_xor_b32 s6, exec_lo, s6
; %bb.73:
	v_bfe_u32 v33, v34, 20, 1
	s_delay_alu instid0(VALU_DEP_1) | instskip(NEXT) | instid1(VALU_DEP_1)
	v_add3_u32 v33, v34, v33, 0x407ffff
	v_lshrrev_b32_e32 v33, 20, v33
; %bb.74:
	s_and_not1_saveexec_b32 s6, s6
; %bb.75:
	v_add_f32_e64 v33, 0x46800000, |v34|
; %bb.76:
	s_or_b32 exec_lo, exec_lo, s6
.LBB41_77:
	s_delay_alu instid0(SALU_CYCLE_1) | instskip(SKIP_2) | instid1(VALU_DEP_1)
	s_or_b32 exec_lo, exec_lo, s3
	v_cvt_f32_f16_e32 v18, v18
	s_mov_b32 s3, exec_lo
	v_mul_f32_e32 v18, v21, v18
	s_delay_alu instid0(VALU_DEP_1) | instskip(NEXT) | instid1(VALU_DEP_1)
	v_maxmin_f32 v18, v18, v22, v23
	v_and_b32_e32 v35, 0x7fffffff, v18
	s_delay_alu instid0(VALU_DEP_1)
	v_cmpx_gt_u32_e32 0x43f00000, v35
	s_cbranch_execz .LBB41_83
; %bb.78:
	s_mov_b32 s6, exec_lo
                                        ; implicit-def: $vgpr1
	v_cmpx_lt_u32_e32 0x3c7fffff, v35
	s_xor_b32 s6, exec_lo, s6
; %bb.79:
	v_bfe_u32 v1, v18, 20, 1
	s_delay_alu instid0(VALU_DEP_1) | instskip(NEXT) | instid1(VALU_DEP_1)
	v_add3_u32 v1, v18, v1, 0x407ffff
	v_lshrrev_b32_e32 v1, 20, v1
; %bb.80:
	s_and_not1_saveexec_b32 s6, s6
; %bb.81:
	v_add_f32_e64 v1, 0x46800000, |v18|
; %bb.82:
	s_or_b32 exec_lo, exec_lo, s6
.LBB41_83:
	s_delay_alu instid0(SALU_CYCLE_1) | instskip(SKIP_2) | instid1(VALU_DEP_1)
	s_or_b32 exec_lo, exec_lo, s3
	v_cvt_f32_f16_e32 v2, v2
	s_mov_b32 s3, exec_lo
	v_dual_mov_b32 v35, 0x7f :: v_dual_mul_f32 v2, v21, v2
	s_delay_alu instid0(VALU_DEP_1) | instskip(SKIP_1) | instid1(VALU_DEP_2)
	v_maxmin_f32 v36, v2, v22, v23
	v_mov_b32_e32 v2, 0x7f
	v_and_b32_e32 v37, 0x7fffffff, v36
	s_delay_alu instid0(VALU_DEP_1)
	v_cmpx_gt_u32_e32 0x43f00000, v37
	s_cbranch_execz .LBB41_89
; %bb.84:
	s_mov_b32 s6, exec_lo
                                        ; implicit-def: $vgpr35
	v_cmpx_lt_u32_e32 0x3c7fffff, v37
	s_xor_b32 s6, exec_lo, s6
; %bb.85:
	v_bfe_u32 v35, v36, 20, 1
	s_delay_alu instid0(VALU_DEP_1) | instskip(NEXT) | instid1(VALU_DEP_1)
	v_add3_u32 v35, v36, v35, 0x407ffff
	v_lshrrev_b32_e32 v35, 20, v35
; %bb.86:
	s_and_not1_saveexec_b32 s6, s6
; %bb.87:
	v_add_f32_e64 v35, 0x46800000, |v36|
; %bb.88:
	s_or_b32 exec_lo, exec_lo, s6
.LBB41_89:
	s_delay_alu instid0(SALU_CYCLE_1) | instskip(SKIP_2) | instid1(VALU_DEP_1)
	s_or_b32 exec_lo, exec_lo, s3
	v_cvt_f32_f16_e32 v17, v17
	s_mov_b32 s3, exec_lo
	v_mul_f32_e32 v17, v21, v17
	s_delay_alu instid0(VALU_DEP_1) | instskip(NEXT) | instid1(VALU_DEP_1)
	v_maxmin_f32 v17, v17, v22, v23
	v_and_b32_e32 v37, 0x7fffffff, v17
	s_delay_alu instid0(VALU_DEP_1)
	v_cmpx_gt_u32_e32 0x43f00000, v37
	s_cbranch_execz .LBB41_95
; %bb.90:
	s_mov_b32 s6, exec_lo
                                        ; implicit-def: $vgpr2
	v_cmpx_lt_u32_e32 0x3c7fffff, v37
	s_xor_b32 s6, exec_lo, s6
; %bb.91:
	v_bfe_u32 v2, v17, 20, 1
	s_delay_alu instid0(VALU_DEP_1) | instskip(NEXT) | instid1(VALU_DEP_1)
	v_add3_u32 v2, v17, v2, 0x407ffff
	v_lshrrev_b32_e32 v2, 20, v2
; %bb.92:
	s_and_not1_saveexec_b32 s6, s6
; %bb.93:
	v_add_f32_e64 v2, 0x46800000, |v17|
; %bb.94:
	s_or_b32 exec_lo, exec_lo, s6
.LBB41_95:
	s_delay_alu instid0(SALU_CYCLE_1) | instskip(SKIP_3) | instid1(VALU_DEP_2)
	s_or_b32 exec_lo, exec_lo, s3
	v_cvt_f32_f16_e32 v3, v3
	v_mov_b32_e32 v37, 0x7f
	s_mov_b32 s3, exec_lo
	v_mul_f32_e32 v3, v21, v3
	s_delay_alu instid0(VALU_DEP_1) | instskip(SKIP_1) | instid1(VALU_DEP_2)
	v_maxmin_f32 v38, v3, v22, v23
	v_mov_b32_e32 v3, 0x7f
	v_and_b32_e32 v39, 0x7fffffff, v38
	s_delay_alu instid0(VALU_DEP_1)
	v_cmpx_gt_u32_e32 0x43f00000, v39
	s_cbranch_execz .LBB41_101
; %bb.96:
	s_mov_b32 s6, exec_lo
                                        ; implicit-def: $vgpr37
	v_cmpx_lt_u32_e32 0x3c7fffff, v39
	s_xor_b32 s6, exec_lo, s6
; %bb.97:
	v_bfe_u32 v37, v38, 20, 1
	s_delay_alu instid0(VALU_DEP_1) | instskip(NEXT) | instid1(VALU_DEP_1)
	v_add3_u32 v37, v38, v37, 0x407ffff
	v_lshrrev_b32_e32 v37, 20, v37
; %bb.98:
	s_and_not1_saveexec_b32 s6, s6
; %bb.99:
	v_add_f32_e64 v37, 0x46800000, |v38|
; %bb.100:
	s_or_b32 exec_lo, exec_lo, s6
.LBB41_101:
	s_delay_alu instid0(SALU_CYCLE_1) | instskip(SKIP_2) | instid1(VALU_DEP_1)
	s_or_b32 exec_lo, exec_lo, s3
	v_cvt_f32_f16_e32 v14, v14
	s_mov_b32 s3, exec_lo
	v_mul_f32_e32 v14, v21, v14
	s_delay_alu instid0(VALU_DEP_1) | instskip(NEXT) | instid1(VALU_DEP_1)
	v_maxmin_f32 v14, v14, v22, v23
	v_and_b32_e32 v21, 0x7fffffff, v14
	s_delay_alu instid0(VALU_DEP_1)
	v_cmpx_gt_u32_e32 0x43f00000, v21
	s_cbranch_execz .LBB41_107
; %bb.102:
	s_mov_b32 s6, exec_lo
                                        ; implicit-def: $vgpr3
	v_cmpx_lt_u32_e32 0x3c7fffff, v21
	s_xor_b32 s6, exec_lo, s6
; %bb.103:
	v_bfe_u32 v3, v14, 20, 1
	s_delay_alu instid0(VALU_DEP_1) | instskip(NEXT) | instid1(VALU_DEP_1)
	v_add3_u32 v3, v14, v3, 0x407ffff
	v_lshrrev_b32_e32 v3, 20, v3
; %bb.104:
	s_and_not1_saveexec_b32 s6, s6
; %bb.105:
	v_add_f32_e64 v3, 0x46800000, |v14|
; %bb.106:
	s_or_b32 exec_lo, exec_lo, s6
.LBB41_107:
	s_delay_alu instid0(SALU_CYCLE_1)
	s_or_b32 exec_lo, exec_lo, s3
	v_lshrrev_b32_e32 v21, 24, v36
	v_lshrrev_b32_e32 v17, 24, v17
	;; [unrolled: 1-line block ×5, first 2 shown]
	v_and_b32_e32 v21, 0x80, v21
	v_and_b32_e32 v17, 0x80, v17
	v_lshrrev_b32_e32 v32, 24, v34
	v_and_b32_e32 v23, 0x80, v23
	v_and_b32_e32 v19, 0x80, v19
	v_and_or_b32 v21, 0xff, v35, v21
	v_and_or_b32 v2, 0xff, v2, v17
	v_and_b32_e32 v17, 0x80, v22
	v_and_or_b32 v22, 0xff, v31, v23
	v_and_or_b32 v0, 0xff, v0, v19
	v_and_b32_e32 v19, 0x80, v32
	v_lshl_or_b32 v2, v2, 8, v21
	v_and_or_b32 v17, 0xff, v37, v17
	v_lshrrev_b32_e32 v21, 24, v27
	v_lshl_or_b32 v0, v0, 8, v22
	v_and_or_b32 v19, 0xff, v33, v19
	v_lshrrev_b32_e32 v9, 24, v9
	v_lshl_or_b32 v2, v17, 16, v2
	v_and_b32_e32 v17, 0x80, v21
	v_lshrrev_b32_e32 v21, 24, v28
	v_lshrrev_b32_e32 v10, 24, v10
	v_lshl_or_b32 v0, v19, 16, v0
	v_and_b32_e32 v9, 0x80, v9
	v_lshrrev_b32_e32 v11, 24, v11
	v_and_b32_e32 v19, 0x80, v21
	v_lshrrev_b32_e32 v21, 24, v30
	v_and_b32_e32 v10, 0x80, v10
	v_and_or_b32 v17, 0xff, v26, v17
	v_and_or_b32 v8, 0xff, v8, v9
	;; [unrolled: 1-line block ×3, first 2 shown]
	v_and_b32_e32 v19, 0x80, v21
	v_and_or_b32 v4, 0xff, v4, v10
	v_and_b32_e32 v9, 0x80, v11
	v_lshlrev_b32_e32 v1, 24, v1
	v_lshl_or_b32 v6, v6, 8, v17
	v_and_or_b32 v10, 0xff, v29, v19
	v_lshl_or_b32 v4, v4, 8, v8
	v_and_or_b32 v8, 0xff, v20, v9
	v_and_b32_e32 v9, 0x80000000, v18
	v_lshlrev_b32_e32 v7, 24, v7
	v_lshl_or_b32 v6, v10, 16, v6
	v_and_b32_e32 v11, 0x80000000, v25
	v_lshl_or_b32 v4, v8, 16, v4
	v_lshlrev_b32_e32 v5, 24, v5
	v_and_b32_e32 v8, 0x80000000, v24
	v_and_b32_e32 v14, 0x80000000, v14
	v_lshlrev_b32_e32 v3, 24, v3
	v_or3_b32 v10, v9, v1, v0
	v_or3_b32 v9, v11, v7, v6
	;; [unrolled: 1-line block ×3, first 2 shown]
	s_or_b32 s5, s5, exec_lo
	v_or3_b32 v11, v14, v3, v2
.LBB41_108:
	s_or_b32 exec_lo, exec_lo, s2
	s_delay_alu instid0(SALU_CYCLE_1)
	s_and_b32 exec_lo, exec_lo, s5
	s_cbranch_execz .LBB41_110
; %bb.109:
	s_load_b64 s[0:1], s[0:1], 0x8
	v_lshlrev_b32_e32 v2, 7, v12
	v_alignbit_b32 v0, v16, v12, 25
	s_ashr_i32 s2, s4, 31
	s_delay_alu instid0(VALU_DEP_2) | instid1(SALU_CYCLE_1)
	v_mul_lo_u32 v3, v2, s2
	s_delay_alu instid0(VALU_DEP_2) | instskip(SKIP_3) | instid1(VALU_DEP_2)
	v_mul_lo_u32 v4, v0, s4
	s_waitcnt lgkmcnt(0)
	v_mad_u64_u32 v[0:1], null, v2, s4, s[0:1]
	v_ashrrev_i32_e32 v2, 31, v13
	v_add3_u32 v1, v4, v1, v3
	v_lshlrev_b32_e32 v3, 4, v15
	s_delay_alu instid0(VALU_DEP_4) | instskip(NEXT) | instid1(VALU_DEP_3)
	v_add_co_u32 v0, vcc_lo, v0, v13
	v_add_co_ci_u32_e32 v1, vcc_lo, v1, v2, vcc_lo
	s_delay_alu instid0(VALU_DEP_2) | instskip(NEXT) | instid1(VALU_DEP_2)
	v_add_co_u32 v0, vcc_lo, v0, v3
	v_add_co_ci_u32_e32 v1, vcc_lo, 0, v1, vcc_lo
	global_store_b128 v[0:1], v[8:11], off
.LBB41_110:
	s_nop 0
	s_sendmsg sendmsg(MSG_DEALLOC_VGPRS)
	s_endpgm
	.section	.rodata,"a",@progbits
	.p2align	6, 0x0
	.amdhsa_kernel _Z49per_token_group_quant_8bit_packed_register_kernelIN3c104HalfENS0_13Float8_e4m3fnELi128ELi4ELi4EEvPKT_PvPjiiiiilfff
		.amdhsa_group_segment_fixed_size 0
		.amdhsa_private_segment_fixed_size 0
		.amdhsa_kernarg_size 68
		.amdhsa_user_sgpr_count 14
		.amdhsa_user_sgpr_dispatch_ptr 0
		.amdhsa_user_sgpr_queue_ptr 0
		.amdhsa_user_sgpr_kernarg_segment_ptr 1
		.amdhsa_user_sgpr_dispatch_id 0
		.amdhsa_user_sgpr_private_segment_size 0
		.amdhsa_wavefront_size32 1
		.amdhsa_uses_dynamic_stack 0
		.amdhsa_enable_private_segment 0
		.amdhsa_system_sgpr_workgroup_id_x 1
		.amdhsa_system_sgpr_workgroup_id_y 1
		.amdhsa_system_sgpr_workgroup_id_z 0
		.amdhsa_system_sgpr_workgroup_info 0
		.amdhsa_system_vgpr_workitem_id 0
		.amdhsa_next_free_vgpr 40
		.amdhsa_next_free_sgpr 16
		.amdhsa_reserve_vcc 1
		.amdhsa_float_round_mode_32 0
		.amdhsa_float_round_mode_16_64 0
		.amdhsa_float_denorm_mode_32 3
		.amdhsa_float_denorm_mode_16_64 3
		.amdhsa_dx10_clamp 1
		.amdhsa_ieee_mode 1
		.amdhsa_fp16_overflow 0
		.amdhsa_workgroup_processor_mode 1
		.amdhsa_memory_ordered 1
		.amdhsa_forward_progress 0
		.amdhsa_shared_vgpr_count 0
		.amdhsa_exception_fp_ieee_invalid_op 0
		.amdhsa_exception_fp_denorm_src 0
		.amdhsa_exception_fp_ieee_div_zero 0
		.amdhsa_exception_fp_ieee_overflow 0
		.amdhsa_exception_fp_ieee_underflow 0
		.amdhsa_exception_fp_ieee_inexact 0
		.amdhsa_exception_int_div_zero 0
	.end_amdhsa_kernel
	.section	.text._Z49per_token_group_quant_8bit_packed_register_kernelIN3c104HalfENS0_13Float8_e4m3fnELi128ELi4ELi4EEvPKT_PvPjiiiiilfff,"axG",@progbits,_Z49per_token_group_quant_8bit_packed_register_kernelIN3c104HalfENS0_13Float8_e4m3fnELi128ELi4ELi4EEvPKT_PvPjiiiiilfff,comdat
.Lfunc_end41:
	.size	_Z49per_token_group_quant_8bit_packed_register_kernelIN3c104HalfENS0_13Float8_e4m3fnELi128ELi4ELi4EEvPKT_PvPjiiiiilfff, .Lfunc_end41-_Z49per_token_group_quant_8bit_packed_register_kernelIN3c104HalfENS0_13Float8_e4m3fnELi128ELi4ELi4EEvPKT_PvPjiiiiilfff
                                        ; -- End function
	.section	.AMDGPU.csdata,"",@progbits
; Kernel info:
; codeLenInByte = 3804
; NumSgprs: 18
; NumVgprs: 40
; ScratchSize: 0
; MemoryBound: 0
; FloatMode: 240
; IeeeMode: 1
; LDSByteSize: 0 bytes/workgroup (compile time only)
; SGPRBlocks: 2
; VGPRBlocks: 4
; NumSGPRsForWavesPerEU: 18
; NumVGPRsForWavesPerEU: 40
; Occupancy: 16
; WaveLimiterHint : 0
; COMPUTE_PGM_RSRC2:SCRATCH_EN: 0
; COMPUTE_PGM_RSRC2:USER_SGPR: 14
; COMPUTE_PGM_RSRC2:TRAP_HANDLER: 0
; COMPUTE_PGM_RSRC2:TGID_X_EN: 1
; COMPUTE_PGM_RSRC2:TGID_Y_EN: 1
; COMPUTE_PGM_RSRC2:TGID_Z_EN: 0
; COMPUTE_PGM_RSRC2:TIDIG_COMP_CNT: 0
	.section	.text._Z49per_token_group_quant_8bit_packed_register_kernelIN3c104HalfENS0_15Float8_e4m3fnuzELi128ELi16ELi1EEvPKT_PvPjiiiiilfff,"axG",@progbits,_Z49per_token_group_quant_8bit_packed_register_kernelIN3c104HalfENS0_15Float8_e4m3fnuzELi128ELi16ELi1EEvPKT_PvPjiiiiilfff,comdat
	.protected	_Z49per_token_group_quant_8bit_packed_register_kernelIN3c104HalfENS0_15Float8_e4m3fnuzELi128ELi16ELi1EEvPKT_PvPjiiiiilfff ; -- Begin function _Z49per_token_group_quant_8bit_packed_register_kernelIN3c104HalfENS0_15Float8_e4m3fnuzELi128ELi16ELi1EEvPKT_PvPjiiiiilfff
	.globl	_Z49per_token_group_quant_8bit_packed_register_kernelIN3c104HalfENS0_15Float8_e4m3fnuzELi128ELi16ELi1EEvPKT_PvPjiiiiilfff
	.p2align	8
	.type	_Z49per_token_group_quant_8bit_packed_register_kernelIN3c104HalfENS0_15Float8_e4m3fnuzELi128ELi16ELi1EEvPKT_PvPjiiiiilfff,@function
_Z49per_token_group_quant_8bit_packed_register_kernelIN3c104HalfENS0_15Float8_e4m3fnuzELi128ELi16ELi1EEvPKT_PvPjiiiiilfff: ; @_Z49per_token_group_quant_8bit_packed_register_kernelIN3c104HalfENS0_15Float8_e4m3fnuzELi128ELi16ELi1EEvPKT_PvPjiiiiilfff
; %bb.0:
	s_load_b128 s[4:7], s[0:1], 0x1c
	v_lshrrev_b32_e32 v1, 7, v0
	s_mov_b32 s2, exec_lo
	s_delay_alu instid0(VALU_DEP_1) | instskip(SKIP_1) | instid1(VALU_DEP_1)
	v_add_nc_u32_e32 v12, s15, v1
	s_waitcnt lgkmcnt(0)
	v_cmpx_gt_i32_e64 s7, v12
	s_cbranch_execz .LBB42_110
; %bb.1:
	s_load_b128 s[8:11], s[0:1], 0x38
	v_lshrrev_b32_e32 v1, 3, v0
	s_lshl_b32 s2, s14, 4
	v_and_b32_e32 v15, 7, v0
	v_ashrrev_i32_e32 v16, 31, v12
                                        ; implicit-def: $vgpr14
                                        ; implicit-def: $vgpr3
                                        ; implicit-def: $vgpr17
                                        ; implicit-def: $vgpr18
                                        ; implicit-def: $vgpr20
                                        ; implicit-def: $vgpr22
                                        ; implicit-def: $vgpr7
                                        ; implicit-def: $vgpr23
                                        ; implicit-def: $vgpr21
                                        ; implicit-def: $vgpr19
	s_delay_alu instid0(VALU_DEP_3) | instskip(SKIP_1) | instid1(VALU_DEP_2)
	v_and_or_b32 v10, v1, 15, s2
	v_cmp_gt_i32_e64 s2, s5, v12
	v_cmp_gt_i32_e64 s3, s4, v10
	v_lshlrev_b32_e32 v13, 7, v10
	s_waitcnt lgkmcnt(0)
	s_delay_alu instid0(VALU_DEP_2)
	s_and_b32 s11, s2, s3
	v_mov_b32_e32 v8, s8
	s_and_saveexec_b32 s5, s11
	s_cbranch_execz .LBB42_3
; %bb.2:
	s_load_b64 s[12:13], s[0:1], 0x0
	v_lshlrev_b32_e32 v2, 8, v12
	v_alignbit_b32 v0, v16, v12, 24
	s_ashr_i32 s14, s4, 31
	v_ashrrev_i32_e32 v14, 31, v13
	s_delay_alu instid0(VALU_DEP_3) | instskip(NEXT) | instid1(VALU_DEP_3)
	v_mul_lo_u32 v4, v2, s14
	v_mul_lo_u32 v5, v0, s4
	s_waitcnt lgkmcnt(0)
	v_mad_u64_u32 v[0:1], null, v2, s4, s[12:13]
	v_lshlrev_b64 v[2:3], 1, v[13:14]
	s_delay_alu instid0(VALU_DEP_2) | instskip(SKIP_1) | instid1(VALU_DEP_3)
	v_add3_u32 v1, v5, v1, v4
	v_lshlrev_b32_e32 v4, 5, v15
	v_add_co_u32 v0, vcc_lo, v0, v2
	s_delay_alu instid0(VALU_DEP_3) | instskip(NEXT) | instid1(VALU_DEP_2)
	v_add_co_ci_u32_e32 v1, vcc_lo, v1, v3, vcc_lo
	v_add_co_u32 v0, vcc_lo, v0, v4
	s_delay_alu instid0(VALU_DEP_2)
	v_add_co_ci_u32_e32 v1, vcc_lo, 0, v1, vcc_lo
	s_clause 0x1
	global_load_b128 v[4:7], v[0:1], off
	global_load_b128 v[0:3], v[0:1], off offset:16
	s_waitcnt vmcnt(1)
	v_lshrrev_b32_e32 v19, 16, v4
	v_lshrrev_b32_e32 v21, 16, v5
	v_cvt_f32_f16_e64 v8, |v4|
	v_lshrrev_b32_e32 v23, 16, v6
	v_cvt_f32_f16_e64 v11, |v5|
	v_cvt_f32_f16_e64 v9, |v19|
	v_cvt_f32_f16_e64 v14, |v21|
	v_lshrrev_b32_e32 v22, 16, v7
	v_cvt_f32_f16_e64 v17, |v23|
	s_waitcnt vmcnt(0)
	v_lshrrev_b32_e32 v20, 16, v0
	v_max3_f32 v8, s8, v8, v9
	v_cvt_f32_f16_e64 v9, |v6|
	v_lshrrev_b32_e32 v18, 16, v1
	s_delay_alu instid0(VALU_DEP_4) | instskip(NEXT) | instid1(VALU_DEP_4)
	v_cvt_f32_f16_e64 v24, |v20|
	v_max3_f32 v8, v8, v11, v14
	v_cvt_f32_f16_e64 v11, |v7|
	v_cvt_f32_f16_e64 v14, |v22|
	s_delay_alu instid0(VALU_DEP_3) | instskip(SKIP_2) | instid1(VALU_DEP_3)
	v_max3_f32 v8, v8, v9, v17
	v_cvt_f32_f16_e64 v9, |v0|
	v_lshrrev_b32_e32 v17, 16, v2
	v_max3_f32 v8, v8, v11, v14
	v_cvt_f32_f16_e64 v11, |v1|
	v_cvt_f32_f16_e64 v14, |v18|
	s_delay_alu instid0(VALU_DEP_3) | instskip(SKIP_2) | instid1(VALU_DEP_3)
	v_max3_f32 v8, v8, v9, v24
	v_cvt_f32_f16_e64 v9, |v2|
	v_cvt_f32_f16_e64 v24, |v17|
	v_max3_f32 v8, v8, v11, v14
	v_lshrrev_b32_e32 v14, 16, v3
	v_cvt_f32_f16_e64 v11, |v3|
	s_delay_alu instid0(VALU_DEP_3) | instskip(NEXT) | instid1(VALU_DEP_3)
	v_max3_f32 v8, v8, v9, v24
	v_cvt_f32_f16_e64 v9, |v14|
	s_delay_alu instid0(VALU_DEP_1)
	v_max3_f32 v8, v8, v11, v9
.LBB42_3:
	s_or_b32 exec_lo, exec_lo, s5
	v_mbcnt_lo_u32_b32 v9, -1, 0
	s_xor_b32 s8, s11, -1
	s_mov_b32 s5, 0
	s_mov_b32 s12, exec_lo
	s_delay_alu instid0(VALU_DEP_1) | instskip(SKIP_2) | instid1(VALU_DEP_2)
	v_xor_b32_e32 v24, 4, v9
	v_and_b32_e32 v11, 24, v9
	v_xor_b32_e32 v25, 2, v9
	v_add_nc_u32_e32 v11, 8, v11
	s_delay_alu instid0(VALU_DEP_1) | instskip(SKIP_1) | instid1(VALU_DEP_1)
	v_cmp_lt_i32_e32 vcc_lo, v24, v11
	v_cndmask_b32_e32 v24, v9, v24, vcc_lo
	v_lshlrev_b32_e32 v24, 2, v24
	ds_bpermute_b32 v24, v24, v8
	v_max_f32_e32 v8, v8, v8
	v_cmp_lt_i32_e32 vcc_lo, v25, v11
	v_cndmask_b32_e32 v25, v9, v25, vcc_lo
	s_waitcnt lgkmcnt(0)
	s_delay_alu instid0(VALU_DEP_1) | instskip(NEXT) | instid1(VALU_DEP_1)
	v_dual_max_f32 v24, v24, v24 :: v_dual_lshlrev_b32 v25, 2, v25
	v_max_f32_e32 v8, v8, v24
	ds_bpermute_b32 v24, v25, v8
	v_xor_b32_e32 v25, 1, v9
	s_delay_alu instid0(VALU_DEP_1) | instskip(SKIP_3) | instid1(VALU_DEP_1)
	v_cmp_lt_i32_e32 vcc_lo, v25, v11
	v_cndmask_b32_e32 v9, v9, v25, vcc_lo
	s_waitcnt lgkmcnt(0)
	v_max_f32_e32 v11, v24, v24
	v_dual_max_f32 v8, v8, v11 :: v_dual_lshlrev_b32 v9, 2, v9
	ds_bpermute_b32 v9, v9, v8
	s_waitcnt lgkmcnt(0)
	v_max_f32_e32 v9, v9, v9
	s_delay_alu instid0(VALU_DEP_1) | instskip(NEXT) | instid1(VALU_DEP_1)
	v_max_f32_e32 v8, v8, v9
	v_div_scale_f32 v9, null, s10, s10, v8
	v_div_scale_f32 v25, vcc_lo, v8, s10, v8
	s_delay_alu instid0(VALU_DEP_2) | instskip(SKIP_2) | instid1(VALU_DEP_1)
	v_rcp_f32_e32 v11, v9
	s_waitcnt_depctr 0xfff
	v_fma_f32 v24, -v9, v11, 1.0
	v_fmac_f32_e32 v11, v24, v11
	s_delay_alu instid0(VALU_DEP_1) | instskip(NEXT) | instid1(VALU_DEP_1)
	v_mul_f32_e32 v24, v25, v11
	v_fma_f32 v26, -v9, v24, v25
	s_delay_alu instid0(VALU_DEP_1) | instskip(NEXT) | instid1(VALU_DEP_1)
	v_fmac_f32_e32 v24, v26, v11
	v_fma_f32 v9, -v9, v24, v25
	s_delay_alu instid0(VALU_DEP_1) | instskip(NEXT) | instid1(VALU_DEP_1)
	v_div_fmas_f32 v9, v9, v11, v24
	v_div_fixup_f32 v8, v9, s10, v8
	s_delay_alu instid0(VALU_DEP_1) | instskip(NEXT) | instid1(VALU_DEP_1)
	v_max_f32_e32 v8, 0x2edbe6ff, v8
	v_and_b32_e32 v9, 0x7fffff, v8
	v_lshrrev_b32_e32 v8, 23, v8
	s_delay_alu instid0(VALU_DEP_2) | instskip(NEXT) | instid1(VALU_DEP_2)
	v_cmp_ne_u32_e32 vcc_lo, 0, v9
	v_add_co_ci_u32_e32 v24, vcc_lo, 0, v8, vcc_lo
	v_cmpx_eq_u32_e32 0, v15
	s_cbranch_execz .LBB42_8
; %bb.4:
	v_ashrrev_i32_e32 v8, 31, v10
	s_delay_alu instid0(VALU_DEP_1) | instskip(NEXT) | instid1(VALU_DEP_1)
	v_lshrrev_b32_e32 v8, 30, v8
	v_add_nc_u32_e32 v8, v10, v8
	s_delay_alu instid0(VALU_DEP_1) | instskip(NEXT) | instid1(VALU_DEP_1)
	v_ashrrev_i32_e32 v11, 2, v8
	v_mad_u64_u32 v[8:9], null, v11, s7, v[12:13]
	v_mov_b32_e32 v9, v24
	s_and_saveexec_b32 s7, s8
	s_cbranch_execz .LBB42_6
; %bb.5:
	s_load_b64 s[14:15], s[0:1], 0x30
	s_delay_alu instid0(VALU_DEP_2) | instskip(SKIP_2) | instid1(VALU_DEP_1)
	v_ashrrev_i32_e32 v9, 31, v8
	s_and_not1_b32 s11, s11, exec_lo
	s_waitcnt lgkmcnt(0)
	v_cmp_gt_i64_e32 vcc_lo, s[14:15], v[8:9]
	v_mov_b32_e32 v9, 0
	s_and_b32 s13, vcc_lo, exec_lo
	s_delay_alu instid0(SALU_CYCLE_1)
	s_or_b32 s11, s11, s13
.LBB42_6:
	s_or_b32 exec_lo, exec_lo, s7
	s_delay_alu instid0(SALU_CYCLE_1)
	s_and_b32 exec_lo, exec_lo, s11
	s_cbranch_execz .LBB42_8
; %bb.7:
	s_load_b64 s[14:15], s[0:1], 0x10
	v_lshlrev_b32_e32 v11, 2, v11
	s_delay_alu instid0(VALU_DEP_1) | instskip(NEXT) | instid1(VALU_DEP_1)
	v_sub_nc_u32_e32 v10, v10, v11
	v_lshl_add_u32 v8, v8, 2, v10
	s_delay_alu instid0(VALU_DEP_1) | instskip(SKIP_2) | instid1(VALU_DEP_2)
	v_ashrrev_i32_e32 v11, 31, v8
	s_waitcnt lgkmcnt(0)
	v_add_co_u32 v10, vcc_lo, s14, v8
	v_add_co_ci_u32_e32 v11, vcc_lo, s15, v11, vcc_lo
	global_store_b8 v[10:11], v9, off
.LBB42_8:
	s_or_b32 exec_lo, exec_lo, s12
                                        ; implicit-def: $sgpr7
	s_and_saveexec_b32 s11, s8
	s_delay_alu instid0(SALU_CYCLE_1)
	s_xor_b32 s8, exec_lo, s11
; %bb.9:
	v_cmp_gt_i32_e32 vcc_lo, s6, v12
	s_xor_b32 s2, s2, -1
	s_mov_b32 s7, 0
                                        ; implicit-def: $vgpr14
                                        ; implicit-def: $vgpr3
                                        ; implicit-def: $vgpr17
                                        ; implicit-def: $vgpr18
                                        ; implicit-def: $vgpr20
                                        ; implicit-def: $vgpr22
                                        ; implicit-def: $vgpr7
                                        ; implicit-def: $vgpr23
                                        ; implicit-def: $vgpr21
                                        ; implicit-def: $vgpr19
                                        ; implicit-def: $vgpr24
	s_and_b32 s2, vcc_lo, s2
	s_delay_alu instid0(SALU_CYCLE_1) | instskip(NEXT) | instid1(SALU_CYCLE_1)
	s_and_b32 s2, s3, s2
	s_and_b32 s5, s2, exec_lo
; %bb.10:
	s_or_saveexec_b32 s2, s8
	v_dual_mov_b32 v11, s7 :: v_dual_mov_b32 v10, s7
	v_dual_mov_b32 v9, s7 :: v_dual_mov_b32 v8, s7
	s_xor_b32 exec_lo, exec_lo, s2
	s_cbranch_execz .LBB42_108
; %bb.11:
	v_lshlrev_b32_e32 v8, 23, v24
	v_cvt_f32_f16_e32 v4, v4
	s_mov_b32 s3, exec_lo
	s_delay_alu instid0(VALU_DEP_2) | instskip(NEXT) | instid1(VALU_DEP_1)
	v_and_b32_e32 v8, 0x7f800000, v8
	v_div_scale_f32 v9, null, v8, v8, 1.0
	v_div_scale_f32 v24, vcc_lo, 1.0, v8, 1.0
	s_delay_alu instid0(VALU_DEP_2) | instskip(SKIP_2) | instid1(VALU_DEP_1)
	v_rcp_f32_e32 v10, v9
	s_waitcnt_depctr 0xfff
	v_fma_f32 v11, -v9, v10, 1.0
	v_fmac_f32_e32 v10, v11, v10
	s_delay_alu instid0(VALU_DEP_1) | instskip(NEXT) | instid1(VALU_DEP_1)
	v_mul_f32_e32 v11, v24, v10
	v_fma_f32 v25, -v9, v11, v24
	s_delay_alu instid0(VALU_DEP_1) | instskip(NEXT) | instid1(VALU_DEP_1)
	v_fmac_f32_e32 v11, v25, v10
	v_fma_f32 v9, -v9, v11, v24
	s_delay_alu instid0(VALU_DEP_1) | instskip(SKIP_2) | instid1(VALU_DEP_3)
	v_div_fmas_f32 v9, v9, v10, v11
	v_max_f32_e64 v10, s9, s9
	v_max_f32_e64 v11, s10, s10
	v_div_fixup_f32 v9, v9, v8, 1.0
	v_mov_b32_e32 v8, 0x80
	s_delay_alu instid0(VALU_DEP_2) | instskip(NEXT) | instid1(VALU_DEP_1)
	v_mul_f32_e32 v4, v9, v4
	v_maxmin_f32 v24, v4, v10, v11
	v_mov_b32_e32 v4, 0x80
	s_delay_alu instid0(VALU_DEP_2) | instskip(NEXT) | instid1(VALU_DEP_1)
	v_and_b32_e32 v25, 0x7fffffff, v24
	v_cmpx_gt_u32_e32 0x43800000, v25
	s_cbranch_execz .LBB42_17
; %bb.12:
	v_cmp_lt_u32_e32 vcc_lo, 0x3bffffff, v25
	s_mov_b32 s6, 0
                                        ; implicit-def: $vgpr25
	s_and_saveexec_b32 s7, vcc_lo
	s_delay_alu instid0(SALU_CYCLE_1)
	s_xor_b32 s7, exec_lo, s7
	s_cbranch_execnz .LBB42_111
; %bb.13:
	s_or_saveexec_b32 s7, s7
                                        ; implicit-def: $sgpr8
	s_delay_alu instid0(SALU_CYCLE_1)
	s_xor_b32 exec_lo, exec_lo, s7
	s_cbranch_execnz .LBB42_112
.LBB42_14:
	s_or_b32 exec_lo, exec_lo, s7
	v_mov_b32_e32 v4, s8
	s_and_saveexec_b32 s7, s6
.LBB42_15:
	v_lshrrev_b32_e32 v4, 24, v24
	s_delay_alu instid0(VALU_DEP_1)
	v_and_or_b32 v4, 0x80, v4, v25
.LBB42_16:
	s_or_b32 exec_lo, exec_lo, s7
.LBB42_17:
	s_delay_alu instid0(SALU_CYCLE_1) | instskip(SKIP_2) | instid1(VALU_DEP_1)
	s_or_b32 exec_lo, exec_lo, s3
	v_cvt_f32_f16_e32 v19, v19
	s_mov_b32 s3, exec_lo
	v_mul_f32_e32 v19, v9, v19
	s_delay_alu instid0(VALU_DEP_1) | instskip(NEXT) | instid1(VALU_DEP_1)
	v_maxmin_f32 v19, v19, v10, v11
	v_and_b32_e32 v24, 0x7fffffff, v19
	s_delay_alu instid0(VALU_DEP_1)
	v_cmpx_gt_u32_e32 0x43800000, v24
	s_cbranch_execz .LBB42_23
; %bb.18:
	v_cmp_lt_u32_e32 vcc_lo, 0x3bffffff, v24
	s_mov_b32 s6, 0
                                        ; implicit-def: $vgpr24
	s_and_saveexec_b32 s7, vcc_lo
	s_delay_alu instid0(SALU_CYCLE_1)
	s_xor_b32 s7, exec_lo, s7
	s_cbranch_execnz .LBB42_113
; %bb.19:
	s_or_saveexec_b32 s7, s7
                                        ; implicit-def: $sgpr8
	s_delay_alu instid0(SALU_CYCLE_1)
	s_xor_b32 exec_lo, exec_lo, s7
	s_cbranch_execnz .LBB42_114
.LBB42_20:
	s_or_b32 exec_lo, exec_lo, s7
	v_mov_b32_e32 v8, s8
	s_and_saveexec_b32 s7, s6
.LBB42_21:
	v_lshrrev_b32_e32 v8, 24, v19
	s_delay_alu instid0(VALU_DEP_1)
	v_and_or_b32 v8, 0x80, v8, v24
.LBB42_22:
	s_or_b32 exec_lo, exec_lo, s7
.LBB42_23:
	s_delay_alu instid0(SALU_CYCLE_1) | instskip(SKIP_3) | instid1(VALU_DEP_2)
	s_or_b32 exec_lo, exec_lo, s3
	v_cvt_f32_f16_e32 v5, v5
	v_mov_b32_e32 v19, 0x80
	s_mov_b32 s3, exec_lo
	v_mul_f32_e32 v5, v9, v5
	s_delay_alu instid0(VALU_DEP_1) | instskip(SKIP_1) | instid1(VALU_DEP_2)
	v_maxmin_f32 v24, v5, v10, v11
	v_mov_b32_e32 v5, 0x80
	v_and_b32_e32 v25, 0x7fffffff, v24
	s_delay_alu instid0(VALU_DEP_1)
	v_cmpx_gt_u32_e32 0x43800000, v25
	s_cbranch_execz .LBB42_29
; %bb.24:
	v_cmp_lt_u32_e32 vcc_lo, 0x3bffffff, v25
	s_mov_b32 s6, 0
                                        ; implicit-def: $vgpr25
	s_and_saveexec_b32 s7, vcc_lo
	s_delay_alu instid0(SALU_CYCLE_1)
	s_xor_b32 s7, exec_lo, s7
	s_cbranch_execnz .LBB42_115
; %bb.25:
	s_or_saveexec_b32 s7, s7
                                        ; implicit-def: $sgpr8
	s_delay_alu instid0(SALU_CYCLE_1)
	s_xor_b32 exec_lo, exec_lo, s7
	s_cbranch_execnz .LBB42_116
.LBB42_26:
	s_or_b32 exec_lo, exec_lo, s7
	v_mov_b32_e32 v19, s8
	s_and_saveexec_b32 s7, s6
.LBB42_27:
	v_lshrrev_b32_e32 v19, 24, v24
	s_delay_alu instid0(VALU_DEP_1)
	v_and_or_b32 v19, 0x80, v19, v25
.LBB42_28:
	s_or_b32 exec_lo, exec_lo, s7
.LBB42_29:
	s_delay_alu instid0(SALU_CYCLE_1) | instskip(SKIP_2) | instid1(VALU_DEP_1)
	s_or_b32 exec_lo, exec_lo, s3
	v_cvt_f32_f16_e32 v21, v21
	s_mov_b32 s3, exec_lo
	v_mul_f32_e32 v21, v9, v21
	s_delay_alu instid0(VALU_DEP_1) | instskip(NEXT) | instid1(VALU_DEP_1)
	v_maxmin_f32 v21, v21, v10, v11
	v_and_b32_e32 v24, 0x7fffffff, v21
	s_delay_alu instid0(VALU_DEP_1)
	v_cmpx_gt_u32_e32 0x43800000, v24
	s_cbranch_execz .LBB42_35
; %bb.30:
	v_cmp_lt_u32_e32 vcc_lo, 0x3bffffff, v24
	s_mov_b32 s6, 0
                                        ; implicit-def: $vgpr24
	s_and_saveexec_b32 s7, vcc_lo
	s_delay_alu instid0(SALU_CYCLE_1)
	s_xor_b32 s7, exec_lo, s7
	s_cbranch_execnz .LBB42_117
; %bb.31:
	s_or_saveexec_b32 s7, s7
                                        ; implicit-def: $sgpr8
	s_delay_alu instid0(SALU_CYCLE_1)
	s_xor_b32 exec_lo, exec_lo, s7
	s_cbranch_execnz .LBB42_118
.LBB42_32:
	s_or_b32 exec_lo, exec_lo, s7
	v_mov_b32_e32 v5, s8
	s_and_saveexec_b32 s7, s6
.LBB42_33:
	v_lshrrev_b32_e32 v5, 24, v21
	s_delay_alu instid0(VALU_DEP_1)
	v_and_or_b32 v5, 0x80, v5, v24
.LBB42_34:
	s_or_b32 exec_lo, exec_lo, s7
.LBB42_35:
	s_delay_alu instid0(SALU_CYCLE_1) | instskip(SKIP_3) | instid1(VALU_DEP_2)
	s_or_b32 exec_lo, exec_lo, s3
	v_cvt_f32_f16_e32 v6, v6
	v_mov_b32_e32 v21, 0x80
	s_mov_b32 s3, exec_lo
	v_mul_f32_e32 v6, v9, v6
	s_delay_alu instid0(VALU_DEP_1) | instskip(SKIP_1) | instid1(VALU_DEP_2)
	v_maxmin_f32 v24, v6, v10, v11
	v_mov_b32_e32 v6, 0x80
	v_and_b32_e32 v25, 0x7fffffff, v24
	s_delay_alu instid0(VALU_DEP_1)
	v_cmpx_gt_u32_e32 0x43800000, v25
	s_cbranch_execz .LBB42_41
; %bb.36:
	v_cmp_lt_u32_e32 vcc_lo, 0x3bffffff, v25
	s_mov_b32 s6, 0
                                        ; implicit-def: $vgpr25
	s_and_saveexec_b32 s7, vcc_lo
	s_delay_alu instid0(SALU_CYCLE_1)
	s_xor_b32 s7, exec_lo, s7
	s_cbranch_execnz .LBB42_119
; %bb.37:
	s_or_saveexec_b32 s7, s7
                                        ; implicit-def: $sgpr8
	s_delay_alu instid0(SALU_CYCLE_1)
	s_xor_b32 exec_lo, exec_lo, s7
	s_cbranch_execnz .LBB42_120
.LBB42_38:
	s_or_b32 exec_lo, exec_lo, s7
	v_mov_b32_e32 v6, s8
	s_and_saveexec_b32 s7, s6
.LBB42_39:
	v_lshrrev_b32_e32 v6, 24, v24
	s_delay_alu instid0(VALU_DEP_1)
	v_and_or_b32 v6, 0x80, v6, v25
.LBB42_40:
	s_or_b32 exec_lo, exec_lo, s7
.LBB42_41:
	s_delay_alu instid0(SALU_CYCLE_1) | instskip(SKIP_2) | instid1(VALU_DEP_1)
	s_or_b32 exec_lo, exec_lo, s3
	v_cvt_f32_f16_e32 v23, v23
	s_mov_b32 s3, exec_lo
	v_mul_f32_e32 v23, v9, v23
	s_delay_alu instid0(VALU_DEP_1) | instskip(NEXT) | instid1(VALU_DEP_1)
	v_maxmin_f32 v23, v23, v10, v11
	v_and_b32_e32 v24, 0x7fffffff, v23
	s_delay_alu instid0(VALU_DEP_1)
	v_cmpx_gt_u32_e32 0x43800000, v24
	s_cbranch_execz .LBB42_47
; %bb.42:
	v_cmp_lt_u32_e32 vcc_lo, 0x3bffffff, v24
	s_mov_b32 s6, 0
                                        ; implicit-def: $vgpr24
	s_and_saveexec_b32 s7, vcc_lo
	s_delay_alu instid0(SALU_CYCLE_1)
	s_xor_b32 s7, exec_lo, s7
	s_cbranch_execnz .LBB42_121
; %bb.43:
	s_or_saveexec_b32 s7, s7
                                        ; implicit-def: $sgpr8
	s_delay_alu instid0(SALU_CYCLE_1)
	s_xor_b32 exec_lo, exec_lo, s7
	s_cbranch_execnz .LBB42_122
.LBB42_44:
	s_or_b32 exec_lo, exec_lo, s7
	v_mov_b32_e32 v21, s8
	s_and_saveexec_b32 s7, s6
.LBB42_45:
	v_lshrrev_b32_e32 v21, 24, v23
	s_delay_alu instid0(VALU_DEP_1)
	v_and_or_b32 v21, 0x80, v21, v24
.LBB42_46:
	s_or_b32 exec_lo, exec_lo, s7
.LBB42_47:
	s_delay_alu instid0(SALU_CYCLE_1) | instskip(SKIP_3) | instid1(VALU_DEP_2)
	s_or_b32 exec_lo, exec_lo, s3
	v_cvt_f32_f16_e32 v7, v7
	v_mov_b32_e32 v23, 0x80
	s_mov_b32 s3, exec_lo
	v_mul_f32_e32 v7, v9, v7
	s_delay_alu instid0(VALU_DEP_1) | instskip(SKIP_1) | instid1(VALU_DEP_2)
	v_maxmin_f32 v24, v7, v10, v11
	v_mov_b32_e32 v7, 0x80
	v_and_b32_e32 v25, 0x7fffffff, v24
	s_delay_alu instid0(VALU_DEP_1)
	v_cmpx_gt_u32_e32 0x43800000, v25
	s_cbranch_execz .LBB42_53
; %bb.48:
	v_cmp_lt_u32_e32 vcc_lo, 0x3bffffff, v25
	s_mov_b32 s6, 0
                                        ; implicit-def: $vgpr25
	s_and_saveexec_b32 s7, vcc_lo
	s_delay_alu instid0(SALU_CYCLE_1)
	s_xor_b32 s7, exec_lo, s7
	s_cbranch_execnz .LBB42_123
; %bb.49:
	s_or_saveexec_b32 s7, s7
                                        ; implicit-def: $sgpr8
	s_delay_alu instid0(SALU_CYCLE_1)
	s_xor_b32 exec_lo, exec_lo, s7
	s_cbranch_execnz .LBB42_124
.LBB42_50:
	s_or_b32 exec_lo, exec_lo, s7
	v_mov_b32_e32 v23, s8
	s_and_saveexec_b32 s7, s6
.LBB42_51:
	v_lshrrev_b32_e32 v23, 24, v24
	s_delay_alu instid0(VALU_DEP_1)
	v_and_or_b32 v23, 0x80, v23, v25
.LBB42_52:
	s_or_b32 exec_lo, exec_lo, s7
.LBB42_53:
	s_delay_alu instid0(SALU_CYCLE_1) | instskip(SKIP_2) | instid1(VALU_DEP_1)
	s_or_b32 exec_lo, exec_lo, s3
	v_cvt_f32_f16_e32 v22, v22
	s_mov_b32 s3, exec_lo
	v_mul_f32_e32 v22, v9, v22
	s_delay_alu instid0(VALU_DEP_1) | instskip(NEXT) | instid1(VALU_DEP_1)
	v_maxmin_f32 v22, v22, v10, v11
	v_and_b32_e32 v24, 0x7fffffff, v22
	s_delay_alu instid0(VALU_DEP_1)
	v_cmpx_gt_u32_e32 0x43800000, v24
	s_cbranch_execz .LBB42_59
; %bb.54:
	v_cmp_lt_u32_e32 vcc_lo, 0x3bffffff, v24
	s_mov_b32 s6, 0
                                        ; implicit-def: $vgpr24
	s_and_saveexec_b32 s7, vcc_lo
	s_delay_alu instid0(SALU_CYCLE_1)
	s_xor_b32 s7, exec_lo, s7
	s_cbranch_execnz .LBB42_125
; %bb.55:
	s_or_saveexec_b32 s7, s7
                                        ; implicit-def: $sgpr8
	s_delay_alu instid0(SALU_CYCLE_1)
	s_xor_b32 exec_lo, exec_lo, s7
	s_cbranch_execnz .LBB42_126
.LBB42_56:
	s_or_b32 exec_lo, exec_lo, s7
	v_mov_b32_e32 v7, s8
	s_and_saveexec_b32 s7, s6
.LBB42_57:
	v_lshrrev_b32_e32 v7, 24, v22
	s_delay_alu instid0(VALU_DEP_1)
	v_and_or_b32 v7, 0x80, v7, v24
.LBB42_58:
	s_or_b32 exec_lo, exec_lo, s7
.LBB42_59:
	s_delay_alu instid0(SALU_CYCLE_1) | instskip(SKIP_3) | instid1(VALU_DEP_2)
	s_or_b32 exec_lo, exec_lo, s3
	v_cvt_f32_f16_e32 v0, v0
	v_mov_b32_e32 v22, 0x80
	s_mov_b32 s3, exec_lo
	v_mul_f32_e32 v0, v9, v0
	s_delay_alu instid0(VALU_DEP_1) | instskip(SKIP_1) | instid1(VALU_DEP_2)
	v_maxmin_f32 v24, v0, v10, v11
	v_mov_b32_e32 v0, 0x80
	v_and_b32_e32 v25, 0x7fffffff, v24
	s_delay_alu instid0(VALU_DEP_1)
	v_cmpx_gt_u32_e32 0x43800000, v25
	s_cbranch_execz .LBB42_65
; %bb.60:
	v_cmp_lt_u32_e32 vcc_lo, 0x3bffffff, v25
	s_mov_b32 s6, 0
                                        ; implicit-def: $vgpr25
	s_and_saveexec_b32 s7, vcc_lo
	s_delay_alu instid0(SALU_CYCLE_1)
	s_xor_b32 s7, exec_lo, s7
	s_cbranch_execnz .LBB42_127
; %bb.61:
	s_or_saveexec_b32 s7, s7
                                        ; implicit-def: $sgpr8
	s_delay_alu instid0(SALU_CYCLE_1)
	s_xor_b32 exec_lo, exec_lo, s7
	s_cbranch_execnz .LBB42_128
.LBB42_62:
	s_or_b32 exec_lo, exec_lo, s7
	v_mov_b32_e32 v0, s8
	s_and_saveexec_b32 s7, s6
.LBB42_63:
	v_lshrrev_b32_e32 v0, 24, v24
	s_delay_alu instid0(VALU_DEP_1)
	v_and_or_b32 v0, 0x80, v0, v25
.LBB42_64:
	s_or_b32 exec_lo, exec_lo, s7
.LBB42_65:
	s_delay_alu instid0(SALU_CYCLE_1) | instskip(SKIP_2) | instid1(VALU_DEP_1)
	s_or_b32 exec_lo, exec_lo, s3
	v_cvt_f32_f16_e32 v20, v20
	s_mov_b32 s3, exec_lo
	v_mul_f32_e32 v20, v9, v20
	s_delay_alu instid0(VALU_DEP_1) | instskip(NEXT) | instid1(VALU_DEP_1)
	v_maxmin_f32 v20, v20, v10, v11
	v_and_b32_e32 v24, 0x7fffffff, v20
	s_delay_alu instid0(VALU_DEP_1)
	v_cmpx_gt_u32_e32 0x43800000, v24
	s_cbranch_execz .LBB42_71
; %bb.66:
	v_cmp_lt_u32_e32 vcc_lo, 0x3bffffff, v24
	s_mov_b32 s6, 0
                                        ; implicit-def: $vgpr24
	s_and_saveexec_b32 s7, vcc_lo
	s_delay_alu instid0(SALU_CYCLE_1)
	s_xor_b32 s7, exec_lo, s7
	s_cbranch_execnz .LBB42_129
; %bb.67:
	s_or_saveexec_b32 s7, s7
                                        ; implicit-def: $sgpr8
	s_delay_alu instid0(SALU_CYCLE_1)
	s_xor_b32 exec_lo, exec_lo, s7
	s_cbranch_execnz .LBB42_130
.LBB42_68:
	s_or_b32 exec_lo, exec_lo, s7
	v_mov_b32_e32 v22, s8
	s_and_saveexec_b32 s7, s6
.LBB42_69:
	v_lshrrev_b32_e32 v20, 24, v20
	s_delay_alu instid0(VALU_DEP_1)
	v_and_or_b32 v22, 0x80, v20, v24
.LBB42_70:
	s_or_b32 exec_lo, exec_lo, s7
.LBB42_71:
	s_delay_alu instid0(SALU_CYCLE_1) | instskip(SKIP_2) | instid1(VALU_DEP_1)
	s_or_b32 exec_lo, exec_lo, s3
	v_cvt_f32_f16_e32 v1, v1
	s_mov_b32 s3, exec_lo
	v_mul_f32_e32 v1, v9, v1
	s_delay_alu instid0(VALU_DEP_1) | instskip(SKIP_1) | instid1(VALU_DEP_2)
	v_maxmin_f32 v20, v1, v10, v11
	v_mov_b32_e32 v1, 0x800000
	v_and_b32_e32 v24, 0x7fffffff, v20
	s_delay_alu instid0(VALU_DEP_1)
	v_cmpx_gt_u32_e32 0x43800000, v24
	s_cbranch_execz .LBB42_77
; %bb.72:
	v_cmp_lt_u32_e32 vcc_lo, 0x3bffffff, v24
	s_mov_b32 s6, 0
                                        ; implicit-def: $vgpr24
	s_and_saveexec_b32 s7, vcc_lo
	s_delay_alu instid0(SALU_CYCLE_1)
	s_xor_b32 s7, exec_lo, s7
	s_cbranch_execnz .LBB42_131
; %bb.73:
	s_or_saveexec_b32 s7, s7
                                        ; implicit-def: $sgpr8
	s_delay_alu instid0(SALU_CYCLE_1)
	s_xor_b32 exec_lo, exec_lo, s7
	s_cbranch_execnz .LBB42_132
.LBB42_74:
	s_or_b32 exec_lo, exec_lo, s7
	v_mov_b32_e32 v1, s8
	s_and_saveexec_b32 s7, s6
.LBB42_75:
	v_lshrrev_b32_e32 v1, 24, v20
	s_delay_alu instid0(VALU_DEP_1) | instskip(NEXT) | instid1(VALU_DEP_1)
	v_and_or_b32 v1, 0x80, v1, v24
	v_lshlrev_b32_e32 v1, 16, v1
	s_delay_alu instid0(VALU_DEP_1)
	v_and_b32_e32 v1, 0xff0000, v1
.LBB42_76:
	s_or_b32 exec_lo, exec_lo, s7
.LBB42_77:
	s_delay_alu instid0(SALU_CYCLE_1) | instskip(SKIP_2) | instid1(VALU_DEP_1)
	s_or_b32 exec_lo, exec_lo, s3
	v_cvt_f32_f16_e32 v18, v18
	s_mov_b32 s3, exec_lo
	v_mul_f32_e32 v18, v9, v18
	s_delay_alu instid0(VALU_DEP_1) | instskip(SKIP_1) | instid1(VALU_DEP_2)
	v_maxmin_f32 v20, v18, v10, v11
	v_bfrev_b32_e32 v18, 1
	v_and_b32_e32 v24, 0x7fffffff, v20
	s_delay_alu instid0(VALU_DEP_1)
	v_cmpx_gt_u32_e32 0x43800000, v24
	s_cbranch_execz .LBB42_83
; %bb.78:
	v_cmp_lt_u32_e32 vcc_lo, 0x3bffffff, v24
	s_mov_b32 s6, 0
                                        ; implicit-def: $vgpr24
	s_and_saveexec_b32 s7, vcc_lo
	s_delay_alu instid0(SALU_CYCLE_1)
	s_xor_b32 s7, exec_lo, s7
	s_cbranch_execnz .LBB42_133
; %bb.79:
	s_or_saveexec_b32 s7, s7
                                        ; implicit-def: $sgpr8
	s_delay_alu instid0(SALU_CYCLE_1)
	s_xor_b32 exec_lo, exec_lo, s7
	s_cbranch_execnz .LBB42_134
.LBB42_80:
	s_or_b32 exec_lo, exec_lo, s7
	v_mov_b32_e32 v18, s8
	s_and_saveexec_b32 s7, s6
.LBB42_81:
	v_lshlrev_b32_e32 v18, 24, v24
	s_delay_alu instid0(VALU_DEP_1)
	v_and_or_b32 v18, 0x80000000, v20, v18
.LBB42_82:
	s_or_b32 exec_lo, exec_lo, s7
.LBB42_83:
	s_delay_alu instid0(SALU_CYCLE_1) | instskip(SKIP_2) | instid1(VALU_DEP_1)
	s_or_b32 exec_lo, exec_lo, s3
	v_cvt_f32_f16_e32 v2, v2
	s_mov_b32 s3, exec_lo
	v_mul_f32_e32 v2, v9, v2
	s_delay_alu instid0(VALU_DEP_1) | instskip(SKIP_1) | instid1(VALU_DEP_2)
	v_maxmin_f32 v20, v2, v10, v11
	v_mov_b32_e32 v2, 0x80
	v_and_b32_e32 v24, 0x7fffffff, v20
	s_delay_alu instid0(VALU_DEP_1)
	v_cmpx_gt_u32_e32 0x43800000, v24
	s_cbranch_execz .LBB42_89
; %bb.84:
	v_cmp_lt_u32_e32 vcc_lo, 0x3bffffff, v24
	s_mov_b32 s6, 0
                                        ; implicit-def: $vgpr24
	s_and_saveexec_b32 s7, vcc_lo
	s_delay_alu instid0(SALU_CYCLE_1)
	s_xor_b32 s7, exec_lo, s7
	s_cbranch_execnz .LBB42_135
; %bb.85:
	s_or_saveexec_b32 s7, s7
                                        ; implicit-def: $sgpr8
	s_delay_alu instid0(SALU_CYCLE_1)
	s_xor_b32 exec_lo, exec_lo, s7
	s_cbranch_execnz .LBB42_136
.LBB42_86:
	s_or_b32 exec_lo, exec_lo, s7
	v_mov_b32_e32 v2, s8
	s_and_saveexec_b32 s7, s6
.LBB42_87:
	v_lshrrev_b32_e32 v2, 24, v20
	s_delay_alu instid0(VALU_DEP_1)
	v_and_or_b32 v2, 0x80, v2, v24
.LBB42_88:
	s_or_b32 exec_lo, exec_lo, s7
.LBB42_89:
	s_delay_alu instid0(SALU_CYCLE_1) | instskip(SKIP_2) | instid1(VALU_DEP_1)
	s_or_b32 exec_lo, exec_lo, s3
	v_cvt_f32_f16_e32 v17, v17
	s_mov_b32 s3, exec_lo
	v_mul_f32_e32 v17, v9, v17
	s_delay_alu instid0(VALU_DEP_1) | instskip(SKIP_1) | instid1(VALU_DEP_2)
	v_maxmin_f32 v20, v17, v10, v11
	v_mov_b32_e32 v17, 0x8000
	v_and_b32_e32 v24, 0x7fffffff, v20
	s_delay_alu instid0(VALU_DEP_1)
	v_cmpx_gt_u32_e32 0x43800000, v24
	s_cbranch_execz .LBB42_95
; %bb.90:
	v_cmp_lt_u32_e32 vcc_lo, 0x3bffffff, v24
	s_mov_b32 s6, 0
                                        ; implicit-def: $vgpr24
	s_and_saveexec_b32 s7, vcc_lo
	s_delay_alu instid0(SALU_CYCLE_1)
	s_xor_b32 s7, exec_lo, s7
	s_cbranch_execnz .LBB42_137
; %bb.91:
	s_or_saveexec_b32 s7, s7
                                        ; implicit-def: $sgpr8
	s_delay_alu instid0(SALU_CYCLE_1)
	s_xor_b32 exec_lo, exec_lo, s7
	s_cbranch_execnz .LBB42_138
.LBB42_92:
	s_or_b32 exec_lo, exec_lo, s7
	v_mov_b32_e32 v17, s8
	s_and_saveexec_b32 s7, s6
.LBB42_93:
	v_lshrrev_b32_e32 v17, 24, v20
	s_delay_alu instid0(VALU_DEP_1) | instskip(NEXT) | instid1(VALU_DEP_1)
	v_and_or_b32 v17, 0x80, v17, v24
	v_lshlrev_b32_e32 v17, 8, v17
.LBB42_94:
	s_or_b32 exec_lo, exec_lo, s7
.LBB42_95:
	s_delay_alu instid0(SALU_CYCLE_1) | instskip(SKIP_2) | instid1(VALU_DEP_1)
	s_or_b32 exec_lo, exec_lo, s3
	v_cvt_f32_f16_e32 v3, v3
	s_mov_b32 s3, exec_lo
	v_mul_f32_e32 v3, v9, v3
	s_delay_alu instid0(VALU_DEP_1) | instskip(SKIP_1) | instid1(VALU_DEP_2)
	v_maxmin_f32 v20, v3, v10, v11
	v_mov_b32_e32 v3, 0x800000
	v_and_b32_e32 v24, 0x7fffffff, v20
	s_delay_alu instid0(VALU_DEP_1)
	v_cmpx_gt_u32_e32 0x43800000, v24
	s_cbranch_execz .LBB42_101
; %bb.96:
	v_cmp_lt_u32_e32 vcc_lo, 0x3bffffff, v24
	s_mov_b32 s6, 0
                                        ; implicit-def: $vgpr24
	s_and_saveexec_b32 s7, vcc_lo
	s_delay_alu instid0(SALU_CYCLE_1)
	s_xor_b32 s7, exec_lo, s7
	s_cbranch_execnz .LBB42_139
; %bb.97:
	s_or_saveexec_b32 s7, s7
                                        ; implicit-def: $sgpr8
	s_delay_alu instid0(SALU_CYCLE_1)
	s_xor_b32 exec_lo, exec_lo, s7
	s_cbranch_execnz .LBB42_140
.LBB42_98:
	s_or_b32 exec_lo, exec_lo, s7
	v_mov_b32_e32 v3, s8
	s_and_saveexec_b32 s7, s6
.LBB42_99:
	v_lshrrev_b32_e32 v3, 24, v20
	s_delay_alu instid0(VALU_DEP_1) | instskip(NEXT) | instid1(VALU_DEP_1)
	v_and_or_b32 v3, 0x80, v3, v24
	v_lshlrev_b32_e32 v3, 16, v3
.LBB42_100:
	s_or_b32 exec_lo, exec_lo, s7
.LBB42_101:
	s_delay_alu instid0(SALU_CYCLE_1) | instskip(SKIP_2) | instid1(VALU_DEP_1)
	s_or_b32 exec_lo, exec_lo, s3
	v_cvt_f32_f16_e32 v14, v14
	s_mov_b32 s3, exec_lo
	v_mul_f32_e32 v9, v9, v14
	s_delay_alu instid0(VALU_DEP_1) | instskip(SKIP_1) | instid1(VALU_DEP_2)
	v_maxmin_f32 v9, v9, v10, v11
	v_bfrev_b32_e32 v11, 1
	v_and_b32_e32 v10, 0x7fffffff, v9
	s_delay_alu instid0(VALU_DEP_1)
	v_cmpx_gt_u32_e32 0x43800000, v10
	s_cbranch_execz .LBB42_107
; %bb.102:
	v_cmp_lt_u32_e32 vcc_lo, 0x3bffffff, v10
	s_mov_b32 s6, 0
                                        ; implicit-def: $vgpr10
	s_and_saveexec_b32 s7, vcc_lo
	s_delay_alu instid0(SALU_CYCLE_1)
	s_xor_b32 s7, exec_lo, s7
	s_cbranch_execnz .LBB42_141
; %bb.103:
	s_or_saveexec_b32 s7, s7
                                        ; implicit-def: $sgpr8
	s_delay_alu instid0(SALU_CYCLE_1)
	s_xor_b32 exec_lo, exec_lo, s7
	s_cbranch_execnz .LBB42_142
.LBB42_104:
	s_or_b32 exec_lo, exec_lo, s7
	v_mov_b32_e32 v11, s8
	s_and_saveexec_b32 s7, s6
.LBB42_105:
	v_lshlrev_b32_e32 v10, 24, v10
	s_delay_alu instid0(VALU_DEP_1)
	v_and_or_b32 v11, 0x80000000, v9, v10
.LBB42_106:
	s_or_b32 exec_lo, exec_lo, s7
.LBB42_107:
	s_delay_alu instid0(SALU_CYCLE_1)
	s_or_b32 exec_lo, exec_lo, s3
	v_lshlrev_b32_e32 v9, 8, v21
	v_lshlrev_b32_e32 v8, 8, v8
	;; [unrolled: 1-line block ×5, first 2 shown]
	v_perm_b32 v6, v9, v6, 0xc0c0500
	v_perm_b32 v4, v8, v4, 0xc0c0500
	;; [unrolled: 1-line block ×3, first 2 shown]
	v_or_b32_e32 v2, v17, v2
	s_or_b32 s5, s5, exec_lo
	v_and_or_b32 v6, 0xff0000, v14, v6
	v_and_or_b32 v4, 0xff0000, v19, v4
	v_or3_b32 v10, v1, v0, v18
	v_or3_b32 v11, v3, v2, v11
	s_delay_alu instid0(VALU_DEP_4) | instskip(NEXT) | instid1(VALU_DEP_4)
	v_lshl_or_b32 v9, v7, 24, v6
	v_lshl_or_b32 v8, v5, 24, v4
.LBB42_108:
	s_or_b32 exec_lo, exec_lo, s2
	s_delay_alu instid0(SALU_CYCLE_1)
	s_and_b32 exec_lo, exec_lo, s5
	s_cbranch_execz .LBB42_110
; %bb.109:
	s_load_b64 s[0:1], s[0:1], 0x8
	v_lshlrev_b32_e32 v2, 7, v12
	v_alignbit_b32 v0, v16, v12, 25
	s_ashr_i32 s2, s4, 31
	s_delay_alu instid0(VALU_DEP_2) | instid1(SALU_CYCLE_1)
	v_mul_lo_u32 v3, v2, s2
	s_delay_alu instid0(VALU_DEP_2) | instskip(SKIP_3) | instid1(VALU_DEP_2)
	v_mul_lo_u32 v4, v0, s4
	s_waitcnt lgkmcnt(0)
	v_mad_u64_u32 v[0:1], null, v2, s4, s[0:1]
	v_ashrrev_i32_e32 v2, 31, v13
	v_add3_u32 v1, v4, v1, v3
	v_lshlrev_b32_e32 v3, 4, v15
	s_delay_alu instid0(VALU_DEP_4) | instskip(NEXT) | instid1(VALU_DEP_3)
	v_add_co_u32 v0, vcc_lo, v0, v13
	v_add_co_ci_u32_e32 v1, vcc_lo, v1, v2, vcc_lo
	s_delay_alu instid0(VALU_DEP_2) | instskip(NEXT) | instid1(VALU_DEP_2)
	v_add_co_u32 v0, vcc_lo, v0, v3
	v_add_co_ci_u32_e32 v1, vcc_lo, 0, v1, vcc_lo
	global_store_b128 v[0:1], v[8:11], off
.LBB42_110:
	s_nop 0
	s_sendmsg sendmsg(MSG_DEALLOC_VGPRS)
	s_endpgm
.LBB42_111:
	v_bfe_u32 v4, v24, 20, 1
	s_mov_b32 s6, exec_lo
	s_delay_alu instid0(VALU_DEP_1) | instskip(NEXT) | instid1(VALU_DEP_1)
	v_add3_u32 v4, v24, v4, 0x487ffff
	v_lshrrev_b32_e32 v25, 20, v4
	s_or_saveexec_b32 s7, s7
                                        ; implicit-def: $sgpr8
	s_delay_alu instid0(SALU_CYCLE_1)
	s_xor_b32 exec_lo, exec_lo, s7
	s_cbranch_execz .LBB42_14
.LBB42_112:
	v_add_f32_e64 v4, 0x46000000, |v24|
	s_and_not1_b32 s6, s6, exec_lo
	s_mov_b32 s8, 0
	s_delay_alu instid0(VALU_DEP_1) | instskip(NEXT) | instid1(VALU_DEP_1)
	v_and_b32_e32 v25, 0xff, v4
	v_cmp_ne_u32_e32 vcc_lo, 0, v25
	s_and_b32 s9, vcc_lo, exec_lo
	s_delay_alu instid0(SALU_CYCLE_1)
	s_or_b32 s6, s6, s9
	s_or_b32 exec_lo, exec_lo, s7
	v_mov_b32_e32 v4, s8
	s_and_saveexec_b32 s7, s6
	s_cbranch_execnz .LBB42_15
	s_branch .LBB42_16
.LBB42_113:
	v_bfe_u32 v8, v19, 20, 1
	s_mov_b32 s6, exec_lo
	s_delay_alu instid0(VALU_DEP_1) | instskip(NEXT) | instid1(VALU_DEP_1)
	v_add3_u32 v8, v19, v8, 0x487ffff
	v_lshrrev_b32_e32 v24, 20, v8
	s_or_saveexec_b32 s7, s7
                                        ; implicit-def: $sgpr8
	s_delay_alu instid0(SALU_CYCLE_1)
	s_xor_b32 exec_lo, exec_lo, s7
	s_cbranch_execz .LBB42_20
.LBB42_114:
	v_add_f32_e64 v8, 0x46000000, |v19|
	s_and_not1_b32 s6, s6, exec_lo
	s_mov_b32 s8, 0
	s_delay_alu instid0(VALU_DEP_1) | instskip(NEXT) | instid1(VALU_DEP_1)
	v_and_b32_e32 v24, 0xff, v8
	v_cmp_ne_u32_e32 vcc_lo, 0, v24
	s_and_b32 s9, vcc_lo, exec_lo
	s_delay_alu instid0(SALU_CYCLE_1)
	s_or_b32 s6, s6, s9
	s_or_b32 exec_lo, exec_lo, s7
	v_mov_b32_e32 v8, s8
	s_and_saveexec_b32 s7, s6
	s_cbranch_execnz .LBB42_21
	s_branch .LBB42_22
.LBB42_115:
	v_bfe_u32 v19, v24, 20, 1
	s_mov_b32 s6, exec_lo
	s_delay_alu instid0(VALU_DEP_1) | instskip(NEXT) | instid1(VALU_DEP_1)
	v_add3_u32 v19, v24, v19, 0x487ffff
	v_lshrrev_b32_e32 v25, 20, v19
	s_or_saveexec_b32 s7, s7
                                        ; implicit-def: $sgpr8
	s_delay_alu instid0(SALU_CYCLE_1)
	s_xor_b32 exec_lo, exec_lo, s7
	s_cbranch_execz .LBB42_26
.LBB42_116:
	v_add_f32_e64 v19, 0x46000000, |v24|
	s_and_not1_b32 s6, s6, exec_lo
	s_mov_b32 s8, 0
	s_delay_alu instid0(VALU_DEP_1) | instskip(NEXT) | instid1(VALU_DEP_1)
	v_and_b32_e32 v25, 0xff, v19
	v_cmp_ne_u32_e32 vcc_lo, 0, v25
	s_and_b32 s9, vcc_lo, exec_lo
	s_delay_alu instid0(SALU_CYCLE_1)
	s_or_b32 s6, s6, s9
	s_or_b32 exec_lo, exec_lo, s7
	v_mov_b32_e32 v19, s8
	s_and_saveexec_b32 s7, s6
	s_cbranch_execnz .LBB42_27
	s_branch .LBB42_28
.LBB42_117:
	v_bfe_u32 v5, v21, 20, 1
	s_mov_b32 s6, exec_lo
	s_delay_alu instid0(VALU_DEP_1) | instskip(NEXT) | instid1(VALU_DEP_1)
	v_add3_u32 v5, v21, v5, 0x487ffff
	v_lshrrev_b32_e32 v24, 20, v5
	s_or_saveexec_b32 s7, s7
                                        ; implicit-def: $sgpr8
	s_delay_alu instid0(SALU_CYCLE_1)
	s_xor_b32 exec_lo, exec_lo, s7
	s_cbranch_execz .LBB42_32
.LBB42_118:
	v_add_f32_e64 v5, 0x46000000, |v21|
	s_and_not1_b32 s6, s6, exec_lo
	s_mov_b32 s8, 0
	s_delay_alu instid0(VALU_DEP_1) | instskip(NEXT) | instid1(VALU_DEP_1)
	v_and_b32_e32 v24, 0xff, v5
	v_cmp_ne_u32_e32 vcc_lo, 0, v24
	s_and_b32 s9, vcc_lo, exec_lo
	s_delay_alu instid0(SALU_CYCLE_1)
	s_or_b32 s6, s6, s9
	s_or_b32 exec_lo, exec_lo, s7
	v_mov_b32_e32 v5, s8
	s_and_saveexec_b32 s7, s6
	s_cbranch_execnz .LBB42_33
	s_branch .LBB42_34
.LBB42_119:
	v_bfe_u32 v6, v24, 20, 1
	s_mov_b32 s6, exec_lo
	s_delay_alu instid0(VALU_DEP_1) | instskip(NEXT) | instid1(VALU_DEP_1)
	v_add3_u32 v6, v24, v6, 0x487ffff
	v_lshrrev_b32_e32 v25, 20, v6
	s_or_saveexec_b32 s7, s7
                                        ; implicit-def: $sgpr8
	s_delay_alu instid0(SALU_CYCLE_1)
	s_xor_b32 exec_lo, exec_lo, s7
	s_cbranch_execz .LBB42_38
.LBB42_120:
	v_add_f32_e64 v6, 0x46000000, |v24|
	s_and_not1_b32 s6, s6, exec_lo
	s_mov_b32 s8, 0
	s_delay_alu instid0(VALU_DEP_1) | instskip(NEXT) | instid1(VALU_DEP_1)
	v_and_b32_e32 v25, 0xff, v6
	v_cmp_ne_u32_e32 vcc_lo, 0, v25
	s_and_b32 s9, vcc_lo, exec_lo
	s_delay_alu instid0(SALU_CYCLE_1)
	s_or_b32 s6, s6, s9
	s_or_b32 exec_lo, exec_lo, s7
	v_mov_b32_e32 v6, s8
	s_and_saveexec_b32 s7, s6
	s_cbranch_execnz .LBB42_39
	s_branch .LBB42_40
.LBB42_121:
	v_bfe_u32 v21, v23, 20, 1
	s_mov_b32 s6, exec_lo
	s_delay_alu instid0(VALU_DEP_1) | instskip(NEXT) | instid1(VALU_DEP_1)
	v_add3_u32 v21, v23, v21, 0x487ffff
	v_lshrrev_b32_e32 v24, 20, v21
	s_or_saveexec_b32 s7, s7
                                        ; implicit-def: $sgpr8
	s_delay_alu instid0(SALU_CYCLE_1)
	s_xor_b32 exec_lo, exec_lo, s7
	s_cbranch_execz .LBB42_44
.LBB42_122:
	v_add_f32_e64 v21, 0x46000000, |v23|
	s_and_not1_b32 s6, s6, exec_lo
	s_mov_b32 s8, 0
	s_delay_alu instid0(VALU_DEP_1) | instskip(NEXT) | instid1(VALU_DEP_1)
	v_and_b32_e32 v24, 0xff, v21
	v_cmp_ne_u32_e32 vcc_lo, 0, v24
	s_and_b32 s9, vcc_lo, exec_lo
	s_delay_alu instid0(SALU_CYCLE_1)
	s_or_b32 s6, s6, s9
	s_or_b32 exec_lo, exec_lo, s7
	v_mov_b32_e32 v21, s8
	s_and_saveexec_b32 s7, s6
	s_cbranch_execnz .LBB42_45
	s_branch .LBB42_46
.LBB42_123:
	v_bfe_u32 v23, v24, 20, 1
	s_mov_b32 s6, exec_lo
	s_delay_alu instid0(VALU_DEP_1) | instskip(NEXT) | instid1(VALU_DEP_1)
	v_add3_u32 v23, v24, v23, 0x487ffff
	v_lshrrev_b32_e32 v25, 20, v23
	s_or_saveexec_b32 s7, s7
                                        ; implicit-def: $sgpr8
	s_delay_alu instid0(SALU_CYCLE_1)
	s_xor_b32 exec_lo, exec_lo, s7
	s_cbranch_execz .LBB42_50
.LBB42_124:
	v_add_f32_e64 v23, 0x46000000, |v24|
	s_and_not1_b32 s6, s6, exec_lo
	s_mov_b32 s8, 0
	s_delay_alu instid0(VALU_DEP_1) | instskip(NEXT) | instid1(VALU_DEP_1)
	v_and_b32_e32 v25, 0xff, v23
	v_cmp_ne_u32_e32 vcc_lo, 0, v25
	s_and_b32 s9, vcc_lo, exec_lo
	s_delay_alu instid0(SALU_CYCLE_1)
	s_or_b32 s6, s6, s9
	s_or_b32 exec_lo, exec_lo, s7
	v_mov_b32_e32 v23, s8
	s_and_saveexec_b32 s7, s6
	s_cbranch_execnz .LBB42_51
	s_branch .LBB42_52
.LBB42_125:
	v_bfe_u32 v7, v22, 20, 1
	s_mov_b32 s6, exec_lo
	s_delay_alu instid0(VALU_DEP_1) | instskip(NEXT) | instid1(VALU_DEP_1)
	v_add3_u32 v7, v22, v7, 0x487ffff
	v_lshrrev_b32_e32 v24, 20, v7
	s_or_saveexec_b32 s7, s7
                                        ; implicit-def: $sgpr8
	s_delay_alu instid0(SALU_CYCLE_1)
	s_xor_b32 exec_lo, exec_lo, s7
	s_cbranch_execz .LBB42_56
.LBB42_126:
	v_add_f32_e64 v7, 0x46000000, |v22|
	s_and_not1_b32 s6, s6, exec_lo
	s_mov_b32 s8, 0
	s_delay_alu instid0(VALU_DEP_1) | instskip(NEXT) | instid1(VALU_DEP_1)
	v_and_b32_e32 v24, 0xff, v7
	v_cmp_ne_u32_e32 vcc_lo, 0, v24
	s_and_b32 s9, vcc_lo, exec_lo
	s_delay_alu instid0(SALU_CYCLE_1)
	s_or_b32 s6, s6, s9
	s_or_b32 exec_lo, exec_lo, s7
	v_mov_b32_e32 v7, s8
	s_and_saveexec_b32 s7, s6
	s_cbranch_execnz .LBB42_57
	s_branch .LBB42_58
.LBB42_127:
	v_bfe_u32 v0, v24, 20, 1
	s_mov_b32 s6, exec_lo
	s_delay_alu instid0(VALU_DEP_1) | instskip(NEXT) | instid1(VALU_DEP_1)
	v_add3_u32 v0, v24, v0, 0x487ffff
	v_lshrrev_b32_e32 v25, 20, v0
	s_or_saveexec_b32 s7, s7
                                        ; implicit-def: $sgpr8
	s_delay_alu instid0(SALU_CYCLE_1)
	s_xor_b32 exec_lo, exec_lo, s7
	s_cbranch_execz .LBB42_62
.LBB42_128:
	v_add_f32_e64 v0, 0x46000000, |v24|
	s_and_not1_b32 s6, s6, exec_lo
	s_mov_b32 s8, 0
	s_delay_alu instid0(VALU_DEP_1) | instskip(NEXT) | instid1(VALU_DEP_1)
	v_and_b32_e32 v25, 0xff, v0
	v_cmp_ne_u32_e32 vcc_lo, 0, v25
	s_and_b32 s9, vcc_lo, exec_lo
	s_delay_alu instid0(SALU_CYCLE_1)
	s_or_b32 s6, s6, s9
	s_or_b32 exec_lo, exec_lo, s7
	v_mov_b32_e32 v0, s8
	s_and_saveexec_b32 s7, s6
	s_cbranch_execnz .LBB42_63
	s_branch .LBB42_64
.LBB42_129:
	v_bfe_u32 v22, v20, 20, 1
	s_mov_b32 s6, exec_lo
	s_delay_alu instid0(VALU_DEP_1) | instskip(NEXT) | instid1(VALU_DEP_1)
	v_add3_u32 v22, v20, v22, 0x487ffff
	v_lshrrev_b32_e32 v24, 20, v22
	s_or_saveexec_b32 s7, s7
                                        ; implicit-def: $sgpr8
	s_delay_alu instid0(SALU_CYCLE_1)
	s_xor_b32 exec_lo, exec_lo, s7
	s_cbranch_execz .LBB42_68
.LBB42_130:
	v_add_f32_e64 v22, 0x46000000, |v20|
	s_and_not1_b32 s6, s6, exec_lo
	s_mov_b32 s8, 0
	s_delay_alu instid0(VALU_DEP_1) | instskip(NEXT) | instid1(VALU_DEP_1)
	v_and_b32_e32 v24, 0xff, v22
	v_cmp_ne_u32_e32 vcc_lo, 0, v24
	s_and_b32 s9, vcc_lo, exec_lo
	s_delay_alu instid0(SALU_CYCLE_1)
	s_or_b32 s6, s6, s9
	s_or_b32 exec_lo, exec_lo, s7
	v_mov_b32_e32 v22, s8
	s_and_saveexec_b32 s7, s6
	s_cbranch_execnz .LBB42_69
	s_branch .LBB42_70
.LBB42_131:
	v_bfe_u32 v1, v20, 20, 1
	s_mov_b32 s6, exec_lo
	s_delay_alu instid0(VALU_DEP_1) | instskip(NEXT) | instid1(VALU_DEP_1)
	v_add3_u32 v1, v20, v1, 0x487ffff
	v_lshrrev_b32_e32 v24, 20, v1
	s_or_saveexec_b32 s7, s7
                                        ; implicit-def: $sgpr8
	s_delay_alu instid0(SALU_CYCLE_1)
	s_xor_b32 exec_lo, exec_lo, s7
	s_cbranch_execz .LBB42_74
.LBB42_132:
	v_add_f32_e64 v1, 0x46000000, |v20|
	s_and_not1_b32 s6, s6, exec_lo
	s_mov_b32 s8, 0
	s_delay_alu instid0(VALU_DEP_1) | instskip(NEXT) | instid1(VALU_DEP_1)
	v_and_b32_e32 v24, 0xff, v1
	v_cmp_ne_u32_e32 vcc_lo, 0, v24
	s_and_b32 s9, vcc_lo, exec_lo
	s_delay_alu instid0(SALU_CYCLE_1)
	s_or_b32 s6, s6, s9
	s_or_b32 exec_lo, exec_lo, s7
	v_mov_b32_e32 v1, s8
	s_and_saveexec_b32 s7, s6
	s_cbranch_execnz .LBB42_75
	s_branch .LBB42_76
.LBB42_133:
	v_bfe_u32 v18, v20, 20, 1
	s_mov_b32 s6, exec_lo
	s_delay_alu instid0(VALU_DEP_1) | instskip(NEXT) | instid1(VALU_DEP_1)
	v_add3_u32 v18, v20, v18, 0x487ffff
	v_lshrrev_b32_e32 v24, 20, v18
	s_or_saveexec_b32 s7, s7
                                        ; implicit-def: $sgpr8
	s_delay_alu instid0(SALU_CYCLE_1)
	s_xor_b32 exec_lo, exec_lo, s7
	s_cbranch_execz .LBB42_80
.LBB42_134:
	v_add_f32_e64 v18, 0x46000000, |v20|
	s_and_not1_b32 s6, s6, exec_lo
	s_mov_b32 s8, 0
	s_delay_alu instid0(VALU_DEP_1) | instskip(NEXT) | instid1(VALU_DEP_1)
	v_and_b32_e32 v24, 0xff, v18
	v_cmp_ne_u32_e32 vcc_lo, 0, v24
	s_and_b32 s9, vcc_lo, exec_lo
	s_delay_alu instid0(SALU_CYCLE_1)
	s_or_b32 s6, s6, s9
	s_or_b32 exec_lo, exec_lo, s7
	v_mov_b32_e32 v18, s8
	s_and_saveexec_b32 s7, s6
	s_cbranch_execnz .LBB42_81
	s_branch .LBB42_82
.LBB42_135:
	v_bfe_u32 v2, v20, 20, 1
	s_mov_b32 s6, exec_lo
	s_delay_alu instid0(VALU_DEP_1) | instskip(NEXT) | instid1(VALU_DEP_1)
	v_add3_u32 v2, v20, v2, 0x487ffff
	v_bfe_u32 v24, v2, 20, 8
	s_or_saveexec_b32 s7, s7
                                        ; implicit-def: $sgpr8
	s_delay_alu instid0(SALU_CYCLE_1)
	s_xor_b32 exec_lo, exec_lo, s7
	s_cbranch_execz .LBB42_86
.LBB42_136:
	v_add_f32_e64 v2, 0x46000000, |v20|
	s_and_not1_b32 s6, s6, exec_lo
	s_mov_b32 s8, 0
	s_delay_alu instid0(VALU_DEP_1) | instskip(NEXT) | instid1(VALU_DEP_1)
	v_and_b32_e32 v24, 0xff, v2
	v_cmp_ne_u32_e32 vcc_lo, 0, v24
	s_and_b32 s9, vcc_lo, exec_lo
	s_delay_alu instid0(SALU_CYCLE_1)
	s_or_b32 s6, s6, s9
	s_or_b32 exec_lo, exec_lo, s7
	v_mov_b32_e32 v2, s8
	s_and_saveexec_b32 s7, s6
	s_cbranch_execnz .LBB42_87
	s_branch .LBB42_88
.LBB42_137:
	v_bfe_u32 v17, v20, 20, 1
	s_mov_b32 s6, exec_lo
	s_delay_alu instid0(VALU_DEP_1) | instskip(NEXT) | instid1(VALU_DEP_1)
	v_add3_u32 v17, v20, v17, 0x487ffff
	v_bfe_u32 v24, v17, 20, 8
	s_or_saveexec_b32 s7, s7
                                        ; implicit-def: $sgpr8
	s_delay_alu instid0(SALU_CYCLE_1)
	s_xor_b32 exec_lo, exec_lo, s7
	s_cbranch_execz .LBB42_92
.LBB42_138:
	v_add_f32_e64 v17, 0x46000000, |v20|
	s_and_not1_b32 s6, s6, exec_lo
	s_mov_b32 s8, 0
	s_delay_alu instid0(VALU_DEP_1) | instskip(NEXT) | instid1(VALU_DEP_1)
	v_and_b32_e32 v24, 0xff, v17
	v_cmp_ne_u32_e32 vcc_lo, 0, v24
	s_and_b32 s9, vcc_lo, exec_lo
	s_delay_alu instid0(SALU_CYCLE_1)
	s_or_b32 s6, s6, s9
	s_or_b32 exec_lo, exec_lo, s7
	v_mov_b32_e32 v17, s8
	s_and_saveexec_b32 s7, s6
	s_cbranch_execnz .LBB42_93
	s_branch .LBB42_94
.LBB42_139:
	v_bfe_u32 v3, v20, 20, 1
	s_mov_b32 s6, exec_lo
	s_delay_alu instid0(VALU_DEP_1) | instskip(NEXT) | instid1(VALU_DEP_1)
	v_add3_u32 v3, v20, v3, 0x487ffff
	v_bfe_u32 v24, v3, 20, 8
	s_or_saveexec_b32 s7, s7
                                        ; implicit-def: $sgpr8
	s_delay_alu instid0(SALU_CYCLE_1)
	s_xor_b32 exec_lo, exec_lo, s7
	s_cbranch_execz .LBB42_98
.LBB42_140:
	v_add_f32_e64 v3, 0x46000000, |v20|
	s_and_not1_b32 s6, s6, exec_lo
	s_mov_b32 s8, 0
	s_delay_alu instid0(VALU_DEP_1) | instskip(NEXT) | instid1(VALU_DEP_1)
	v_and_b32_e32 v24, 0xff, v3
	v_cmp_ne_u32_e32 vcc_lo, 0, v24
	s_and_b32 s9, vcc_lo, exec_lo
	s_delay_alu instid0(SALU_CYCLE_1)
	s_or_b32 s6, s6, s9
	s_or_b32 exec_lo, exec_lo, s7
	v_mov_b32_e32 v3, s8
	s_and_saveexec_b32 s7, s6
	s_cbranch_execnz .LBB42_99
	s_branch .LBB42_100
.LBB42_141:
	v_bfe_u32 v10, v9, 20, 1
	s_mov_b32 s6, exec_lo
	s_delay_alu instid0(VALU_DEP_1) | instskip(NEXT) | instid1(VALU_DEP_1)
	v_add3_u32 v10, v9, v10, 0x487ffff
	v_bfe_u32 v10, v10, 20, 8
	s_or_saveexec_b32 s7, s7
                                        ; implicit-def: $sgpr8
	s_delay_alu instid0(SALU_CYCLE_1)
	s_xor_b32 exec_lo, exec_lo, s7
	s_cbranch_execz .LBB42_104
.LBB42_142:
	v_add_f32_e64 v10, 0x46000000, |v9|
	s_and_not1_b32 s6, s6, exec_lo
	s_mov_b32 s8, 0
	s_delay_alu instid0(VALU_DEP_1) | instskip(NEXT) | instid1(VALU_DEP_1)
	v_and_b32_e32 v10, 0xff, v10
	v_cmp_ne_u32_e32 vcc_lo, 0, v10
	s_and_b32 s9, vcc_lo, exec_lo
	s_delay_alu instid0(SALU_CYCLE_1)
	s_or_b32 s6, s6, s9
	s_or_b32 exec_lo, exec_lo, s7
	v_mov_b32_e32 v11, s8
	s_and_saveexec_b32 s7, s6
	s_cbranch_execnz .LBB42_105
	s_branch .LBB42_106
	.section	.rodata,"a",@progbits
	.p2align	6, 0x0
	.amdhsa_kernel _Z49per_token_group_quant_8bit_packed_register_kernelIN3c104HalfENS0_15Float8_e4m3fnuzELi128ELi16ELi1EEvPKT_PvPjiiiiilfff
		.amdhsa_group_segment_fixed_size 0
		.amdhsa_private_segment_fixed_size 0
		.amdhsa_kernarg_size 68
		.amdhsa_user_sgpr_count 14
		.amdhsa_user_sgpr_dispatch_ptr 0
		.amdhsa_user_sgpr_queue_ptr 0
		.amdhsa_user_sgpr_kernarg_segment_ptr 1
		.amdhsa_user_sgpr_dispatch_id 0
		.amdhsa_user_sgpr_private_segment_size 0
		.amdhsa_wavefront_size32 1
		.amdhsa_uses_dynamic_stack 0
		.amdhsa_enable_private_segment 0
		.amdhsa_system_sgpr_workgroup_id_x 1
		.amdhsa_system_sgpr_workgroup_id_y 1
		.amdhsa_system_sgpr_workgroup_id_z 0
		.amdhsa_system_sgpr_workgroup_info 0
		.amdhsa_system_vgpr_workitem_id 0
		.amdhsa_next_free_vgpr 27
		.amdhsa_next_free_sgpr 16
		.amdhsa_reserve_vcc 1
		.amdhsa_float_round_mode_32 0
		.amdhsa_float_round_mode_16_64 0
		.amdhsa_float_denorm_mode_32 3
		.amdhsa_float_denorm_mode_16_64 3
		.amdhsa_dx10_clamp 1
		.amdhsa_ieee_mode 1
		.amdhsa_fp16_overflow 0
		.amdhsa_workgroup_processor_mode 1
		.amdhsa_memory_ordered 1
		.amdhsa_forward_progress 0
		.amdhsa_shared_vgpr_count 0
		.amdhsa_exception_fp_ieee_invalid_op 0
		.amdhsa_exception_fp_denorm_src 0
		.amdhsa_exception_fp_ieee_div_zero 0
		.amdhsa_exception_fp_ieee_overflow 0
		.amdhsa_exception_fp_ieee_underflow 0
		.amdhsa_exception_fp_ieee_inexact 0
		.amdhsa_exception_int_div_zero 0
	.end_amdhsa_kernel
	.section	.text._Z49per_token_group_quant_8bit_packed_register_kernelIN3c104HalfENS0_15Float8_e4m3fnuzELi128ELi16ELi1EEvPKT_PvPjiiiiilfff,"axG",@progbits,_Z49per_token_group_quant_8bit_packed_register_kernelIN3c104HalfENS0_15Float8_e4m3fnuzELi128ELi16ELi1EEvPKT_PvPjiiiiilfff,comdat
.Lfunc_end42:
	.size	_Z49per_token_group_quant_8bit_packed_register_kernelIN3c104HalfENS0_15Float8_e4m3fnuzELi128ELi16ELi1EEvPKT_PvPjiiiiilfff, .Lfunc_end42-_Z49per_token_group_quant_8bit_packed_register_kernelIN3c104HalfENS0_15Float8_e4m3fnuzELi128ELi16ELi1EEvPKT_PvPjiiiiilfff
                                        ; -- End function
	.section	.AMDGPU.csdata,"",@progbits
; Kernel info:
; codeLenInByte = 5628
; NumSgprs: 18
; NumVgprs: 27
; ScratchSize: 0
; MemoryBound: 0
; FloatMode: 240
; IeeeMode: 1
; LDSByteSize: 0 bytes/workgroup (compile time only)
; SGPRBlocks: 2
; VGPRBlocks: 3
; NumSGPRsForWavesPerEU: 18
; NumVGPRsForWavesPerEU: 27
; Occupancy: 16
; WaveLimiterHint : 0
; COMPUTE_PGM_RSRC2:SCRATCH_EN: 0
; COMPUTE_PGM_RSRC2:USER_SGPR: 14
; COMPUTE_PGM_RSRC2:TRAP_HANDLER: 0
; COMPUTE_PGM_RSRC2:TGID_X_EN: 1
; COMPUTE_PGM_RSRC2:TGID_Y_EN: 1
; COMPUTE_PGM_RSRC2:TGID_Z_EN: 0
; COMPUTE_PGM_RSRC2:TIDIG_COMP_CNT: 0
	.section	.text._Z49per_token_group_quant_8bit_packed_register_kernelIN3c104HalfENS0_15Float8_e4m3fnuzELi128ELi8ELi2EEvPKT_PvPjiiiiilfff,"axG",@progbits,_Z49per_token_group_quant_8bit_packed_register_kernelIN3c104HalfENS0_15Float8_e4m3fnuzELi128ELi8ELi2EEvPKT_PvPjiiiiilfff,comdat
	.protected	_Z49per_token_group_quant_8bit_packed_register_kernelIN3c104HalfENS0_15Float8_e4m3fnuzELi128ELi8ELi2EEvPKT_PvPjiiiiilfff ; -- Begin function _Z49per_token_group_quant_8bit_packed_register_kernelIN3c104HalfENS0_15Float8_e4m3fnuzELi128ELi8ELi2EEvPKT_PvPjiiiiilfff
	.globl	_Z49per_token_group_quant_8bit_packed_register_kernelIN3c104HalfENS0_15Float8_e4m3fnuzELi128ELi8ELi2EEvPKT_PvPjiiiiilfff
	.p2align	8
	.type	_Z49per_token_group_quant_8bit_packed_register_kernelIN3c104HalfENS0_15Float8_e4m3fnuzELi128ELi8ELi2EEvPKT_PvPjiiiiilfff,@function
_Z49per_token_group_quant_8bit_packed_register_kernelIN3c104HalfENS0_15Float8_e4m3fnuzELi128ELi8ELi2EEvPKT_PvPjiiiiilfff: ; @_Z49per_token_group_quant_8bit_packed_register_kernelIN3c104HalfENS0_15Float8_e4m3fnuzELi128ELi8ELi2EEvPKT_PvPjiiiiilfff
; %bb.0:
	s_load_b128 s[4:7], s[0:1], 0x1c
	v_lshrrev_b32_e32 v1, 6, v0
	s_mov_b32 s2, exec_lo
	s_delay_alu instid0(VALU_DEP_1) | instskip(SKIP_1) | instid1(VALU_DEP_1)
	v_lshl_add_u32 v12, s15, 1, v1
	s_waitcnt lgkmcnt(0)
	v_cmpx_gt_i32_e64 s7, v12
	s_cbranch_execz .LBB43_110
; %bb.1:
	s_load_b128 s[8:11], s[0:1], 0x38
	v_lshrrev_b32_e32 v1, 3, v0
	s_lshl_b32 s2, s14, 3
	v_and_b32_e32 v15, 7, v0
	v_ashrrev_i32_e32 v16, 31, v12
                                        ; implicit-def: $vgpr14
                                        ; implicit-def: $vgpr3
                                        ; implicit-def: $vgpr17
                                        ; implicit-def: $vgpr18
                                        ; implicit-def: $vgpr20
                                        ; implicit-def: $vgpr22
                                        ; implicit-def: $vgpr7
                                        ; implicit-def: $vgpr23
                                        ; implicit-def: $vgpr21
                                        ; implicit-def: $vgpr19
	s_delay_alu instid0(VALU_DEP_3) | instskip(SKIP_1) | instid1(VALU_DEP_2)
	v_and_or_b32 v10, v1, 7, s2
	v_cmp_gt_i32_e64 s2, s5, v12
	v_cmp_gt_i32_e64 s3, s4, v10
	v_lshlrev_b32_e32 v13, 7, v10
	s_waitcnt lgkmcnt(0)
	s_delay_alu instid0(VALU_DEP_2)
	s_and_b32 s11, s2, s3
	v_mov_b32_e32 v8, s8
	s_and_saveexec_b32 s5, s11
	s_cbranch_execz .LBB43_3
; %bb.2:
	s_load_b64 s[12:13], s[0:1], 0x0
	v_lshlrev_b32_e32 v2, 8, v12
	v_alignbit_b32 v0, v16, v12, 24
	s_ashr_i32 s14, s4, 31
	v_ashrrev_i32_e32 v14, 31, v13
	s_delay_alu instid0(VALU_DEP_3) | instskip(NEXT) | instid1(VALU_DEP_3)
	v_mul_lo_u32 v4, v2, s14
	v_mul_lo_u32 v5, v0, s4
	s_waitcnt lgkmcnt(0)
	v_mad_u64_u32 v[0:1], null, v2, s4, s[12:13]
	v_lshlrev_b64 v[2:3], 1, v[13:14]
	s_delay_alu instid0(VALU_DEP_2) | instskip(SKIP_1) | instid1(VALU_DEP_3)
	v_add3_u32 v1, v5, v1, v4
	v_lshlrev_b32_e32 v4, 5, v15
	v_add_co_u32 v0, vcc_lo, v0, v2
	s_delay_alu instid0(VALU_DEP_3) | instskip(NEXT) | instid1(VALU_DEP_2)
	v_add_co_ci_u32_e32 v1, vcc_lo, v1, v3, vcc_lo
	v_add_co_u32 v0, vcc_lo, v0, v4
	s_delay_alu instid0(VALU_DEP_2)
	v_add_co_ci_u32_e32 v1, vcc_lo, 0, v1, vcc_lo
	s_clause 0x1
	global_load_b128 v[4:7], v[0:1], off
	global_load_b128 v[0:3], v[0:1], off offset:16
	s_waitcnt vmcnt(1)
	v_lshrrev_b32_e32 v19, 16, v4
	v_lshrrev_b32_e32 v21, 16, v5
	v_cvt_f32_f16_e64 v8, |v4|
	v_lshrrev_b32_e32 v23, 16, v6
	v_cvt_f32_f16_e64 v11, |v5|
	v_cvt_f32_f16_e64 v9, |v19|
	;; [unrolled: 1-line block ×3, first 2 shown]
	v_lshrrev_b32_e32 v22, 16, v7
	v_cvt_f32_f16_e64 v17, |v23|
	s_waitcnt vmcnt(0)
	v_lshrrev_b32_e32 v20, 16, v0
	v_max3_f32 v8, s8, v8, v9
	v_cvt_f32_f16_e64 v9, |v6|
	v_lshrrev_b32_e32 v18, 16, v1
	s_delay_alu instid0(VALU_DEP_4) | instskip(NEXT) | instid1(VALU_DEP_4)
	v_cvt_f32_f16_e64 v24, |v20|
	v_max3_f32 v8, v8, v11, v14
	v_cvt_f32_f16_e64 v11, |v7|
	v_cvt_f32_f16_e64 v14, |v22|
	s_delay_alu instid0(VALU_DEP_3) | instskip(SKIP_2) | instid1(VALU_DEP_3)
	v_max3_f32 v8, v8, v9, v17
	v_cvt_f32_f16_e64 v9, |v0|
	v_lshrrev_b32_e32 v17, 16, v2
	v_max3_f32 v8, v8, v11, v14
	v_cvt_f32_f16_e64 v11, |v1|
	v_cvt_f32_f16_e64 v14, |v18|
	s_delay_alu instid0(VALU_DEP_3) | instskip(SKIP_2) | instid1(VALU_DEP_3)
	v_max3_f32 v8, v8, v9, v24
	v_cvt_f32_f16_e64 v9, |v2|
	v_cvt_f32_f16_e64 v24, |v17|
	v_max3_f32 v8, v8, v11, v14
	v_lshrrev_b32_e32 v14, 16, v3
	v_cvt_f32_f16_e64 v11, |v3|
	s_delay_alu instid0(VALU_DEP_3) | instskip(NEXT) | instid1(VALU_DEP_3)
	v_max3_f32 v8, v8, v9, v24
	v_cvt_f32_f16_e64 v9, |v14|
	s_delay_alu instid0(VALU_DEP_1)
	v_max3_f32 v8, v8, v11, v9
.LBB43_3:
	s_or_b32 exec_lo, exec_lo, s5
	v_mbcnt_lo_u32_b32 v9, -1, 0
	s_xor_b32 s8, s11, -1
	s_mov_b32 s5, 0
	s_mov_b32 s12, exec_lo
	s_delay_alu instid0(VALU_DEP_1) | instskip(SKIP_2) | instid1(VALU_DEP_2)
	v_xor_b32_e32 v24, 4, v9
	v_and_b32_e32 v11, 24, v9
	v_xor_b32_e32 v25, 2, v9
	v_add_nc_u32_e32 v11, 8, v11
	s_delay_alu instid0(VALU_DEP_1) | instskip(SKIP_1) | instid1(VALU_DEP_1)
	v_cmp_lt_i32_e32 vcc_lo, v24, v11
	v_cndmask_b32_e32 v24, v9, v24, vcc_lo
	v_lshlrev_b32_e32 v24, 2, v24
	ds_bpermute_b32 v24, v24, v8
	v_max_f32_e32 v8, v8, v8
	v_cmp_lt_i32_e32 vcc_lo, v25, v11
	v_cndmask_b32_e32 v25, v9, v25, vcc_lo
	s_waitcnt lgkmcnt(0)
	s_delay_alu instid0(VALU_DEP_1) | instskip(NEXT) | instid1(VALU_DEP_1)
	v_dual_max_f32 v24, v24, v24 :: v_dual_lshlrev_b32 v25, 2, v25
	v_max_f32_e32 v8, v8, v24
	ds_bpermute_b32 v24, v25, v8
	v_xor_b32_e32 v25, 1, v9
	s_delay_alu instid0(VALU_DEP_1) | instskip(SKIP_3) | instid1(VALU_DEP_1)
	v_cmp_lt_i32_e32 vcc_lo, v25, v11
	v_cndmask_b32_e32 v9, v9, v25, vcc_lo
	s_waitcnt lgkmcnt(0)
	v_max_f32_e32 v11, v24, v24
	v_dual_max_f32 v8, v8, v11 :: v_dual_lshlrev_b32 v9, 2, v9
	ds_bpermute_b32 v9, v9, v8
	s_waitcnt lgkmcnt(0)
	v_max_f32_e32 v9, v9, v9
	s_delay_alu instid0(VALU_DEP_1) | instskip(NEXT) | instid1(VALU_DEP_1)
	v_max_f32_e32 v8, v8, v9
	v_div_scale_f32 v9, null, s10, s10, v8
	v_div_scale_f32 v25, vcc_lo, v8, s10, v8
	s_delay_alu instid0(VALU_DEP_2) | instskip(SKIP_2) | instid1(VALU_DEP_1)
	v_rcp_f32_e32 v11, v9
	s_waitcnt_depctr 0xfff
	v_fma_f32 v24, -v9, v11, 1.0
	v_fmac_f32_e32 v11, v24, v11
	s_delay_alu instid0(VALU_DEP_1) | instskip(NEXT) | instid1(VALU_DEP_1)
	v_mul_f32_e32 v24, v25, v11
	v_fma_f32 v26, -v9, v24, v25
	s_delay_alu instid0(VALU_DEP_1) | instskip(NEXT) | instid1(VALU_DEP_1)
	v_fmac_f32_e32 v24, v26, v11
	v_fma_f32 v9, -v9, v24, v25
	s_delay_alu instid0(VALU_DEP_1) | instskip(NEXT) | instid1(VALU_DEP_1)
	v_div_fmas_f32 v9, v9, v11, v24
	v_div_fixup_f32 v8, v9, s10, v8
	s_delay_alu instid0(VALU_DEP_1) | instskip(NEXT) | instid1(VALU_DEP_1)
	v_max_f32_e32 v8, 0x2edbe6ff, v8
	v_and_b32_e32 v9, 0x7fffff, v8
	v_lshrrev_b32_e32 v8, 23, v8
	s_delay_alu instid0(VALU_DEP_2) | instskip(NEXT) | instid1(VALU_DEP_2)
	v_cmp_ne_u32_e32 vcc_lo, 0, v9
	v_add_co_ci_u32_e32 v24, vcc_lo, 0, v8, vcc_lo
	v_cmpx_eq_u32_e32 0, v15
	s_cbranch_execz .LBB43_8
; %bb.4:
	v_ashrrev_i32_e32 v8, 31, v10
	s_delay_alu instid0(VALU_DEP_1) | instskip(NEXT) | instid1(VALU_DEP_1)
	v_lshrrev_b32_e32 v8, 30, v8
	v_add_nc_u32_e32 v8, v10, v8
	s_delay_alu instid0(VALU_DEP_1) | instskip(NEXT) | instid1(VALU_DEP_1)
	v_ashrrev_i32_e32 v11, 2, v8
	v_mad_u64_u32 v[8:9], null, v11, s7, v[12:13]
	v_mov_b32_e32 v9, v24
	s_and_saveexec_b32 s7, s8
	s_cbranch_execz .LBB43_6
; %bb.5:
	s_load_b64 s[14:15], s[0:1], 0x30
	s_delay_alu instid0(VALU_DEP_2) | instskip(SKIP_2) | instid1(VALU_DEP_1)
	v_ashrrev_i32_e32 v9, 31, v8
	s_and_not1_b32 s11, s11, exec_lo
	s_waitcnt lgkmcnt(0)
	v_cmp_gt_i64_e32 vcc_lo, s[14:15], v[8:9]
	v_mov_b32_e32 v9, 0
	s_and_b32 s13, vcc_lo, exec_lo
	s_delay_alu instid0(SALU_CYCLE_1)
	s_or_b32 s11, s11, s13
.LBB43_6:
	s_or_b32 exec_lo, exec_lo, s7
	s_delay_alu instid0(SALU_CYCLE_1)
	s_and_b32 exec_lo, exec_lo, s11
	s_cbranch_execz .LBB43_8
; %bb.7:
	s_load_b64 s[14:15], s[0:1], 0x10
	v_lshlrev_b32_e32 v11, 2, v11
	s_delay_alu instid0(VALU_DEP_1) | instskip(NEXT) | instid1(VALU_DEP_1)
	v_sub_nc_u32_e32 v10, v10, v11
	v_lshl_add_u32 v8, v8, 2, v10
	s_delay_alu instid0(VALU_DEP_1) | instskip(SKIP_2) | instid1(VALU_DEP_2)
	v_ashrrev_i32_e32 v11, 31, v8
	s_waitcnt lgkmcnt(0)
	v_add_co_u32 v10, vcc_lo, s14, v8
	v_add_co_ci_u32_e32 v11, vcc_lo, s15, v11, vcc_lo
	global_store_b8 v[10:11], v9, off
.LBB43_8:
	s_or_b32 exec_lo, exec_lo, s12
                                        ; implicit-def: $sgpr7
	s_and_saveexec_b32 s11, s8
	s_delay_alu instid0(SALU_CYCLE_1)
	s_xor_b32 s8, exec_lo, s11
; %bb.9:
	v_cmp_gt_i32_e32 vcc_lo, s6, v12
	s_xor_b32 s2, s2, -1
	s_mov_b32 s7, 0
                                        ; implicit-def: $vgpr14
                                        ; implicit-def: $vgpr3
                                        ; implicit-def: $vgpr17
                                        ; implicit-def: $vgpr18
                                        ; implicit-def: $vgpr20
                                        ; implicit-def: $vgpr22
                                        ; implicit-def: $vgpr7
                                        ; implicit-def: $vgpr23
                                        ; implicit-def: $vgpr21
                                        ; implicit-def: $vgpr19
                                        ; implicit-def: $vgpr24
	s_and_b32 s2, vcc_lo, s2
	s_delay_alu instid0(SALU_CYCLE_1) | instskip(NEXT) | instid1(SALU_CYCLE_1)
	s_and_b32 s2, s3, s2
	s_and_b32 s5, s2, exec_lo
; %bb.10:
	s_or_saveexec_b32 s2, s8
	v_dual_mov_b32 v11, s7 :: v_dual_mov_b32 v10, s7
	v_dual_mov_b32 v9, s7 :: v_dual_mov_b32 v8, s7
	s_xor_b32 exec_lo, exec_lo, s2
	s_cbranch_execz .LBB43_108
; %bb.11:
	v_lshlrev_b32_e32 v8, 23, v24
	v_cvt_f32_f16_e32 v4, v4
	s_mov_b32 s3, exec_lo
	s_delay_alu instid0(VALU_DEP_2) | instskip(NEXT) | instid1(VALU_DEP_1)
	v_and_b32_e32 v8, 0x7f800000, v8
	v_div_scale_f32 v9, null, v8, v8, 1.0
	v_div_scale_f32 v24, vcc_lo, 1.0, v8, 1.0
	s_delay_alu instid0(VALU_DEP_2) | instskip(SKIP_2) | instid1(VALU_DEP_1)
	v_rcp_f32_e32 v10, v9
	s_waitcnt_depctr 0xfff
	v_fma_f32 v11, -v9, v10, 1.0
	v_fmac_f32_e32 v10, v11, v10
	s_delay_alu instid0(VALU_DEP_1) | instskip(NEXT) | instid1(VALU_DEP_1)
	v_mul_f32_e32 v11, v24, v10
	v_fma_f32 v25, -v9, v11, v24
	s_delay_alu instid0(VALU_DEP_1) | instskip(NEXT) | instid1(VALU_DEP_1)
	v_fmac_f32_e32 v11, v25, v10
	v_fma_f32 v9, -v9, v11, v24
	s_delay_alu instid0(VALU_DEP_1) | instskip(SKIP_2) | instid1(VALU_DEP_3)
	v_div_fmas_f32 v9, v9, v10, v11
	v_max_f32_e64 v10, s9, s9
	v_max_f32_e64 v11, s10, s10
	v_div_fixup_f32 v9, v9, v8, 1.0
	v_mov_b32_e32 v8, 0x80
	s_delay_alu instid0(VALU_DEP_2) | instskip(NEXT) | instid1(VALU_DEP_1)
	v_mul_f32_e32 v4, v9, v4
	v_maxmin_f32 v24, v4, v10, v11
	v_mov_b32_e32 v4, 0x80
	s_delay_alu instid0(VALU_DEP_2) | instskip(NEXT) | instid1(VALU_DEP_1)
	v_and_b32_e32 v25, 0x7fffffff, v24
	v_cmpx_gt_u32_e32 0x43800000, v25
	s_cbranch_execz .LBB43_17
; %bb.12:
	v_cmp_lt_u32_e32 vcc_lo, 0x3bffffff, v25
	s_mov_b32 s6, 0
                                        ; implicit-def: $vgpr25
	s_and_saveexec_b32 s7, vcc_lo
	s_delay_alu instid0(SALU_CYCLE_1)
	s_xor_b32 s7, exec_lo, s7
	s_cbranch_execnz .LBB43_111
; %bb.13:
	s_or_saveexec_b32 s7, s7
                                        ; implicit-def: $sgpr8
	s_delay_alu instid0(SALU_CYCLE_1)
	s_xor_b32 exec_lo, exec_lo, s7
	s_cbranch_execnz .LBB43_112
.LBB43_14:
	s_or_b32 exec_lo, exec_lo, s7
	v_mov_b32_e32 v4, s8
	s_and_saveexec_b32 s7, s6
.LBB43_15:
	v_lshrrev_b32_e32 v4, 24, v24
	s_delay_alu instid0(VALU_DEP_1)
	v_and_or_b32 v4, 0x80, v4, v25
.LBB43_16:
	s_or_b32 exec_lo, exec_lo, s7
.LBB43_17:
	s_delay_alu instid0(SALU_CYCLE_1) | instskip(SKIP_2) | instid1(VALU_DEP_1)
	s_or_b32 exec_lo, exec_lo, s3
	v_cvt_f32_f16_e32 v19, v19
	s_mov_b32 s3, exec_lo
	v_mul_f32_e32 v19, v9, v19
	s_delay_alu instid0(VALU_DEP_1) | instskip(NEXT) | instid1(VALU_DEP_1)
	v_maxmin_f32 v19, v19, v10, v11
	v_and_b32_e32 v24, 0x7fffffff, v19
	s_delay_alu instid0(VALU_DEP_1)
	v_cmpx_gt_u32_e32 0x43800000, v24
	s_cbranch_execz .LBB43_23
; %bb.18:
	v_cmp_lt_u32_e32 vcc_lo, 0x3bffffff, v24
	s_mov_b32 s6, 0
                                        ; implicit-def: $vgpr24
	s_and_saveexec_b32 s7, vcc_lo
	s_delay_alu instid0(SALU_CYCLE_1)
	s_xor_b32 s7, exec_lo, s7
	s_cbranch_execnz .LBB43_113
; %bb.19:
	s_or_saveexec_b32 s7, s7
                                        ; implicit-def: $sgpr8
	s_delay_alu instid0(SALU_CYCLE_1)
	s_xor_b32 exec_lo, exec_lo, s7
	s_cbranch_execnz .LBB43_114
.LBB43_20:
	s_or_b32 exec_lo, exec_lo, s7
	v_mov_b32_e32 v8, s8
	s_and_saveexec_b32 s7, s6
.LBB43_21:
	v_lshrrev_b32_e32 v8, 24, v19
	s_delay_alu instid0(VALU_DEP_1)
	v_and_or_b32 v8, 0x80, v8, v24
.LBB43_22:
	s_or_b32 exec_lo, exec_lo, s7
.LBB43_23:
	s_delay_alu instid0(SALU_CYCLE_1) | instskip(SKIP_3) | instid1(VALU_DEP_2)
	s_or_b32 exec_lo, exec_lo, s3
	v_cvt_f32_f16_e32 v5, v5
	v_mov_b32_e32 v19, 0x80
	s_mov_b32 s3, exec_lo
	v_mul_f32_e32 v5, v9, v5
	s_delay_alu instid0(VALU_DEP_1) | instskip(SKIP_1) | instid1(VALU_DEP_2)
	v_maxmin_f32 v24, v5, v10, v11
	v_mov_b32_e32 v5, 0x80
	v_and_b32_e32 v25, 0x7fffffff, v24
	s_delay_alu instid0(VALU_DEP_1)
	v_cmpx_gt_u32_e32 0x43800000, v25
	s_cbranch_execz .LBB43_29
; %bb.24:
	v_cmp_lt_u32_e32 vcc_lo, 0x3bffffff, v25
	s_mov_b32 s6, 0
                                        ; implicit-def: $vgpr25
	s_and_saveexec_b32 s7, vcc_lo
	s_delay_alu instid0(SALU_CYCLE_1)
	s_xor_b32 s7, exec_lo, s7
	s_cbranch_execnz .LBB43_115
; %bb.25:
	s_or_saveexec_b32 s7, s7
                                        ; implicit-def: $sgpr8
	s_delay_alu instid0(SALU_CYCLE_1)
	s_xor_b32 exec_lo, exec_lo, s7
	s_cbranch_execnz .LBB43_116
.LBB43_26:
	s_or_b32 exec_lo, exec_lo, s7
	v_mov_b32_e32 v19, s8
	s_and_saveexec_b32 s7, s6
.LBB43_27:
	v_lshrrev_b32_e32 v19, 24, v24
	s_delay_alu instid0(VALU_DEP_1)
	v_and_or_b32 v19, 0x80, v19, v25
.LBB43_28:
	s_or_b32 exec_lo, exec_lo, s7
.LBB43_29:
	s_delay_alu instid0(SALU_CYCLE_1) | instskip(SKIP_2) | instid1(VALU_DEP_1)
	s_or_b32 exec_lo, exec_lo, s3
	v_cvt_f32_f16_e32 v21, v21
	s_mov_b32 s3, exec_lo
	v_mul_f32_e32 v21, v9, v21
	s_delay_alu instid0(VALU_DEP_1) | instskip(NEXT) | instid1(VALU_DEP_1)
	v_maxmin_f32 v21, v21, v10, v11
	v_and_b32_e32 v24, 0x7fffffff, v21
	s_delay_alu instid0(VALU_DEP_1)
	v_cmpx_gt_u32_e32 0x43800000, v24
	s_cbranch_execz .LBB43_35
; %bb.30:
	v_cmp_lt_u32_e32 vcc_lo, 0x3bffffff, v24
	s_mov_b32 s6, 0
                                        ; implicit-def: $vgpr24
	s_and_saveexec_b32 s7, vcc_lo
	s_delay_alu instid0(SALU_CYCLE_1)
	s_xor_b32 s7, exec_lo, s7
	s_cbranch_execnz .LBB43_117
; %bb.31:
	s_or_saveexec_b32 s7, s7
                                        ; implicit-def: $sgpr8
	s_delay_alu instid0(SALU_CYCLE_1)
	s_xor_b32 exec_lo, exec_lo, s7
	s_cbranch_execnz .LBB43_118
.LBB43_32:
	s_or_b32 exec_lo, exec_lo, s7
	v_mov_b32_e32 v5, s8
	s_and_saveexec_b32 s7, s6
.LBB43_33:
	v_lshrrev_b32_e32 v5, 24, v21
	s_delay_alu instid0(VALU_DEP_1)
	v_and_or_b32 v5, 0x80, v5, v24
.LBB43_34:
	s_or_b32 exec_lo, exec_lo, s7
.LBB43_35:
	s_delay_alu instid0(SALU_CYCLE_1) | instskip(SKIP_3) | instid1(VALU_DEP_2)
	s_or_b32 exec_lo, exec_lo, s3
	v_cvt_f32_f16_e32 v6, v6
	v_mov_b32_e32 v21, 0x80
	s_mov_b32 s3, exec_lo
	v_mul_f32_e32 v6, v9, v6
	s_delay_alu instid0(VALU_DEP_1) | instskip(SKIP_1) | instid1(VALU_DEP_2)
	v_maxmin_f32 v24, v6, v10, v11
	v_mov_b32_e32 v6, 0x80
	v_and_b32_e32 v25, 0x7fffffff, v24
	s_delay_alu instid0(VALU_DEP_1)
	v_cmpx_gt_u32_e32 0x43800000, v25
	s_cbranch_execz .LBB43_41
; %bb.36:
	v_cmp_lt_u32_e32 vcc_lo, 0x3bffffff, v25
	s_mov_b32 s6, 0
                                        ; implicit-def: $vgpr25
	s_and_saveexec_b32 s7, vcc_lo
	s_delay_alu instid0(SALU_CYCLE_1)
	s_xor_b32 s7, exec_lo, s7
	s_cbranch_execnz .LBB43_119
; %bb.37:
	s_or_saveexec_b32 s7, s7
                                        ; implicit-def: $sgpr8
	s_delay_alu instid0(SALU_CYCLE_1)
	s_xor_b32 exec_lo, exec_lo, s7
	s_cbranch_execnz .LBB43_120
.LBB43_38:
	s_or_b32 exec_lo, exec_lo, s7
	v_mov_b32_e32 v6, s8
	s_and_saveexec_b32 s7, s6
.LBB43_39:
	v_lshrrev_b32_e32 v6, 24, v24
	s_delay_alu instid0(VALU_DEP_1)
	v_and_or_b32 v6, 0x80, v6, v25
.LBB43_40:
	s_or_b32 exec_lo, exec_lo, s7
.LBB43_41:
	s_delay_alu instid0(SALU_CYCLE_1) | instskip(SKIP_2) | instid1(VALU_DEP_1)
	s_or_b32 exec_lo, exec_lo, s3
	v_cvt_f32_f16_e32 v23, v23
	s_mov_b32 s3, exec_lo
	v_mul_f32_e32 v23, v9, v23
	s_delay_alu instid0(VALU_DEP_1) | instskip(NEXT) | instid1(VALU_DEP_1)
	v_maxmin_f32 v23, v23, v10, v11
	v_and_b32_e32 v24, 0x7fffffff, v23
	s_delay_alu instid0(VALU_DEP_1)
	v_cmpx_gt_u32_e32 0x43800000, v24
	s_cbranch_execz .LBB43_47
; %bb.42:
	v_cmp_lt_u32_e32 vcc_lo, 0x3bffffff, v24
	s_mov_b32 s6, 0
                                        ; implicit-def: $vgpr24
	s_and_saveexec_b32 s7, vcc_lo
	s_delay_alu instid0(SALU_CYCLE_1)
	s_xor_b32 s7, exec_lo, s7
	s_cbranch_execnz .LBB43_121
; %bb.43:
	s_or_saveexec_b32 s7, s7
                                        ; implicit-def: $sgpr8
	s_delay_alu instid0(SALU_CYCLE_1)
	s_xor_b32 exec_lo, exec_lo, s7
	s_cbranch_execnz .LBB43_122
.LBB43_44:
	s_or_b32 exec_lo, exec_lo, s7
	v_mov_b32_e32 v21, s8
	s_and_saveexec_b32 s7, s6
.LBB43_45:
	v_lshrrev_b32_e32 v21, 24, v23
	s_delay_alu instid0(VALU_DEP_1)
	v_and_or_b32 v21, 0x80, v21, v24
.LBB43_46:
	s_or_b32 exec_lo, exec_lo, s7
.LBB43_47:
	s_delay_alu instid0(SALU_CYCLE_1) | instskip(SKIP_3) | instid1(VALU_DEP_2)
	s_or_b32 exec_lo, exec_lo, s3
	v_cvt_f32_f16_e32 v7, v7
	v_mov_b32_e32 v23, 0x80
	s_mov_b32 s3, exec_lo
	v_mul_f32_e32 v7, v9, v7
	s_delay_alu instid0(VALU_DEP_1) | instskip(SKIP_1) | instid1(VALU_DEP_2)
	v_maxmin_f32 v24, v7, v10, v11
	v_mov_b32_e32 v7, 0x80
	v_and_b32_e32 v25, 0x7fffffff, v24
	s_delay_alu instid0(VALU_DEP_1)
	v_cmpx_gt_u32_e32 0x43800000, v25
	s_cbranch_execz .LBB43_53
; %bb.48:
	v_cmp_lt_u32_e32 vcc_lo, 0x3bffffff, v25
	s_mov_b32 s6, 0
                                        ; implicit-def: $vgpr25
	s_and_saveexec_b32 s7, vcc_lo
	s_delay_alu instid0(SALU_CYCLE_1)
	s_xor_b32 s7, exec_lo, s7
	s_cbranch_execnz .LBB43_123
; %bb.49:
	s_or_saveexec_b32 s7, s7
                                        ; implicit-def: $sgpr8
	s_delay_alu instid0(SALU_CYCLE_1)
	s_xor_b32 exec_lo, exec_lo, s7
	s_cbranch_execnz .LBB43_124
.LBB43_50:
	s_or_b32 exec_lo, exec_lo, s7
	v_mov_b32_e32 v23, s8
	s_and_saveexec_b32 s7, s6
.LBB43_51:
	v_lshrrev_b32_e32 v23, 24, v24
	s_delay_alu instid0(VALU_DEP_1)
	v_and_or_b32 v23, 0x80, v23, v25
.LBB43_52:
	s_or_b32 exec_lo, exec_lo, s7
.LBB43_53:
	s_delay_alu instid0(SALU_CYCLE_1) | instskip(SKIP_2) | instid1(VALU_DEP_1)
	s_or_b32 exec_lo, exec_lo, s3
	v_cvt_f32_f16_e32 v22, v22
	s_mov_b32 s3, exec_lo
	v_mul_f32_e32 v22, v9, v22
	s_delay_alu instid0(VALU_DEP_1) | instskip(NEXT) | instid1(VALU_DEP_1)
	v_maxmin_f32 v22, v22, v10, v11
	v_and_b32_e32 v24, 0x7fffffff, v22
	s_delay_alu instid0(VALU_DEP_1)
	v_cmpx_gt_u32_e32 0x43800000, v24
	s_cbranch_execz .LBB43_59
; %bb.54:
	v_cmp_lt_u32_e32 vcc_lo, 0x3bffffff, v24
	s_mov_b32 s6, 0
                                        ; implicit-def: $vgpr24
	s_and_saveexec_b32 s7, vcc_lo
	s_delay_alu instid0(SALU_CYCLE_1)
	s_xor_b32 s7, exec_lo, s7
	s_cbranch_execnz .LBB43_125
; %bb.55:
	s_or_saveexec_b32 s7, s7
                                        ; implicit-def: $sgpr8
	s_delay_alu instid0(SALU_CYCLE_1)
	s_xor_b32 exec_lo, exec_lo, s7
	s_cbranch_execnz .LBB43_126
.LBB43_56:
	s_or_b32 exec_lo, exec_lo, s7
	v_mov_b32_e32 v7, s8
	s_and_saveexec_b32 s7, s6
.LBB43_57:
	v_lshrrev_b32_e32 v7, 24, v22
	s_delay_alu instid0(VALU_DEP_1)
	v_and_or_b32 v7, 0x80, v7, v24
.LBB43_58:
	s_or_b32 exec_lo, exec_lo, s7
.LBB43_59:
	s_delay_alu instid0(SALU_CYCLE_1) | instskip(SKIP_3) | instid1(VALU_DEP_2)
	s_or_b32 exec_lo, exec_lo, s3
	v_cvt_f32_f16_e32 v0, v0
	v_mov_b32_e32 v22, 0x80
	s_mov_b32 s3, exec_lo
	v_mul_f32_e32 v0, v9, v0
	s_delay_alu instid0(VALU_DEP_1) | instskip(SKIP_1) | instid1(VALU_DEP_2)
	v_maxmin_f32 v24, v0, v10, v11
	v_mov_b32_e32 v0, 0x80
	v_and_b32_e32 v25, 0x7fffffff, v24
	s_delay_alu instid0(VALU_DEP_1)
	v_cmpx_gt_u32_e32 0x43800000, v25
	s_cbranch_execz .LBB43_65
; %bb.60:
	v_cmp_lt_u32_e32 vcc_lo, 0x3bffffff, v25
	s_mov_b32 s6, 0
                                        ; implicit-def: $vgpr25
	s_and_saveexec_b32 s7, vcc_lo
	s_delay_alu instid0(SALU_CYCLE_1)
	s_xor_b32 s7, exec_lo, s7
	s_cbranch_execnz .LBB43_127
; %bb.61:
	s_or_saveexec_b32 s7, s7
                                        ; implicit-def: $sgpr8
	s_delay_alu instid0(SALU_CYCLE_1)
	s_xor_b32 exec_lo, exec_lo, s7
	s_cbranch_execnz .LBB43_128
.LBB43_62:
	s_or_b32 exec_lo, exec_lo, s7
	v_mov_b32_e32 v0, s8
	s_and_saveexec_b32 s7, s6
.LBB43_63:
	v_lshrrev_b32_e32 v0, 24, v24
	s_delay_alu instid0(VALU_DEP_1)
	v_and_or_b32 v0, 0x80, v0, v25
.LBB43_64:
	s_or_b32 exec_lo, exec_lo, s7
.LBB43_65:
	s_delay_alu instid0(SALU_CYCLE_1) | instskip(SKIP_2) | instid1(VALU_DEP_1)
	s_or_b32 exec_lo, exec_lo, s3
	v_cvt_f32_f16_e32 v20, v20
	s_mov_b32 s3, exec_lo
	v_mul_f32_e32 v20, v9, v20
	s_delay_alu instid0(VALU_DEP_1) | instskip(NEXT) | instid1(VALU_DEP_1)
	v_maxmin_f32 v20, v20, v10, v11
	v_and_b32_e32 v24, 0x7fffffff, v20
	s_delay_alu instid0(VALU_DEP_1)
	v_cmpx_gt_u32_e32 0x43800000, v24
	s_cbranch_execz .LBB43_71
; %bb.66:
	v_cmp_lt_u32_e32 vcc_lo, 0x3bffffff, v24
	s_mov_b32 s6, 0
                                        ; implicit-def: $vgpr24
	s_and_saveexec_b32 s7, vcc_lo
	s_delay_alu instid0(SALU_CYCLE_1)
	s_xor_b32 s7, exec_lo, s7
	s_cbranch_execnz .LBB43_129
; %bb.67:
	s_or_saveexec_b32 s7, s7
                                        ; implicit-def: $sgpr8
	s_delay_alu instid0(SALU_CYCLE_1)
	s_xor_b32 exec_lo, exec_lo, s7
	s_cbranch_execnz .LBB43_130
.LBB43_68:
	s_or_b32 exec_lo, exec_lo, s7
	v_mov_b32_e32 v22, s8
	s_and_saveexec_b32 s7, s6
.LBB43_69:
	v_lshrrev_b32_e32 v20, 24, v20
	s_delay_alu instid0(VALU_DEP_1)
	v_and_or_b32 v22, 0x80, v20, v24
.LBB43_70:
	s_or_b32 exec_lo, exec_lo, s7
.LBB43_71:
	s_delay_alu instid0(SALU_CYCLE_1) | instskip(SKIP_2) | instid1(VALU_DEP_1)
	s_or_b32 exec_lo, exec_lo, s3
	v_cvt_f32_f16_e32 v1, v1
	s_mov_b32 s3, exec_lo
	v_mul_f32_e32 v1, v9, v1
	s_delay_alu instid0(VALU_DEP_1) | instskip(SKIP_1) | instid1(VALU_DEP_2)
	v_maxmin_f32 v20, v1, v10, v11
	v_mov_b32_e32 v1, 0x800000
	v_and_b32_e32 v24, 0x7fffffff, v20
	s_delay_alu instid0(VALU_DEP_1)
	v_cmpx_gt_u32_e32 0x43800000, v24
	s_cbranch_execz .LBB43_77
; %bb.72:
	v_cmp_lt_u32_e32 vcc_lo, 0x3bffffff, v24
	s_mov_b32 s6, 0
                                        ; implicit-def: $vgpr24
	s_and_saveexec_b32 s7, vcc_lo
	s_delay_alu instid0(SALU_CYCLE_1)
	s_xor_b32 s7, exec_lo, s7
	s_cbranch_execnz .LBB43_131
; %bb.73:
	s_or_saveexec_b32 s7, s7
                                        ; implicit-def: $sgpr8
	s_delay_alu instid0(SALU_CYCLE_1)
	s_xor_b32 exec_lo, exec_lo, s7
	s_cbranch_execnz .LBB43_132
.LBB43_74:
	s_or_b32 exec_lo, exec_lo, s7
	v_mov_b32_e32 v1, s8
	s_and_saveexec_b32 s7, s6
.LBB43_75:
	v_lshrrev_b32_e32 v1, 24, v20
	s_delay_alu instid0(VALU_DEP_1) | instskip(NEXT) | instid1(VALU_DEP_1)
	v_and_or_b32 v1, 0x80, v1, v24
	v_lshlrev_b32_e32 v1, 16, v1
	s_delay_alu instid0(VALU_DEP_1)
	v_and_b32_e32 v1, 0xff0000, v1
.LBB43_76:
	s_or_b32 exec_lo, exec_lo, s7
.LBB43_77:
	s_delay_alu instid0(SALU_CYCLE_1) | instskip(SKIP_2) | instid1(VALU_DEP_1)
	s_or_b32 exec_lo, exec_lo, s3
	v_cvt_f32_f16_e32 v18, v18
	s_mov_b32 s3, exec_lo
	v_mul_f32_e32 v18, v9, v18
	s_delay_alu instid0(VALU_DEP_1) | instskip(SKIP_1) | instid1(VALU_DEP_2)
	v_maxmin_f32 v20, v18, v10, v11
	v_bfrev_b32_e32 v18, 1
	v_and_b32_e32 v24, 0x7fffffff, v20
	s_delay_alu instid0(VALU_DEP_1)
	v_cmpx_gt_u32_e32 0x43800000, v24
	s_cbranch_execz .LBB43_83
; %bb.78:
	v_cmp_lt_u32_e32 vcc_lo, 0x3bffffff, v24
	s_mov_b32 s6, 0
                                        ; implicit-def: $vgpr24
	s_and_saveexec_b32 s7, vcc_lo
	s_delay_alu instid0(SALU_CYCLE_1)
	s_xor_b32 s7, exec_lo, s7
	s_cbranch_execnz .LBB43_133
; %bb.79:
	s_or_saveexec_b32 s7, s7
                                        ; implicit-def: $sgpr8
	s_delay_alu instid0(SALU_CYCLE_1)
	s_xor_b32 exec_lo, exec_lo, s7
	s_cbranch_execnz .LBB43_134
.LBB43_80:
	s_or_b32 exec_lo, exec_lo, s7
	v_mov_b32_e32 v18, s8
	s_and_saveexec_b32 s7, s6
.LBB43_81:
	v_lshlrev_b32_e32 v18, 24, v24
	s_delay_alu instid0(VALU_DEP_1)
	v_and_or_b32 v18, 0x80000000, v20, v18
.LBB43_82:
	s_or_b32 exec_lo, exec_lo, s7
.LBB43_83:
	s_delay_alu instid0(SALU_CYCLE_1) | instskip(SKIP_2) | instid1(VALU_DEP_1)
	s_or_b32 exec_lo, exec_lo, s3
	v_cvt_f32_f16_e32 v2, v2
	s_mov_b32 s3, exec_lo
	v_mul_f32_e32 v2, v9, v2
	s_delay_alu instid0(VALU_DEP_1) | instskip(SKIP_1) | instid1(VALU_DEP_2)
	v_maxmin_f32 v20, v2, v10, v11
	v_mov_b32_e32 v2, 0x80
	v_and_b32_e32 v24, 0x7fffffff, v20
	s_delay_alu instid0(VALU_DEP_1)
	v_cmpx_gt_u32_e32 0x43800000, v24
	s_cbranch_execz .LBB43_89
; %bb.84:
	v_cmp_lt_u32_e32 vcc_lo, 0x3bffffff, v24
	s_mov_b32 s6, 0
                                        ; implicit-def: $vgpr24
	s_and_saveexec_b32 s7, vcc_lo
	s_delay_alu instid0(SALU_CYCLE_1)
	s_xor_b32 s7, exec_lo, s7
	s_cbranch_execnz .LBB43_135
; %bb.85:
	s_or_saveexec_b32 s7, s7
                                        ; implicit-def: $sgpr8
	s_delay_alu instid0(SALU_CYCLE_1)
	s_xor_b32 exec_lo, exec_lo, s7
	s_cbranch_execnz .LBB43_136
.LBB43_86:
	s_or_b32 exec_lo, exec_lo, s7
	v_mov_b32_e32 v2, s8
	s_and_saveexec_b32 s7, s6
.LBB43_87:
	v_lshrrev_b32_e32 v2, 24, v20
	s_delay_alu instid0(VALU_DEP_1)
	v_and_or_b32 v2, 0x80, v2, v24
.LBB43_88:
	s_or_b32 exec_lo, exec_lo, s7
.LBB43_89:
	s_delay_alu instid0(SALU_CYCLE_1) | instskip(SKIP_2) | instid1(VALU_DEP_1)
	s_or_b32 exec_lo, exec_lo, s3
	v_cvt_f32_f16_e32 v17, v17
	s_mov_b32 s3, exec_lo
	v_mul_f32_e32 v17, v9, v17
	s_delay_alu instid0(VALU_DEP_1) | instskip(SKIP_1) | instid1(VALU_DEP_2)
	v_maxmin_f32 v20, v17, v10, v11
	v_mov_b32_e32 v17, 0x8000
	v_and_b32_e32 v24, 0x7fffffff, v20
	s_delay_alu instid0(VALU_DEP_1)
	v_cmpx_gt_u32_e32 0x43800000, v24
	s_cbranch_execz .LBB43_95
; %bb.90:
	v_cmp_lt_u32_e32 vcc_lo, 0x3bffffff, v24
	s_mov_b32 s6, 0
                                        ; implicit-def: $vgpr24
	s_and_saveexec_b32 s7, vcc_lo
	s_delay_alu instid0(SALU_CYCLE_1)
	s_xor_b32 s7, exec_lo, s7
	s_cbranch_execnz .LBB43_137
; %bb.91:
	s_or_saveexec_b32 s7, s7
                                        ; implicit-def: $sgpr8
	s_delay_alu instid0(SALU_CYCLE_1)
	s_xor_b32 exec_lo, exec_lo, s7
	s_cbranch_execnz .LBB43_138
.LBB43_92:
	s_or_b32 exec_lo, exec_lo, s7
	v_mov_b32_e32 v17, s8
	s_and_saveexec_b32 s7, s6
.LBB43_93:
	v_lshrrev_b32_e32 v17, 24, v20
	s_delay_alu instid0(VALU_DEP_1) | instskip(NEXT) | instid1(VALU_DEP_1)
	v_and_or_b32 v17, 0x80, v17, v24
	v_lshlrev_b32_e32 v17, 8, v17
.LBB43_94:
	s_or_b32 exec_lo, exec_lo, s7
.LBB43_95:
	s_delay_alu instid0(SALU_CYCLE_1) | instskip(SKIP_2) | instid1(VALU_DEP_1)
	s_or_b32 exec_lo, exec_lo, s3
	v_cvt_f32_f16_e32 v3, v3
	s_mov_b32 s3, exec_lo
	v_mul_f32_e32 v3, v9, v3
	s_delay_alu instid0(VALU_DEP_1) | instskip(SKIP_1) | instid1(VALU_DEP_2)
	v_maxmin_f32 v20, v3, v10, v11
	v_mov_b32_e32 v3, 0x800000
	v_and_b32_e32 v24, 0x7fffffff, v20
	s_delay_alu instid0(VALU_DEP_1)
	v_cmpx_gt_u32_e32 0x43800000, v24
	s_cbranch_execz .LBB43_101
; %bb.96:
	v_cmp_lt_u32_e32 vcc_lo, 0x3bffffff, v24
	s_mov_b32 s6, 0
                                        ; implicit-def: $vgpr24
	s_and_saveexec_b32 s7, vcc_lo
	s_delay_alu instid0(SALU_CYCLE_1)
	s_xor_b32 s7, exec_lo, s7
	s_cbranch_execnz .LBB43_139
; %bb.97:
	s_or_saveexec_b32 s7, s7
                                        ; implicit-def: $sgpr8
	s_delay_alu instid0(SALU_CYCLE_1)
	s_xor_b32 exec_lo, exec_lo, s7
	s_cbranch_execnz .LBB43_140
.LBB43_98:
	s_or_b32 exec_lo, exec_lo, s7
	v_mov_b32_e32 v3, s8
	s_and_saveexec_b32 s7, s6
.LBB43_99:
	v_lshrrev_b32_e32 v3, 24, v20
	s_delay_alu instid0(VALU_DEP_1) | instskip(NEXT) | instid1(VALU_DEP_1)
	v_and_or_b32 v3, 0x80, v3, v24
	v_lshlrev_b32_e32 v3, 16, v3
.LBB43_100:
	s_or_b32 exec_lo, exec_lo, s7
.LBB43_101:
	s_delay_alu instid0(SALU_CYCLE_1) | instskip(SKIP_2) | instid1(VALU_DEP_1)
	s_or_b32 exec_lo, exec_lo, s3
	v_cvt_f32_f16_e32 v14, v14
	s_mov_b32 s3, exec_lo
	v_mul_f32_e32 v9, v9, v14
	s_delay_alu instid0(VALU_DEP_1) | instskip(SKIP_1) | instid1(VALU_DEP_2)
	v_maxmin_f32 v9, v9, v10, v11
	v_bfrev_b32_e32 v11, 1
	v_and_b32_e32 v10, 0x7fffffff, v9
	s_delay_alu instid0(VALU_DEP_1)
	v_cmpx_gt_u32_e32 0x43800000, v10
	s_cbranch_execz .LBB43_107
; %bb.102:
	v_cmp_lt_u32_e32 vcc_lo, 0x3bffffff, v10
	s_mov_b32 s6, 0
                                        ; implicit-def: $vgpr10
	s_and_saveexec_b32 s7, vcc_lo
	s_delay_alu instid0(SALU_CYCLE_1)
	s_xor_b32 s7, exec_lo, s7
	s_cbranch_execnz .LBB43_141
; %bb.103:
	s_or_saveexec_b32 s7, s7
                                        ; implicit-def: $sgpr8
	s_delay_alu instid0(SALU_CYCLE_1)
	s_xor_b32 exec_lo, exec_lo, s7
	s_cbranch_execnz .LBB43_142
.LBB43_104:
	s_or_b32 exec_lo, exec_lo, s7
	v_mov_b32_e32 v11, s8
	s_and_saveexec_b32 s7, s6
.LBB43_105:
	v_lshlrev_b32_e32 v10, 24, v10
	s_delay_alu instid0(VALU_DEP_1)
	v_and_or_b32 v11, 0x80000000, v9, v10
.LBB43_106:
	s_or_b32 exec_lo, exec_lo, s7
.LBB43_107:
	s_delay_alu instid0(SALU_CYCLE_1)
	s_or_b32 exec_lo, exec_lo, s3
	v_lshlrev_b32_e32 v9, 8, v21
	v_lshlrev_b32_e32 v8, 8, v8
	;; [unrolled: 1-line block ×5, first 2 shown]
	v_perm_b32 v6, v9, v6, 0xc0c0500
	v_perm_b32 v4, v8, v4, 0xc0c0500
	;; [unrolled: 1-line block ×3, first 2 shown]
	v_or_b32_e32 v2, v17, v2
	s_or_b32 s5, s5, exec_lo
	v_and_or_b32 v6, 0xff0000, v14, v6
	v_and_or_b32 v4, 0xff0000, v19, v4
	v_or3_b32 v10, v1, v0, v18
	v_or3_b32 v11, v3, v2, v11
	s_delay_alu instid0(VALU_DEP_4) | instskip(NEXT) | instid1(VALU_DEP_4)
	v_lshl_or_b32 v9, v7, 24, v6
	v_lshl_or_b32 v8, v5, 24, v4
.LBB43_108:
	s_or_b32 exec_lo, exec_lo, s2
	s_delay_alu instid0(SALU_CYCLE_1)
	s_and_b32 exec_lo, exec_lo, s5
	s_cbranch_execz .LBB43_110
; %bb.109:
	s_load_b64 s[0:1], s[0:1], 0x8
	v_lshlrev_b32_e32 v2, 7, v12
	v_alignbit_b32 v0, v16, v12, 25
	s_ashr_i32 s2, s4, 31
	s_delay_alu instid0(VALU_DEP_2) | instid1(SALU_CYCLE_1)
	v_mul_lo_u32 v3, v2, s2
	s_delay_alu instid0(VALU_DEP_2) | instskip(SKIP_3) | instid1(VALU_DEP_2)
	v_mul_lo_u32 v4, v0, s4
	s_waitcnt lgkmcnt(0)
	v_mad_u64_u32 v[0:1], null, v2, s4, s[0:1]
	v_ashrrev_i32_e32 v2, 31, v13
	v_add3_u32 v1, v4, v1, v3
	v_lshlrev_b32_e32 v3, 4, v15
	s_delay_alu instid0(VALU_DEP_4) | instskip(NEXT) | instid1(VALU_DEP_3)
	v_add_co_u32 v0, vcc_lo, v0, v13
	v_add_co_ci_u32_e32 v1, vcc_lo, v1, v2, vcc_lo
	s_delay_alu instid0(VALU_DEP_2) | instskip(NEXT) | instid1(VALU_DEP_2)
	v_add_co_u32 v0, vcc_lo, v0, v3
	v_add_co_ci_u32_e32 v1, vcc_lo, 0, v1, vcc_lo
	global_store_b128 v[0:1], v[8:11], off
.LBB43_110:
	s_nop 0
	s_sendmsg sendmsg(MSG_DEALLOC_VGPRS)
	s_endpgm
.LBB43_111:
	v_bfe_u32 v4, v24, 20, 1
	s_mov_b32 s6, exec_lo
	s_delay_alu instid0(VALU_DEP_1) | instskip(NEXT) | instid1(VALU_DEP_1)
	v_add3_u32 v4, v24, v4, 0x487ffff
	v_lshrrev_b32_e32 v25, 20, v4
	s_or_saveexec_b32 s7, s7
                                        ; implicit-def: $sgpr8
	s_delay_alu instid0(SALU_CYCLE_1)
	s_xor_b32 exec_lo, exec_lo, s7
	s_cbranch_execz .LBB43_14
.LBB43_112:
	v_add_f32_e64 v4, 0x46000000, |v24|
	s_and_not1_b32 s6, s6, exec_lo
	s_mov_b32 s8, 0
	s_delay_alu instid0(VALU_DEP_1) | instskip(NEXT) | instid1(VALU_DEP_1)
	v_and_b32_e32 v25, 0xff, v4
	v_cmp_ne_u32_e32 vcc_lo, 0, v25
	s_and_b32 s9, vcc_lo, exec_lo
	s_delay_alu instid0(SALU_CYCLE_1)
	s_or_b32 s6, s6, s9
	s_or_b32 exec_lo, exec_lo, s7
	v_mov_b32_e32 v4, s8
	s_and_saveexec_b32 s7, s6
	s_cbranch_execnz .LBB43_15
	s_branch .LBB43_16
.LBB43_113:
	v_bfe_u32 v8, v19, 20, 1
	s_mov_b32 s6, exec_lo
	s_delay_alu instid0(VALU_DEP_1) | instskip(NEXT) | instid1(VALU_DEP_1)
	v_add3_u32 v8, v19, v8, 0x487ffff
	v_lshrrev_b32_e32 v24, 20, v8
	s_or_saveexec_b32 s7, s7
                                        ; implicit-def: $sgpr8
	s_delay_alu instid0(SALU_CYCLE_1)
	s_xor_b32 exec_lo, exec_lo, s7
	s_cbranch_execz .LBB43_20
.LBB43_114:
	v_add_f32_e64 v8, 0x46000000, |v19|
	s_and_not1_b32 s6, s6, exec_lo
	s_mov_b32 s8, 0
	s_delay_alu instid0(VALU_DEP_1) | instskip(NEXT) | instid1(VALU_DEP_1)
	v_and_b32_e32 v24, 0xff, v8
	v_cmp_ne_u32_e32 vcc_lo, 0, v24
	s_and_b32 s9, vcc_lo, exec_lo
	s_delay_alu instid0(SALU_CYCLE_1)
	s_or_b32 s6, s6, s9
	s_or_b32 exec_lo, exec_lo, s7
	v_mov_b32_e32 v8, s8
	s_and_saveexec_b32 s7, s6
	s_cbranch_execnz .LBB43_21
	s_branch .LBB43_22
.LBB43_115:
	v_bfe_u32 v19, v24, 20, 1
	s_mov_b32 s6, exec_lo
	s_delay_alu instid0(VALU_DEP_1) | instskip(NEXT) | instid1(VALU_DEP_1)
	v_add3_u32 v19, v24, v19, 0x487ffff
	v_lshrrev_b32_e32 v25, 20, v19
	s_or_saveexec_b32 s7, s7
                                        ; implicit-def: $sgpr8
	s_delay_alu instid0(SALU_CYCLE_1)
	s_xor_b32 exec_lo, exec_lo, s7
	s_cbranch_execz .LBB43_26
.LBB43_116:
	v_add_f32_e64 v19, 0x46000000, |v24|
	s_and_not1_b32 s6, s6, exec_lo
	s_mov_b32 s8, 0
	s_delay_alu instid0(VALU_DEP_1) | instskip(NEXT) | instid1(VALU_DEP_1)
	v_and_b32_e32 v25, 0xff, v19
	v_cmp_ne_u32_e32 vcc_lo, 0, v25
	s_and_b32 s9, vcc_lo, exec_lo
	s_delay_alu instid0(SALU_CYCLE_1)
	s_or_b32 s6, s6, s9
	s_or_b32 exec_lo, exec_lo, s7
	v_mov_b32_e32 v19, s8
	s_and_saveexec_b32 s7, s6
	s_cbranch_execnz .LBB43_27
	s_branch .LBB43_28
.LBB43_117:
	v_bfe_u32 v5, v21, 20, 1
	s_mov_b32 s6, exec_lo
	s_delay_alu instid0(VALU_DEP_1) | instskip(NEXT) | instid1(VALU_DEP_1)
	v_add3_u32 v5, v21, v5, 0x487ffff
	v_lshrrev_b32_e32 v24, 20, v5
	s_or_saveexec_b32 s7, s7
                                        ; implicit-def: $sgpr8
	s_delay_alu instid0(SALU_CYCLE_1)
	s_xor_b32 exec_lo, exec_lo, s7
	s_cbranch_execz .LBB43_32
.LBB43_118:
	v_add_f32_e64 v5, 0x46000000, |v21|
	s_and_not1_b32 s6, s6, exec_lo
	s_mov_b32 s8, 0
	s_delay_alu instid0(VALU_DEP_1) | instskip(NEXT) | instid1(VALU_DEP_1)
	v_and_b32_e32 v24, 0xff, v5
	v_cmp_ne_u32_e32 vcc_lo, 0, v24
	s_and_b32 s9, vcc_lo, exec_lo
	s_delay_alu instid0(SALU_CYCLE_1)
	s_or_b32 s6, s6, s9
	s_or_b32 exec_lo, exec_lo, s7
	v_mov_b32_e32 v5, s8
	s_and_saveexec_b32 s7, s6
	s_cbranch_execnz .LBB43_33
	s_branch .LBB43_34
.LBB43_119:
	v_bfe_u32 v6, v24, 20, 1
	s_mov_b32 s6, exec_lo
	s_delay_alu instid0(VALU_DEP_1) | instskip(NEXT) | instid1(VALU_DEP_1)
	v_add3_u32 v6, v24, v6, 0x487ffff
	v_lshrrev_b32_e32 v25, 20, v6
	s_or_saveexec_b32 s7, s7
                                        ; implicit-def: $sgpr8
	s_delay_alu instid0(SALU_CYCLE_1)
	s_xor_b32 exec_lo, exec_lo, s7
	s_cbranch_execz .LBB43_38
.LBB43_120:
	v_add_f32_e64 v6, 0x46000000, |v24|
	s_and_not1_b32 s6, s6, exec_lo
	s_mov_b32 s8, 0
	s_delay_alu instid0(VALU_DEP_1) | instskip(NEXT) | instid1(VALU_DEP_1)
	v_and_b32_e32 v25, 0xff, v6
	v_cmp_ne_u32_e32 vcc_lo, 0, v25
	s_and_b32 s9, vcc_lo, exec_lo
	s_delay_alu instid0(SALU_CYCLE_1)
	s_or_b32 s6, s6, s9
	s_or_b32 exec_lo, exec_lo, s7
	v_mov_b32_e32 v6, s8
	s_and_saveexec_b32 s7, s6
	s_cbranch_execnz .LBB43_39
	s_branch .LBB43_40
.LBB43_121:
	v_bfe_u32 v21, v23, 20, 1
	s_mov_b32 s6, exec_lo
	s_delay_alu instid0(VALU_DEP_1) | instskip(NEXT) | instid1(VALU_DEP_1)
	v_add3_u32 v21, v23, v21, 0x487ffff
	v_lshrrev_b32_e32 v24, 20, v21
	s_or_saveexec_b32 s7, s7
                                        ; implicit-def: $sgpr8
	s_delay_alu instid0(SALU_CYCLE_1)
	s_xor_b32 exec_lo, exec_lo, s7
	s_cbranch_execz .LBB43_44
.LBB43_122:
	v_add_f32_e64 v21, 0x46000000, |v23|
	s_and_not1_b32 s6, s6, exec_lo
	s_mov_b32 s8, 0
	s_delay_alu instid0(VALU_DEP_1) | instskip(NEXT) | instid1(VALU_DEP_1)
	v_and_b32_e32 v24, 0xff, v21
	v_cmp_ne_u32_e32 vcc_lo, 0, v24
	s_and_b32 s9, vcc_lo, exec_lo
	s_delay_alu instid0(SALU_CYCLE_1)
	s_or_b32 s6, s6, s9
	s_or_b32 exec_lo, exec_lo, s7
	v_mov_b32_e32 v21, s8
	s_and_saveexec_b32 s7, s6
	s_cbranch_execnz .LBB43_45
	s_branch .LBB43_46
.LBB43_123:
	v_bfe_u32 v23, v24, 20, 1
	s_mov_b32 s6, exec_lo
	s_delay_alu instid0(VALU_DEP_1) | instskip(NEXT) | instid1(VALU_DEP_1)
	v_add3_u32 v23, v24, v23, 0x487ffff
	v_lshrrev_b32_e32 v25, 20, v23
	s_or_saveexec_b32 s7, s7
                                        ; implicit-def: $sgpr8
	s_delay_alu instid0(SALU_CYCLE_1)
	s_xor_b32 exec_lo, exec_lo, s7
	s_cbranch_execz .LBB43_50
.LBB43_124:
	v_add_f32_e64 v23, 0x46000000, |v24|
	s_and_not1_b32 s6, s6, exec_lo
	s_mov_b32 s8, 0
	s_delay_alu instid0(VALU_DEP_1) | instskip(NEXT) | instid1(VALU_DEP_1)
	v_and_b32_e32 v25, 0xff, v23
	v_cmp_ne_u32_e32 vcc_lo, 0, v25
	s_and_b32 s9, vcc_lo, exec_lo
	s_delay_alu instid0(SALU_CYCLE_1)
	s_or_b32 s6, s6, s9
	s_or_b32 exec_lo, exec_lo, s7
	v_mov_b32_e32 v23, s8
	s_and_saveexec_b32 s7, s6
	s_cbranch_execnz .LBB43_51
	s_branch .LBB43_52
.LBB43_125:
	v_bfe_u32 v7, v22, 20, 1
	s_mov_b32 s6, exec_lo
	s_delay_alu instid0(VALU_DEP_1) | instskip(NEXT) | instid1(VALU_DEP_1)
	v_add3_u32 v7, v22, v7, 0x487ffff
	v_lshrrev_b32_e32 v24, 20, v7
	s_or_saveexec_b32 s7, s7
                                        ; implicit-def: $sgpr8
	s_delay_alu instid0(SALU_CYCLE_1)
	s_xor_b32 exec_lo, exec_lo, s7
	s_cbranch_execz .LBB43_56
.LBB43_126:
	v_add_f32_e64 v7, 0x46000000, |v22|
	s_and_not1_b32 s6, s6, exec_lo
	s_mov_b32 s8, 0
	s_delay_alu instid0(VALU_DEP_1) | instskip(NEXT) | instid1(VALU_DEP_1)
	v_and_b32_e32 v24, 0xff, v7
	v_cmp_ne_u32_e32 vcc_lo, 0, v24
	s_and_b32 s9, vcc_lo, exec_lo
	s_delay_alu instid0(SALU_CYCLE_1)
	s_or_b32 s6, s6, s9
	s_or_b32 exec_lo, exec_lo, s7
	v_mov_b32_e32 v7, s8
	s_and_saveexec_b32 s7, s6
	s_cbranch_execnz .LBB43_57
	s_branch .LBB43_58
.LBB43_127:
	v_bfe_u32 v0, v24, 20, 1
	s_mov_b32 s6, exec_lo
	s_delay_alu instid0(VALU_DEP_1) | instskip(NEXT) | instid1(VALU_DEP_1)
	v_add3_u32 v0, v24, v0, 0x487ffff
	v_lshrrev_b32_e32 v25, 20, v0
	s_or_saveexec_b32 s7, s7
                                        ; implicit-def: $sgpr8
	s_delay_alu instid0(SALU_CYCLE_1)
	s_xor_b32 exec_lo, exec_lo, s7
	s_cbranch_execz .LBB43_62
.LBB43_128:
	v_add_f32_e64 v0, 0x46000000, |v24|
	s_and_not1_b32 s6, s6, exec_lo
	s_mov_b32 s8, 0
	s_delay_alu instid0(VALU_DEP_1) | instskip(NEXT) | instid1(VALU_DEP_1)
	v_and_b32_e32 v25, 0xff, v0
	v_cmp_ne_u32_e32 vcc_lo, 0, v25
	s_and_b32 s9, vcc_lo, exec_lo
	s_delay_alu instid0(SALU_CYCLE_1)
	s_or_b32 s6, s6, s9
	s_or_b32 exec_lo, exec_lo, s7
	v_mov_b32_e32 v0, s8
	s_and_saveexec_b32 s7, s6
	s_cbranch_execnz .LBB43_63
	s_branch .LBB43_64
.LBB43_129:
	v_bfe_u32 v22, v20, 20, 1
	s_mov_b32 s6, exec_lo
	s_delay_alu instid0(VALU_DEP_1) | instskip(NEXT) | instid1(VALU_DEP_1)
	v_add3_u32 v22, v20, v22, 0x487ffff
	v_lshrrev_b32_e32 v24, 20, v22
	s_or_saveexec_b32 s7, s7
                                        ; implicit-def: $sgpr8
	s_delay_alu instid0(SALU_CYCLE_1)
	s_xor_b32 exec_lo, exec_lo, s7
	s_cbranch_execz .LBB43_68
.LBB43_130:
	v_add_f32_e64 v22, 0x46000000, |v20|
	s_and_not1_b32 s6, s6, exec_lo
	s_mov_b32 s8, 0
	s_delay_alu instid0(VALU_DEP_1) | instskip(NEXT) | instid1(VALU_DEP_1)
	v_and_b32_e32 v24, 0xff, v22
	v_cmp_ne_u32_e32 vcc_lo, 0, v24
	s_and_b32 s9, vcc_lo, exec_lo
	s_delay_alu instid0(SALU_CYCLE_1)
	s_or_b32 s6, s6, s9
	s_or_b32 exec_lo, exec_lo, s7
	v_mov_b32_e32 v22, s8
	s_and_saveexec_b32 s7, s6
	s_cbranch_execnz .LBB43_69
	s_branch .LBB43_70
.LBB43_131:
	v_bfe_u32 v1, v20, 20, 1
	s_mov_b32 s6, exec_lo
	s_delay_alu instid0(VALU_DEP_1) | instskip(NEXT) | instid1(VALU_DEP_1)
	v_add3_u32 v1, v20, v1, 0x487ffff
	v_lshrrev_b32_e32 v24, 20, v1
	s_or_saveexec_b32 s7, s7
                                        ; implicit-def: $sgpr8
	s_delay_alu instid0(SALU_CYCLE_1)
	s_xor_b32 exec_lo, exec_lo, s7
	s_cbranch_execz .LBB43_74
.LBB43_132:
	v_add_f32_e64 v1, 0x46000000, |v20|
	s_and_not1_b32 s6, s6, exec_lo
	s_mov_b32 s8, 0
	s_delay_alu instid0(VALU_DEP_1) | instskip(NEXT) | instid1(VALU_DEP_1)
	v_and_b32_e32 v24, 0xff, v1
	v_cmp_ne_u32_e32 vcc_lo, 0, v24
	s_and_b32 s9, vcc_lo, exec_lo
	s_delay_alu instid0(SALU_CYCLE_1)
	s_or_b32 s6, s6, s9
	s_or_b32 exec_lo, exec_lo, s7
	v_mov_b32_e32 v1, s8
	s_and_saveexec_b32 s7, s6
	s_cbranch_execnz .LBB43_75
	s_branch .LBB43_76
.LBB43_133:
	v_bfe_u32 v18, v20, 20, 1
	s_mov_b32 s6, exec_lo
	s_delay_alu instid0(VALU_DEP_1) | instskip(NEXT) | instid1(VALU_DEP_1)
	v_add3_u32 v18, v20, v18, 0x487ffff
	v_lshrrev_b32_e32 v24, 20, v18
	s_or_saveexec_b32 s7, s7
                                        ; implicit-def: $sgpr8
	s_delay_alu instid0(SALU_CYCLE_1)
	s_xor_b32 exec_lo, exec_lo, s7
	s_cbranch_execz .LBB43_80
.LBB43_134:
	v_add_f32_e64 v18, 0x46000000, |v20|
	s_and_not1_b32 s6, s6, exec_lo
	s_mov_b32 s8, 0
	s_delay_alu instid0(VALU_DEP_1) | instskip(NEXT) | instid1(VALU_DEP_1)
	v_and_b32_e32 v24, 0xff, v18
	v_cmp_ne_u32_e32 vcc_lo, 0, v24
	s_and_b32 s9, vcc_lo, exec_lo
	s_delay_alu instid0(SALU_CYCLE_1)
	s_or_b32 s6, s6, s9
	s_or_b32 exec_lo, exec_lo, s7
	v_mov_b32_e32 v18, s8
	s_and_saveexec_b32 s7, s6
	s_cbranch_execnz .LBB43_81
	s_branch .LBB43_82
.LBB43_135:
	v_bfe_u32 v2, v20, 20, 1
	s_mov_b32 s6, exec_lo
	s_delay_alu instid0(VALU_DEP_1) | instskip(NEXT) | instid1(VALU_DEP_1)
	v_add3_u32 v2, v20, v2, 0x487ffff
	v_bfe_u32 v24, v2, 20, 8
	s_or_saveexec_b32 s7, s7
                                        ; implicit-def: $sgpr8
	s_delay_alu instid0(SALU_CYCLE_1)
	s_xor_b32 exec_lo, exec_lo, s7
	s_cbranch_execz .LBB43_86
.LBB43_136:
	v_add_f32_e64 v2, 0x46000000, |v20|
	s_and_not1_b32 s6, s6, exec_lo
	s_mov_b32 s8, 0
	s_delay_alu instid0(VALU_DEP_1) | instskip(NEXT) | instid1(VALU_DEP_1)
	v_and_b32_e32 v24, 0xff, v2
	v_cmp_ne_u32_e32 vcc_lo, 0, v24
	s_and_b32 s9, vcc_lo, exec_lo
	s_delay_alu instid0(SALU_CYCLE_1)
	s_or_b32 s6, s6, s9
	s_or_b32 exec_lo, exec_lo, s7
	v_mov_b32_e32 v2, s8
	s_and_saveexec_b32 s7, s6
	s_cbranch_execnz .LBB43_87
	s_branch .LBB43_88
.LBB43_137:
	v_bfe_u32 v17, v20, 20, 1
	s_mov_b32 s6, exec_lo
	s_delay_alu instid0(VALU_DEP_1) | instskip(NEXT) | instid1(VALU_DEP_1)
	v_add3_u32 v17, v20, v17, 0x487ffff
	v_bfe_u32 v24, v17, 20, 8
	s_or_saveexec_b32 s7, s7
                                        ; implicit-def: $sgpr8
	s_delay_alu instid0(SALU_CYCLE_1)
	s_xor_b32 exec_lo, exec_lo, s7
	s_cbranch_execz .LBB43_92
.LBB43_138:
	v_add_f32_e64 v17, 0x46000000, |v20|
	s_and_not1_b32 s6, s6, exec_lo
	s_mov_b32 s8, 0
	s_delay_alu instid0(VALU_DEP_1) | instskip(NEXT) | instid1(VALU_DEP_1)
	v_and_b32_e32 v24, 0xff, v17
	v_cmp_ne_u32_e32 vcc_lo, 0, v24
	s_and_b32 s9, vcc_lo, exec_lo
	s_delay_alu instid0(SALU_CYCLE_1)
	s_or_b32 s6, s6, s9
	s_or_b32 exec_lo, exec_lo, s7
	v_mov_b32_e32 v17, s8
	s_and_saveexec_b32 s7, s6
	s_cbranch_execnz .LBB43_93
	s_branch .LBB43_94
.LBB43_139:
	v_bfe_u32 v3, v20, 20, 1
	s_mov_b32 s6, exec_lo
	s_delay_alu instid0(VALU_DEP_1) | instskip(NEXT) | instid1(VALU_DEP_1)
	v_add3_u32 v3, v20, v3, 0x487ffff
	v_bfe_u32 v24, v3, 20, 8
	s_or_saveexec_b32 s7, s7
                                        ; implicit-def: $sgpr8
	s_delay_alu instid0(SALU_CYCLE_1)
	s_xor_b32 exec_lo, exec_lo, s7
	s_cbranch_execz .LBB43_98
.LBB43_140:
	v_add_f32_e64 v3, 0x46000000, |v20|
	s_and_not1_b32 s6, s6, exec_lo
	s_mov_b32 s8, 0
	s_delay_alu instid0(VALU_DEP_1) | instskip(NEXT) | instid1(VALU_DEP_1)
	v_and_b32_e32 v24, 0xff, v3
	v_cmp_ne_u32_e32 vcc_lo, 0, v24
	s_and_b32 s9, vcc_lo, exec_lo
	s_delay_alu instid0(SALU_CYCLE_1)
	s_or_b32 s6, s6, s9
	s_or_b32 exec_lo, exec_lo, s7
	v_mov_b32_e32 v3, s8
	s_and_saveexec_b32 s7, s6
	s_cbranch_execnz .LBB43_99
	s_branch .LBB43_100
.LBB43_141:
	v_bfe_u32 v10, v9, 20, 1
	s_mov_b32 s6, exec_lo
	s_delay_alu instid0(VALU_DEP_1) | instskip(NEXT) | instid1(VALU_DEP_1)
	v_add3_u32 v10, v9, v10, 0x487ffff
	v_bfe_u32 v10, v10, 20, 8
	s_or_saveexec_b32 s7, s7
                                        ; implicit-def: $sgpr8
	s_delay_alu instid0(SALU_CYCLE_1)
	s_xor_b32 exec_lo, exec_lo, s7
	s_cbranch_execz .LBB43_104
.LBB43_142:
	v_add_f32_e64 v10, 0x46000000, |v9|
	s_and_not1_b32 s6, s6, exec_lo
	s_mov_b32 s8, 0
	s_delay_alu instid0(VALU_DEP_1) | instskip(NEXT) | instid1(VALU_DEP_1)
	v_and_b32_e32 v10, 0xff, v10
	v_cmp_ne_u32_e32 vcc_lo, 0, v10
	s_and_b32 s9, vcc_lo, exec_lo
	s_delay_alu instid0(SALU_CYCLE_1)
	s_or_b32 s6, s6, s9
	s_or_b32 exec_lo, exec_lo, s7
	v_mov_b32_e32 v11, s8
	s_and_saveexec_b32 s7, s6
	s_cbranch_execnz .LBB43_105
	s_branch .LBB43_106
	.section	.rodata,"a",@progbits
	.p2align	6, 0x0
	.amdhsa_kernel _Z49per_token_group_quant_8bit_packed_register_kernelIN3c104HalfENS0_15Float8_e4m3fnuzELi128ELi8ELi2EEvPKT_PvPjiiiiilfff
		.amdhsa_group_segment_fixed_size 0
		.amdhsa_private_segment_fixed_size 0
		.amdhsa_kernarg_size 68
		.amdhsa_user_sgpr_count 14
		.amdhsa_user_sgpr_dispatch_ptr 0
		.amdhsa_user_sgpr_queue_ptr 0
		.amdhsa_user_sgpr_kernarg_segment_ptr 1
		.amdhsa_user_sgpr_dispatch_id 0
		.amdhsa_user_sgpr_private_segment_size 0
		.amdhsa_wavefront_size32 1
		.amdhsa_uses_dynamic_stack 0
		.amdhsa_enable_private_segment 0
		.amdhsa_system_sgpr_workgroup_id_x 1
		.amdhsa_system_sgpr_workgroup_id_y 1
		.amdhsa_system_sgpr_workgroup_id_z 0
		.amdhsa_system_sgpr_workgroup_info 0
		.amdhsa_system_vgpr_workitem_id 0
		.amdhsa_next_free_vgpr 27
		.amdhsa_next_free_sgpr 16
		.amdhsa_reserve_vcc 1
		.amdhsa_float_round_mode_32 0
		.amdhsa_float_round_mode_16_64 0
		.amdhsa_float_denorm_mode_32 3
		.amdhsa_float_denorm_mode_16_64 3
		.amdhsa_dx10_clamp 1
		.amdhsa_ieee_mode 1
		.amdhsa_fp16_overflow 0
		.amdhsa_workgroup_processor_mode 1
		.amdhsa_memory_ordered 1
		.amdhsa_forward_progress 0
		.amdhsa_shared_vgpr_count 0
		.amdhsa_exception_fp_ieee_invalid_op 0
		.amdhsa_exception_fp_denorm_src 0
		.amdhsa_exception_fp_ieee_div_zero 0
		.amdhsa_exception_fp_ieee_overflow 0
		.amdhsa_exception_fp_ieee_underflow 0
		.amdhsa_exception_fp_ieee_inexact 0
		.amdhsa_exception_int_div_zero 0
	.end_amdhsa_kernel
	.section	.text._Z49per_token_group_quant_8bit_packed_register_kernelIN3c104HalfENS0_15Float8_e4m3fnuzELi128ELi8ELi2EEvPKT_PvPjiiiiilfff,"axG",@progbits,_Z49per_token_group_quant_8bit_packed_register_kernelIN3c104HalfENS0_15Float8_e4m3fnuzELi128ELi8ELi2EEvPKT_PvPjiiiiilfff,comdat
.Lfunc_end43:
	.size	_Z49per_token_group_quant_8bit_packed_register_kernelIN3c104HalfENS0_15Float8_e4m3fnuzELi128ELi8ELi2EEvPKT_PvPjiiiiilfff, .Lfunc_end43-_Z49per_token_group_quant_8bit_packed_register_kernelIN3c104HalfENS0_15Float8_e4m3fnuzELi128ELi8ELi2EEvPKT_PvPjiiiiilfff
                                        ; -- End function
	.section	.AMDGPU.csdata,"",@progbits
; Kernel info:
; codeLenInByte = 5632
; NumSgprs: 18
; NumVgprs: 27
; ScratchSize: 0
; MemoryBound: 0
; FloatMode: 240
; IeeeMode: 1
; LDSByteSize: 0 bytes/workgroup (compile time only)
; SGPRBlocks: 2
; VGPRBlocks: 3
; NumSGPRsForWavesPerEU: 18
; NumVGPRsForWavesPerEU: 27
; Occupancy: 16
; WaveLimiterHint : 0
; COMPUTE_PGM_RSRC2:SCRATCH_EN: 0
; COMPUTE_PGM_RSRC2:USER_SGPR: 14
; COMPUTE_PGM_RSRC2:TRAP_HANDLER: 0
; COMPUTE_PGM_RSRC2:TGID_X_EN: 1
; COMPUTE_PGM_RSRC2:TGID_Y_EN: 1
; COMPUTE_PGM_RSRC2:TGID_Z_EN: 0
; COMPUTE_PGM_RSRC2:TIDIG_COMP_CNT: 0
	.section	.text._Z49per_token_group_quant_8bit_packed_register_kernelIN3c104HalfENS0_15Float8_e4m3fnuzELi128ELi4ELi4EEvPKT_PvPjiiiiilfff,"axG",@progbits,_Z49per_token_group_quant_8bit_packed_register_kernelIN3c104HalfENS0_15Float8_e4m3fnuzELi128ELi4ELi4EEvPKT_PvPjiiiiilfff,comdat
	.protected	_Z49per_token_group_quant_8bit_packed_register_kernelIN3c104HalfENS0_15Float8_e4m3fnuzELi128ELi4ELi4EEvPKT_PvPjiiiiilfff ; -- Begin function _Z49per_token_group_quant_8bit_packed_register_kernelIN3c104HalfENS0_15Float8_e4m3fnuzELi128ELi4ELi4EEvPKT_PvPjiiiiilfff
	.globl	_Z49per_token_group_quant_8bit_packed_register_kernelIN3c104HalfENS0_15Float8_e4m3fnuzELi128ELi4ELi4EEvPKT_PvPjiiiiilfff
	.p2align	8
	.type	_Z49per_token_group_quant_8bit_packed_register_kernelIN3c104HalfENS0_15Float8_e4m3fnuzELi128ELi4ELi4EEvPKT_PvPjiiiiilfff,@function
_Z49per_token_group_quant_8bit_packed_register_kernelIN3c104HalfENS0_15Float8_e4m3fnuzELi128ELi4ELi4EEvPKT_PvPjiiiiilfff: ; @_Z49per_token_group_quant_8bit_packed_register_kernelIN3c104HalfENS0_15Float8_e4m3fnuzELi128ELi4ELi4EEvPKT_PvPjiiiiilfff
; %bb.0:
	s_load_b128 s[4:7], s[0:1], 0x1c
	v_lshrrev_b32_e32 v1, 5, v0
	s_mov_b32 s2, exec_lo
	s_delay_alu instid0(VALU_DEP_1) | instskip(SKIP_1) | instid1(VALU_DEP_1)
	v_lshl_add_u32 v12, s15, 2, v1
	s_waitcnt lgkmcnt(0)
	v_cmpx_gt_i32_e64 s7, v12
	s_cbranch_execz .LBB44_110
; %bb.1:
	s_load_b128 s[8:11], s[0:1], 0x38
	v_lshrrev_b32_e32 v1, 3, v0
	s_lshl_b32 s2, s14, 2
	v_and_b32_e32 v15, 7, v0
	v_ashrrev_i32_e32 v16, 31, v12
                                        ; implicit-def: $vgpr14
                                        ; implicit-def: $vgpr3
                                        ; implicit-def: $vgpr17
                                        ; implicit-def: $vgpr18
                                        ; implicit-def: $vgpr20
                                        ; implicit-def: $vgpr22
                                        ; implicit-def: $vgpr7
                                        ; implicit-def: $vgpr23
                                        ; implicit-def: $vgpr21
                                        ; implicit-def: $vgpr19
	s_delay_alu instid0(VALU_DEP_3) | instskip(SKIP_1) | instid1(VALU_DEP_2)
	v_and_or_b32 v10, v1, 3, s2
	v_cmp_gt_i32_e64 s2, s5, v12
	v_cmp_gt_i32_e64 s3, s4, v10
	v_lshlrev_b32_e32 v13, 7, v10
	s_waitcnt lgkmcnt(0)
	s_delay_alu instid0(VALU_DEP_2)
	s_and_b32 s11, s2, s3
	v_mov_b32_e32 v8, s8
	s_and_saveexec_b32 s5, s11
	s_cbranch_execz .LBB44_3
; %bb.2:
	s_load_b64 s[12:13], s[0:1], 0x0
	v_lshlrev_b32_e32 v2, 8, v12
	v_alignbit_b32 v0, v16, v12, 24
	s_ashr_i32 s14, s4, 31
	v_ashrrev_i32_e32 v14, 31, v13
	s_delay_alu instid0(VALU_DEP_3) | instskip(NEXT) | instid1(VALU_DEP_3)
	v_mul_lo_u32 v4, v2, s14
	v_mul_lo_u32 v5, v0, s4
	s_waitcnt lgkmcnt(0)
	v_mad_u64_u32 v[0:1], null, v2, s4, s[12:13]
	v_lshlrev_b64 v[2:3], 1, v[13:14]
	s_delay_alu instid0(VALU_DEP_2) | instskip(SKIP_1) | instid1(VALU_DEP_3)
	v_add3_u32 v1, v5, v1, v4
	v_lshlrev_b32_e32 v4, 5, v15
	v_add_co_u32 v0, vcc_lo, v0, v2
	s_delay_alu instid0(VALU_DEP_3) | instskip(NEXT) | instid1(VALU_DEP_2)
	v_add_co_ci_u32_e32 v1, vcc_lo, v1, v3, vcc_lo
	v_add_co_u32 v0, vcc_lo, v0, v4
	s_delay_alu instid0(VALU_DEP_2)
	v_add_co_ci_u32_e32 v1, vcc_lo, 0, v1, vcc_lo
	s_clause 0x1
	global_load_b128 v[4:7], v[0:1], off
	global_load_b128 v[0:3], v[0:1], off offset:16
	s_waitcnt vmcnt(1)
	v_lshrrev_b32_e32 v19, 16, v4
	v_lshrrev_b32_e32 v21, 16, v5
	v_cvt_f32_f16_e64 v8, |v4|
	v_lshrrev_b32_e32 v23, 16, v6
	v_cvt_f32_f16_e64 v11, |v5|
	v_cvt_f32_f16_e64 v9, |v19|
	v_cvt_f32_f16_e64 v14, |v21|
	v_lshrrev_b32_e32 v22, 16, v7
	v_cvt_f32_f16_e64 v17, |v23|
	s_waitcnt vmcnt(0)
	v_lshrrev_b32_e32 v20, 16, v0
	v_max3_f32 v8, s8, v8, v9
	v_cvt_f32_f16_e64 v9, |v6|
	v_lshrrev_b32_e32 v18, 16, v1
	s_delay_alu instid0(VALU_DEP_4) | instskip(NEXT) | instid1(VALU_DEP_4)
	v_cvt_f32_f16_e64 v24, |v20|
	v_max3_f32 v8, v8, v11, v14
	v_cvt_f32_f16_e64 v11, |v7|
	v_cvt_f32_f16_e64 v14, |v22|
	s_delay_alu instid0(VALU_DEP_3) | instskip(SKIP_2) | instid1(VALU_DEP_3)
	v_max3_f32 v8, v8, v9, v17
	v_cvt_f32_f16_e64 v9, |v0|
	v_lshrrev_b32_e32 v17, 16, v2
	v_max3_f32 v8, v8, v11, v14
	v_cvt_f32_f16_e64 v11, |v1|
	v_cvt_f32_f16_e64 v14, |v18|
	s_delay_alu instid0(VALU_DEP_3) | instskip(SKIP_2) | instid1(VALU_DEP_3)
	v_max3_f32 v8, v8, v9, v24
	v_cvt_f32_f16_e64 v9, |v2|
	v_cvt_f32_f16_e64 v24, |v17|
	v_max3_f32 v8, v8, v11, v14
	v_lshrrev_b32_e32 v14, 16, v3
	v_cvt_f32_f16_e64 v11, |v3|
	s_delay_alu instid0(VALU_DEP_3) | instskip(NEXT) | instid1(VALU_DEP_3)
	v_max3_f32 v8, v8, v9, v24
	v_cvt_f32_f16_e64 v9, |v14|
	s_delay_alu instid0(VALU_DEP_1)
	v_max3_f32 v8, v8, v11, v9
.LBB44_3:
	s_or_b32 exec_lo, exec_lo, s5
	v_mbcnt_lo_u32_b32 v9, -1, 0
	s_xor_b32 s8, s11, -1
	s_mov_b32 s5, 0
	s_mov_b32 s12, exec_lo
	s_delay_alu instid0(VALU_DEP_1) | instskip(SKIP_2) | instid1(VALU_DEP_2)
	v_xor_b32_e32 v24, 4, v9
	v_and_b32_e32 v11, 24, v9
	v_xor_b32_e32 v25, 2, v9
	v_add_nc_u32_e32 v11, 8, v11
	s_delay_alu instid0(VALU_DEP_1) | instskip(SKIP_1) | instid1(VALU_DEP_1)
	v_cmp_lt_i32_e32 vcc_lo, v24, v11
	v_cndmask_b32_e32 v24, v9, v24, vcc_lo
	v_lshlrev_b32_e32 v24, 2, v24
	ds_bpermute_b32 v24, v24, v8
	v_max_f32_e32 v8, v8, v8
	v_cmp_lt_i32_e32 vcc_lo, v25, v11
	v_cndmask_b32_e32 v25, v9, v25, vcc_lo
	s_waitcnt lgkmcnt(0)
	s_delay_alu instid0(VALU_DEP_1) | instskip(NEXT) | instid1(VALU_DEP_1)
	v_dual_max_f32 v24, v24, v24 :: v_dual_lshlrev_b32 v25, 2, v25
	v_max_f32_e32 v8, v8, v24
	ds_bpermute_b32 v24, v25, v8
	v_xor_b32_e32 v25, 1, v9
	s_delay_alu instid0(VALU_DEP_1) | instskip(SKIP_3) | instid1(VALU_DEP_1)
	v_cmp_lt_i32_e32 vcc_lo, v25, v11
	v_cndmask_b32_e32 v9, v9, v25, vcc_lo
	s_waitcnt lgkmcnt(0)
	v_max_f32_e32 v11, v24, v24
	v_dual_max_f32 v8, v8, v11 :: v_dual_lshlrev_b32 v9, 2, v9
	ds_bpermute_b32 v9, v9, v8
	s_waitcnt lgkmcnt(0)
	v_max_f32_e32 v9, v9, v9
	s_delay_alu instid0(VALU_DEP_1) | instskip(NEXT) | instid1(VALU_DEP_1)
	v_max_f32_e32 v8, v8, v9
	v_div_scale_f32 v9, null, s10, s10, v8
	v_div_scale_f32 v25, vcc_lo, v8, s10, v8
	s_delay_alu instid0(VALU_DEP_2) | instskip(SKIP_2) | instid1(VALU_DEP_1)
	v_rcp_f32_e32 v11, v9
	s_waitcnt_depctr 0xfff
	v_fma_f32 v24, -v9, v11, 1.0
	v_fmac_f32_e32 v11, v24, v11
	s_delay_alu instid0(VALU_DEP_1) | instskip(NEXT) | instid1(VALU_DEP_1)
	v_mul_f32_e32 v24, v25, v11
	v_fma_f32 v26, -v9, v24, v25
	s_delay_alu instid0(VALU_DEP_1) | instskip(NEXT) | instid1(VALU_DEP_1)
	v_fmac_f32_e32 v24, v26, v11
	v_fma_f32 v9, -v9, v24, v25
	s_delay_alu instid0(VALU_DEP_1) | instskip(NEXT) | instid1(VALU_DEP_1)
	v_div_fmas_f32 v9, v9, v11, v24
	v_div_fixup_f32 v8, v9, s10, v8
	s_delay_alu instid0(VALU_DEP_1) | instskip(NEXT) | instid1(VALU_DEP_1)
	v_max_f32_e32 v8, 0x2edbe6ff, v8
	v_and_b32_e32 v9, 0x7fffff, v8
	v_lshrrev_b32_e32 v8, 23, v8
	s_delay_alu instid0(VALU_DEP_2) | instskip(NEXT) | instid1(VALU_DEP_2)
	v_cmp_ne_u32_e32 vcc_lo, 0, v9
	v_add_co_ci_u32_e32 v24, vcc_lo, 0, v8, vcc_lo
	v_cmpx_eq_u32_e32 0, v15
	s_cbranch_execz .LBB44_8
; %bb.4:
	v_ashrrev_i32_e32 v8, 31, v10
	s_delay_alu instid0(VALU_DEP_1) | instskip(NEXT) | instid1(VALU_DEP_1)
	v_lshrrev_b32_e32 v8, 30, v8
	v_add_nc_u32_e32 v8, v10, v8
	s_delay_alu instid0(VALU_DEP_1) | instskip(NEXT) | instid1(VALU_DEP_1)
	v_ashrrev_i32_e32 v11, 2, v8
	v_mad_u64_u32 v[8:9], null, v11, s7, v[12:13]
	v_mov_b32_e32 v9, v24
	s_and_saveexec_b32 s7, s8
	s_cbranch_execz .LBB44_6
; %bb.5:
	s_load_b64 s[14:15], s[0:1], 0x30
	s_delay_alu instid0(VALU_DEP_2) | instskip(SKIP_2) | instid1(VALU_DEP_1)
	v_ashrrev_i32_e32 v9, 31, v8
	s_and_not1_b32 s11, s11, exec_lo
	s_waitcnt lgkmcnt(0)
	v_cmp_gt_i64_e32 vcc_lo, s[14:15], v[8:9]
	v_mov_b32_e32 v9, 0
	s_and_b32 s13, vcc_lo, exec_lo
	s_delay_alu instid0(SALU_CYCLE_1)
	s_or_b32 s11, s11, s13
.LBB44_6:
	s_or_b32 exec_lo, exec_lo, s7
	s_delay_alu instid0(SALU_CYCLE_1)
	s_and_b32 exec_lo, exec_lo, s11
	s_cbranch_execz .LBB44_8
; %bb.7:
	s_load_b64 s[14:15], s[0:1], 0x10
	v_lshlrev_b32_e32 v11, 2, v11
	s_delay_alu instid0(VALU_DEP_1) | instskip(NEXT) | instid1(VALU_DEP_1)
	v_sub_nc_u32_e32 v10, v10, v11
	v_lshl_add_u32 v8, v8, 2, v10
	s_delay_alu instid0(VALU_DEP_1) | instskip(SKIP_2) | instid1(VALU_DEP_2)
	v_ashrrev_i32_e32 v11, 31, v8
	s_waitcnt lgkmcnt(0)
	v_add_co_u32 v10, vcc_lo, s14, v8
	v_add_co_ci_u32_e32 v11, vcc_lo, s15, v11, vcc_lo
	global_store_b8 v[10:11], v9, off
.LBB44_8:
	s_or_b32 exec_lo, exec_lo, s12
                                        ; implicit-def: $sgpr7
	s_and_saveexec_b32 s11, s8
	s_delay_alu instid0(SALU_CYCLE_1)
	s_xor_b32 s8, exec_lo, s11
; %bb.9:
	v_cmp_gt_i32_e32 vcc_lo, s6, v12
	s_xor_b32 s2, s2, -1
	s_mov_b32 s7, 0
                                        ; implicit-def: $vgpr14
                                        ; implicit-def: $vgpr3
                                        ; implicit-def: $vgpr17
                                        ; implicit-def: $vgpr18
                                        ; implicit-def: $vgpr20
                                        ; implicit-def: $vgpr22
                                        ; implicit-def: $vgpr7
                                        ; implicit-def: $vgpr23
                                        ; implicit-def: $vgpr21
                                        ; implicit-def: $vgpr19
                                        ; implicit-def: $vgpr24
	s_and_b32 s2, vcc_lo, s2
	s_delay_alu instid0(SALU_CYCLE_1) | instskip(NEXT) | instid1(SALU_CYCLE_1)
	s_and_b32 s2, s3, s2
	s_and_b32 s5, s2, exec_lo
; %bb.10:
	s_or_saveexec_b32 s2, s8
	v_dual_mov_b32 v11, s7 :: v_dual_mov_b32 v10, s7
	v_dual_mov_b32 v9, s7 :: v_dual_mov_b32 v8, s7
	s_xor_b32 exec_lo, exec_lo, s2
	s_cbranch_execz .LBB44_108
; %bb.11:
	v_lshlrev_b32_e32 v8, 23, v24
	v_cvt_f32_f16_e32 v4, v4
	s_mov_b32 s3, exec_lo
	s_delay_alu instid0(VALU_DEP_2) | instskip(NEXT) | instid1(VALU_DEP_1)
	v_and_b32_e32 v8, 0x7f800000, v8
	v_div_scale_f32 v9, null, v8, v8, 1.0
	v_div_scale_f32 v24, vcc_lo, 1.0, v8, 1.0
	s_delay_alu instid0(VALU_DEP_2) | instskip(SKIP_2) | instid1(VALU_DEP_1)
	v_rcp_f32_e32 v10, v9
	s_waitcnt_depctr 0xfff
	v_fma_f32 v11, -v9, v10, 1.0
	v_fmac_f32_e32 v10, v11, v10
	s_delay_alu instid0(VALU_DEP_1) | instskip(NEXT) | instid1(VALU_DEP_1)
	v_mul_f32_e32 v11, v24, v10
	v_fma_f32 v25, -v9, v11, v24
	s_delay_alu instid0(VALU_DEP_1) | instskip(NEXT) | instid1(VALU_DEP_1)
	v_fmac_f32_e32 v11, v25, v10
	v_fma_f32 v9, -v9, v11, v24
	s_delay_alu instid0(VALU_DEP_1) | instskip(SKIP_2) | instid1(VALU_DEP_3)
	v_div_fmas_f32 v9, v9, v10, v11
	v_max_f32_e64 v10, s9, s9
	v_max_f32_e64 v11, s10, s10
	v_div_fixup_f32 v9, v9, v8, 1.0
	v_mov_b32_e32 v8, 0x80
	s_delay_alu instid0(VALU_DEP_2) | instskip(NEXT) | instid1(VALU_DEP_1)
	v_mul_f32_e32 v4, v9, v4
	v_maxmin_f32 v24, v4, v10, v11
	v_mov_b32_e32 v4, 0x80
	s_delay_alu instid0(VALU_DEP_2) | instskip(NEXT) | instid1(VALU_DEP_1)
	v_and_b32_e32 v25, 0x7fffffff, v24
	v_cmpx_gt_u32_e32 0x43800000, v25
	s_cbranch_execz .LBB44_17
; %bb.12:
	v_cmp_lt_u32_e32 vcc_lo, 0x3bffffff, v25
	s_mov_b32 s6, 0
                                        ; implicit-def: $vgpr25
	s_and_saveexec_b32 s7, vcc_lo
	s_delay_alu instid0(SALU_CYCLE_1)
	s_xor_b32 s7, exec_lo, s7
	s_cbranch_execnz .LBB44_111
; %bb.13:
	s_or_saveexec_b32 s7, s7
                                        ; implicit-def: $sgpr8
	s_delay_alu instid0(SALU_CYCLE_1)
	s_xor_b32 exec_lo, exec_lo, s7
	s_cbranch_execnz .LBB44_112
.LBB44_14:
	s_or_b32 exec_lo, exec_lo, s7
	v_mov_b32_e32 v4, s8
	s_and_saveexec_b32 s7, s6
.LBB44_15:
	v_lshrrev_b32_e32 v4, 24, v24
	s_delay_alu instid0(VALU_DEP_1)
	v_and_or_b32 v4, 0x80, v4, v25
.LBB44_16:
	s_or_b32 exec_lo, exec_lo, s7
.LBB44_17:
	s_delay_alu instid0(SALU_CYCLE_1) | instskip(SKIP_2) | instid1(VALU_DEP_1)
	s_or_b32 exec_lo, exec_lo, s3
	v_cvt_f32_f16_e32 v19, v19
	s_mov_b32 s3, exec_lo
	v_mul_f32_e32 v19, v9, v19
	s_delay_alu instid0(VALU_DEP_1) | instskip(NEXT) | instid1(VALU_DEP_1)
	v_maxmin_f32 v19, v19, v10, v11
	v_and_b32_e32 v24, 0x7fffffff, v19
	s_delay_alu instid0(VALU_DEP_1)
	v_cmpx_gt_u32_e32 0x43800000, v24
	s_cbranch_execz .LBB44_23
; %bb.18:
	v_cmp_lt_u32_e32 vcc_lo, 0x3bffffff, v24
	s_mov_b32 s6, 0
                                        ; implicit-def: $vgpr24
	s_and_saveexec_b32 s7, vcc_lo
	s_delay_alu instid0(SALU_CYCLE_1)
	s_xor_b32 s7, exec_lo, s7
	s_cbranch_execnz .LBB44_113
; %bb.19:
	s_or_saveexec_b32 s7, s7
                                        ; implicit-def: $sgpr8
	s_delay_alu instid0(SALU_CYCLE_1)
	s_xor_b32 exec_lo, exec_lo, s7
	s_cbranch_execnz .LBB44_114
.LBB44_20:
	s_or_b32 exec_lo, exec_lo, s7
	v_mov_b32_e32 v8, s8
	s_and_saveexec_b32 s7, s6
.LBB44_21:
	v_lshrrev_b32_e32 v8, 24, v19
	s_delay_alu instid0(VALU_DEP_1)
	v_and_or_b32 v8, 0x80, v8, v24
.LBB44_22:
	s_or_b32 exec_lo, exec_lo, s7
.LBB44_23:
	s_delay_alu instid0(SALU_CYCLE_1) | instskip(SKIP_3) | instid1(VALU_DEP_2)
	s_or_b32 exec_lo, exec_lo, s3
	v_cvt_f32_f16_e32 v5, v5
	v_mov_b32_e32 v19, 0x80
	s_mov_b32 s3, exec_lo
	v_mul_f32_e32 v5, v9, v5
	s_delay_alu instid0(VALU_DEP_1) | instskip(SKIP_1) | instid1(VALU_DEP_2)
	v_maxmin_f32 v24, v5, v10, v11
	v_mov_b32_e32 v5, 0x80
	v_and_b32_e32 v25, 0x7fffffff, v24
	s_delay_alu instid0(VALU_DEP_1)
	v_cmpx_gt_u32_e32 0x43800000, v25
	s_cbranch_execz .LBB44_29
; %bb.24:
	v_cmp_lt_u32_e32 vcc_lo, 0x3bffffff, v25
	s_mov_b32 s6, 0
                                        ; implicit-def: $vgpr25
	s_and_saveexec_b32 s7, vcc_lo
	s_delay_alu instid0(SALU_CYCLE_1)
	s_xor_b32 s7, exec_lo, s7
	s_cbranch_execnz .LBB44_115
; %bb.25:
	s_or_saveexec_b32 s7, s7
                                        ; implicit-def: $sgpr8
	s_delay_alu instid0(SALU_CYCLE_1)
	s_xor_b32 exec_lo, exec_lo, s7
	s_cbranch_execnz .LBB44_116
.LBB44_26:
	s_or_b32 exec_lo, exec_lo, s7
	v_mov_b32_e32 v19, s8
	s_and_saveexec_b32 s7, s6
.LBB44_27:
	v_lshrrev_b32_e32 v19, 24, v24
	s_delay_alu instid0(VALU_DEP_1)
	v_and_or_b32 v19, 0x80, v19, v25
.LBB44_28:
	s_or_b32 exec_lo, exec_lo, s7
.LBB44_29:
	s_delay_alu instid0(SALU_CYCLE_1) | instskip(SKIP_2) | instid1(VALU_DEP_1)
	s_or_b32 exec_lo, exec_lo, s3
	v_cvt_f32_f16_e32 v21, v21
	s_mov_b32 s3, exec_lo
	v_mul_f32_e32 v21, v9, v21
	s_delay_alu instid0(VALU_DEP_1) | instskip(NEXT) | instid1(VALU_DEP_1)
	v_maxmin_f32 v21, v21, v10, v11
	v_and_b32_e32 v24, 0x7fffffff, v21
	s_delay_alu instid0(VALU_DEP_1)
	v_cmpx_gt_u32_e32 0x43800000, v24
	s_cbranch_execz .LBB44_35
; %bb.30:
	v_cmp_lt_u32_e32 vcc_lo, 0x3bffffff, v24
	s_mov_b32 s6, 0
                                        ; implicit-def: $vgpr24
	s_and_saveexec_b32 s7, vcc_lo
	s_delay_alu instid0(SALU_CYCLE_1)
	s_xor_b32 s7, exec_lo, s7
	s_cbranch_execnz .LBB44_117
; %bb.31:
	s_or_saveexec_b32 s7, s7
                                        ; implicit-def: $sgpr8
	s_delay_alu instid0(SALU_CYCLE_1)
	s_xor_b32 exec_lo, exec_lo, s7
	s_cbranch_execnz .LBB44_118
.LBB44_32:
	s_or_b32 exec_lo, exec_lo, s7
	v_mov_b32_e32 v5, s8
	s_and_saveexec_b32 s7, s6
.LBB44_33:
	v_lshrrev_b32_e32 v5, 24, v21
	s_delay_alu instid0(VALU_DEP_1)
	v_and_or_b32 v5, 0x80, v5, v24
.LBB44_34:
	s_or_b32 exec_lo, exec_lo, s7
.LBB44_35:
	s_delay_alu instid0(SALU_CYCLE_1) | instskip(SKIP_3) | instid1(VALU_DEP_2)
	s_or_b32 exec_lo, exec_lo, s3
	v_cvt_f32_f16_e32 v6, v6
	v_mov_b32_e32 v21, 0x80
	s_mov_b32 s3, exec_lo
	v_mul_f32_e32 v6, v9, v6
	s_delay_alu instid0(VALU_DEP_1) | instskip(SKIP_1) | instid1(VALU_DEP_2)
	v_maxmin_f32 v24, v6, v10, v11
	v_mov_b32_e32 v6, 0x80
	v_and_b32_e32 v25, 0x7fffffff, v24
	s_delay_alu instid0(VALU_DEP_1)
	v_cmpx_gt_u32_e32 0x43800000, v25
	s_cbranch_execz .LBB44_41
; %bb.36:
	v_cmp_lt_u32_e32 vcc_lo, 0x3bffffff, v25
	s_mov_b32 s6, 0
                                        ; implicit-def: $vgpr25
	s_and_saveexec_b32 s7, vcc_lo
	s_delay_alu instid0(SALU_CYCLE_1)
	s_xor_b32 s7, exec_lo, s7
	s_cbranch_execnz .LBB44_119
; %bb.37:
	s_or_saveexec_b32 s7, s7
                                        ; implicit-def: $sgpr8
	s_delay_alu instid0(SALU_CYCLE_1)
	s_xor_b32 exec_lo, exec_lo, s7
	s_cbranch_execnz .LBB44_120
.LBB44_38:
	s_or_b32 exec_lo, exec_lo, s7
	v_mov_b32_e32 v6, s8
	s_and_saveexec_b32 s7, s6
.LBB44_39:
	v_lshrrev_b32_e32 v6, 24, v24
	s_delay_alu instid0(VALU_DEP_1)
	v_and_or_b32 v6, 0x80, v6, v25
.LBB44_40:
	s_or_b32 exec_lo, exec_lo, s7
.LBB44_41:
	s_delay_alu instid0(SALU_CYCLE_1) | instskip(SKIP_2) | instid1(VALU_DEP_1)
	s_or_b32 exec_lo, exec_lo, s3
	v_cvt_f32_f16_e32 v23, v23
	s_mov_b32 s3, exec_lo
	v_mul_f32_e32 v23, v9, v23
	s_delay_alu instid0(VALU_DEP_1) | instskip(NEXT) | instid1(VALU_DEP_1)
	v_maxmin_f32 v23, v23, v10, v11
	v_and_b32_e32 v24, 0x7fffffff, v23
	s_delay_alu instid0(VALU_DEP_1)
	v_cmpx_gt_u32_e32 0x43800000, v24
	s_cbranch_execz .LBB44_47
; %bb.42:
	v_cmp_lt_u32_e32 vcc_lo, 0x3bffffff, v24
	s_mov_b32 s6, 0
                                        ; implicit-def: $vgpr24
	s_and_saveexec_b32 s7, vcc_lo
	s_delay_alu instid0(SALU_CYCLE_1)
	s_xor_b32 s7, exec_lo, s7
	s_cbranch_execnz .LBB44_121
; %bb.43:
	s_or_saveexec_b32 s7, s7
                                        ; implicit-def: $sgpr8
	s_delay_alu instid0(SALU_CYCLE_1)
	s_xor_b32 exec_lo, exec_lo, s7
	s_cbranch_execnz .LBB44_122
.LBB44_44:
	s_or_b32 exec_lo, exec_lo, s7
	v_mov_b32_e32 v21, s8
	s_and_saveexec_b32 s7, s6
.LBB44_45:
	v_lshrrev_b32_e32 v21, 24, v23
	s_delay_alu instid0(VALU_DEP_1)
	v_and_or_b32 v21, 0x80, v21, v24
.LBB44_46:
	s_or_b32 exec_lo, exec_lo, s7
.LBB44_47:
	s_delay_alu instid0(SALU_CYCLE_1) | instskip(SKIP_3) | instid1(VALU_DEP_2)
	s_or_b32 exec_lo, exec_lo, s3
	v_cvt_f32_f16_e32 v7, v7
	v_mov_b32_e32 v23, 0x80
	s_mov_b32 s3, exec_lo
	v_mul_f32_e32 v7, v9, v7
	s_delay_alu instid0(VALU_DEP_1) | instskip(SKIP_1) | instid1(VALU_DEP_2)
	v_maxmin_f32 v24, v7, v10, v11
	v_mov_b32_e32 v7, 0x80
	v_and_b32_e32 v25, 0x7fffffff, v24
	s_delay_alu instid0(VALU_DEP_1)
	v_cmpx_gt_u32_e32 0x43800000, v25
	s_cbranch_execz .LBB44_53
; %bb.48:
	v_cmp_lt_u32_e32 vcc_lo, 0x3bffffff, v25
	s_mov_b32 s6, 0
                                        ; implicit-def: $vgpr25
	s_and_saveexec_b32 s7, vcc_lo
	s_delay_alu instid0(SALU_CYCLE_1)
	s_xor_b32 s7, exec_lo, s7
	s_cbranch_execnz .LBB44_123
; %bb.49:
	s_or_saveexec_b32 s7, s7
                                        ; implicit-def: $sgpr8
	s_delay_alu instid0(SALU_CYCLE_1)
	s_xor_b32 exec_lo, exec_lo, s7
	s_cbranch_execnz .LBB44_124
.LBB44_50:
	s_or_b32 exec_lo, exec_lo, s7
	v_mov_b32_e32 v23, s8
	s_and_saveexec_b32 s7, s6
.LBB44_51:
	v_lshrrev_b32_e32 v23, 24, v24
	s_delay_alu instid0(VALU_DEP_1)
	v_and_or_b32 v23, 0x80, v23, v25
.LBB44_52:
	s_or_b32 exec_lo, exec_lo, s7
.LBB44_53:
	s_delay_alu instid0(SALU_CYCLE_1) | instskip(SKIP_2) | instid1(VALU_DEP_1)
	s_or_b32 exec_lo, exec_lo, s3
	v_cvt_f32_f16_e32 v22, v22
	s_mov_b32 s3, exec_lo
	v_mul_f32_e32 v22, v9, v22
	s_delay_alu instid0(VALU_DEP_1) | instskip(NEXT) | instid1(VALU_DEP_1)
	v_maxmin_f32 v22, v22, v10, v11
	v_and_b32_e32 v24, 0x7fffffff, v22
	s_delay_alu instid0(VALU_DEP_1)
	v_cmpx_gt_u32_e32 0x43800000, v24
	s_cbranch_execz .LBB44_59
; %bb.54:
	v_cmp_lt_u32_e32 vcc_lo, 0x3bffffff, v24
	s_mov_b32 s6, 0
                                        ; implicit-def: $vgpr24
	s_and_saveexec_b32 s7, vcc_lo
	s_delay_alu instid0(SALU_CYCLE_1)
	s_xor_b32 s7, exec_lo, s7
	s_cbranch_execnz .LBB44_125
; %bb.55:
	s_or_saveexec_b32 s7, s7
                                        ; implicit-def: $sgpr8
	s_delay_alu instid0(SALU_CYCLE_1)
	s_xor_b32 exec_lo, exec_lo, s7
	s_cbranch_execnz .LBB44_126
.LBB44_56:
	s_or_b32 exec_lo, exec_lo, s7
	v_mov_b32_e32 v7, s8
	s_and_saveexec_b32 s7, s6
.LBB44_57:
	v_lshrrev_b32_e32 v7, 24, v22
	s_delay_alu instid0(VALU_DEP_1)
	v_and_or_b32 v7, 0x80, v7, v24
.LBB44_58:
	s_or_b32 exec_lo, exec_lo, s7
.LBB44_59:
	s_delay_alu instid0(SALU_CYCLE_1) | instskip(SKIP_3) | instid1(VALU_DEP_2)
	s_or_b32 exec_lo, exec_lo, s3
	v_cvt_f32_f16_e32 v0, v0
	v_mov_b32_e32 v22, 0x80
	s_mov_b32 s3, exec_lo
	v_mul_f32_e32 v0, v9, v0
	s_delay_alu instid0(VALU_DEP_1) | instskip(SKIP_1) | instid1(VALU_DEP_2)
	v_maxmin_f32 v24, v0, v10, v11
	v_mov_b32_e32 v0, 0x80
	v_and_b32_e32 v25, 0x7fffffff, v24
	s_delay_alu instid0(VALU_DEP_1)
	v_cmpx_gt_u32_e32 0x43800000, v25
	s_cbranch_execz .LBB44_65
; %bb.60:
	v_cmp_lt_u32_e32 vcc_lo, 0x3bffffff, v25
	s_mov_b32 s6, 0
                                        ; implicit-def: $vgpr25
	s_and_saveexec_b32 s7, vcc_lo
	s_delay_alu instid0(SALU_CYCLE_1)
	s_xor_b32 s7, exec_lo, s7
	s_cbranch_execnz .LBB44_127
; %bb.61:
	s_or_saveexec_b32 s7, s7
                                        ; implicit-def: $sgpr8
	s_delay_alu instid0(SALU_CYCLE_1)
	s_xor_b32 exec_lo, exec_lo, s7
	s_cbranch_execnz .LBB44_128
.LBB44_62:
	s_or_b32 exec_lo, exec_lo, s7
	v_mov_b32_e32 v0, s8
	s_and_saveexec_b32 s7, s6
.LBB44_63:
	v_lshrrev_b32_e32 v0, 24, v24
	s_delay_alu instid0(VALU_DEP_1)
	v_and_or_b32 v0, 0x80, v0, v25
.LBB44_64:
	s_or_b32 exec_lo, exec_lo, s7
.LBB44_65:
	s_delay_alu instid0(SALU_CYCLE_1) | instskip(SKIP_2) | instid1(VALU_DEP_1)
	s_or_b32 exec_lo, exec_lo, s3
	v_cvt_f32_f16_e32 v20, v20
	s_mov_b32 s3, exec_lo
	v_mul_f32_e32 v20, v9, v20
	s_delay_alu instid0(VALU_DEP_1) | instskip(NEXT) | instid1(VALU_DEP_1)
	v_maxmin_f32 v20, v20, v10, v11
	v_and_b32_e32 v24, 0x7fffffff, v20
	s_delay_alu instid0(VALU_DEP_1)
	v_cmpx_gt_u32_e32 0x43800000, v24
	s_cbranch_execz .LBB44_71
; %bb.66:
	v_cmp_lt_u32_e32 vcc_lo, 0x3bffffff, v24
	s_mov_b32 s6, 0
                                        ; implicit-def: $vgpr24
	s_and_saveexec_b32 s7, vcc_lo
	s_delay_alu instid0(SALU_CYCLE_1)
	s_xor_b32 s7, exec_lo, s7
	s_cbranch_execnz .LBB44_129
; %bb.67:
	s_or_saveexec_b32 s7, s7
                                        ; implicit-def: $sgpr8
	s_delay_alu instid0(SALU_CYCLE_1)
	s_xor_b32 exec_lo, exec_lo, s7
	s_cbranch_execnz .LBB44_130
.LBB44_68:
	s_or_b32 exec_lo, exec_lo, s7
	v_mov_b32_e32 v22, s8
	s_and_saveexec_b32 s7, s6
.LBB44_69:
	v_lshrrev_b32_e32 v20, 24, v20
	s_delay_alu instid0(VALU_DEP_1)
	v_and_or_b32 v22, 0x80, v20, v24
.LBB44_70:
	s_or_b32 exec_lo, exec_lo, s7
.LBB44_71:
	s_delay_alu instid0(SALU_CYCLE_1) | instskip(SKIP_2) | instid1(VALU_DEP_1)
	s_or_b32 exec_lo, exec_lo, s3
	v_cvt_f32_f16_e32 v1, v1
	s_mov_b32 s3, exec_lo
	v_mul_f32_e32 v1, v9, v1
	s_delay_alu instid0(VALU_DEP_1) | instskip(SKIP_1) | instid1(VALU_DEP_2)
	v_maxmin_f32 v20, v1, v10, v11
	v_mov_b32_e32 v1, 0x800000
	v_and_b32_e32 v24, 0x7fffffff, v20
	s_delay_alu instid0(VALU_DEP_1)
	v_cmpx_gt_u32_e32 0x43800000, v24
	s_cbranch_execz .LBB44_77
; %bb.72:
	v_cmp_lt_u32_e32 vcc_lo, 0x3bffffff, v24
	s_mov_b32 s6, 0
                                        ; implicit-def: $vgpr24
	s_and_saveexec_b32 s7, vcc_lo
	s_delay_alu instid0(SALU_CYCLE_1)
	s_xor_b32 s7, exec_lo, s7
	s_cbranch_execnz .LBB44_131
; %bb.73:
	s_or_saveexec_b32 s7, s7
                                        ; implicit-def: $sgpr8
	s_delay_alu instid0(SALU_CYCLE_1)
	s_xor_b32 exec_lo, exec_lo, s7
	s_cbranch_execnz .LBB44_132
.LBB44_74:
	s_or_b32 exec_lo, exec_lo, s7
	v_mov_b32_e32 v1, s8
	s_and_saveexec_b32 s7, s6
.LBB44_75:
	v_lshrrev_b32_e32 v1, 24, v20
	s_delay_alu instid0(VALU_DEP_1) | instskip(NEXT) | instid1(VALU_DEP_1)
	v_and_or_b32 v1, 0x80, v1, v24
	v_lshlrev_b32_e32 v1, 16, v1
	s_delay_alu instid0(VALU_DEP_1)
	v_and_b32_e32 v1, 0xff0000, v1
.LBB44_76:
	s_or_b32 exec_lo, exec_lo, s7
.LBB44_77:
	s_delay_alu instid0(SALU_CYCLE_1) | instskip(SKIP_2) | instid1(VALU_DEP_1)
	s_or_b32 exec_lo, exec_lo, s3
	v_cvt_f32_f16_e32 v18, v18
	s_mov_b32 s3, exec_lo
	v_mul_f32_e32 v18, v9, v18
	s_delay_alu instid0(VALU_DEP_1) | instskip(SKIP_1) | instid1(VALU_DEP_2)
	v_maxmin_f32 v20, v18, v10, v11
	v_bfrev_b32_e32 v18, 1
	v_and_b32_e32 v24, 0x7fffffff, v20
	s_delay_alu instid0(VALU_DEP_1)
	v_cmpx_gt_u32_e32 0x43800000, v24
	s_cbranch_execz .LBB44_83
; %bb.78:
	v_cmp_lt_u32_e32 vcc_lo, 0x3bffffff, v24
	s_mov_b32 s6, 0
                                        ; implicit-def: $vgpr24
	s_and_saveexec_b32 s7, vcc_lo
	s_delay_alu instid0(SALU_CYCLE_1)
	s_xor_b32 s7, exec_lo, s7
	s_cbranch_execnz .LBB44_133
; %bb.79:
	s_or_saveexec_b32 s7, s7
                                        ; implicit-def: $sgpr8
	s_delay_alu instid0(SALU_CYCLE_1)
	s_xor_b32 exec_lo, exec_lo, s7
	s_cbranch_execnz .LBB44_134
.LBB44_80:
	s_or_b32 exec_lo, exec_lo, s7
	v_mov_b32_e32 v18, s8
	s_and_saveexec_b32 s7, s6
.LBB44_81:
	v_lshlrev_b32_e32 v18, 24, v24
	s_delay_alu instid0(VALU_DEP_1)
	v_and_or_b32 v18, 0x80000000, v20, v18
.LBB44_82:
	s_or_b32 exec_lo, exec_lo, s7
.LBB44_83:
	s_delay_alu instid0(SALU_CYCLE_1) | instskip(SKIP_2) | instid1(VALU_DEP_1)
	s_or_b32 exec_lo, exec_lo, s3
	v_cvt_f32_f16_e32 v2, v2
	s_mov_b32 s3, exec_lo
	v_mul_f32_e32 v2, v9, v2
	s_delay_alu instid0(VALU_DEP_1) | instskip(SKIP_1) | instid1(VALU_DEP_2)
	v_maxmin_f32 v20, v2, v10, v11
	v_mov_b32_e32 v2, 0x80
	v_and_b32_e32 v24, 0x7fffffff, v20
	s_delay_alu instid0(VALU_DEP_1)
	v_cmpx_gt_u32_e32 0x43800000, v24
	s_cbranch_execz .LBB44_89
; %bb.84:
	v_cmp_lt_u32_e32 vcc_lo, 0x3bffffff, v24
	s_mov_b32 s6, 0
                                        ; implicit-def: $vgpr24
	s_and_saveexec_b32 s7, vcc_lo
	s_delay_alu instid0(SALU_CYCLE_1)
	s_xor_b32 s7, exec_lo, s7
	s_cbranch_execnz .LBB44_135
; %bb.85:
	s_or_saveexec_b32 s7, s7
                                        ; implicit-def: $sgpr8
	s_delay_alu instid0(SALU_CYCLE_1)
	s_xor_b32 exec_lo, exec_lo, s7
	s_cbranch_execnz .LBB44_136
.LBB44_86:
	s_or_b32 exec_lo, exec_lo, s7
	v_mov_b32_e32 v2, s8
	s_and_saveexec_b32 s7, s6
.LBB44_87:
	v_lshrrev_b32_e32 v2, 24, v20
	s_delay_alu instid0(VALU_DEP_1)
	v_and_or_b32 v2, 0x80, v2, v24
.LBB44_88:
	s_or_b32 exec_lo, exec_lo, s7
.LBB44_89:
	s_delay_alu instid0(SALU_CYCLE_1) | instskip(SKIP_2) | instid1(VALU_DEP_1)
	s_or_b32 exec_lo, exec_lo, s3
	v_cvt_f32_f16_e32 v17, v17
	s_mov_b32 s3, exec_lo
	v_mul_f32_e32 v17, v9, v17
	s_delay_alu instid0(VALU_DEP_1) | instskip(SKIP_1) | instid1(VALU_DEP_2)
	v_maxmin_f32 v20, v17, v10, v11
	v_mov_b32_e32 v17, 0x8000
	v_and_b32_e32 v24, 0x7fffffff, v20
	s_delay_alu instid0(VALU_DEP_1)
	v_cmpx_gt_u32_e32 0x43800000, v24
	s_cbranch_execz .LBB44_95
; %bb.90:
	v_cmp_lt_u32_e32 vcc_lo, 0x3bffffff, v24
	s_mov_b32 s6, 0
                                        ; implicit-def: $vgpr24
	s_and_saveexec_b32 s7, vcc_lo
	s_delay_alu instid0(SALU_CYCLE_1)
	s_xor_b32 s7, exec_lo, s7
	s_cbranch_execnz .LBB44_137
; %bb.91:
	s_or_saveexec_b32 s7, s7
                                        ; implicit-def: $sgpr8
	s_delay_alu instid0(SALU_CYCLE_1)
	s_xor_b32 exec_lo, exec_lo, s7
	s_cbranch_execnz .LBB44_138
.LBB44_92:
	s_or_b32 exec_lo, exec_lo, s7
	v_mov_b32_e32 v17, s8
	s_and_saveexec_b32 s7, s6
.LBB44_93:
	v_lshrrev_b32_e32 v17, 24, v20
	s_delay_alu instid0(VALU_DEP_1) | instskip(NEXT) | instid1(VALU_DEP_1)
	v_and_or_b32 v17, 0x80, v17, v24
	v_lshlrev_b32_e32 v17, 8, v17
.LBB44_94:
	s_or_b32 exec_lo, exec_lo, s7
.LBB44_95:
	s_delay_alu instid0(SALU_CYCLE_1) | instskip(SKIP_2) | instid1(VALU_DEP_1)
	s_or_b32 exec_lo, exec_lo, s3
	v_cvt_f32_f16_e32 v3, v3
	s_mov_b32 s3, exec_lo
	v_mul_f32_e32 v3, v9, v3
	s_delay_alu instid0(VALU_DEP_1) | instskip(SKIP_1) | instid1(VALU_DEP_2)
	v_maxmin_f32 v20, v3, v10, v11
	v_mov_b32_e32 v3, 0x800000
	v_and_b32_e32 v24, 0x7fffffff, v20
	s_delay_alu instid0(VALU_DEP_1)
	v_cmpx_gt_u32_e32 0x43800000, v24
	s_cbranch_execz .LBB44_101
; %bb.96:
	v_cmp_lt_u32_e32 vcc_lo, 0x3bffffff, v24
	s_mov_b32 s6, 0
                                        ; implicit-def: $vgpr24
	s_and_saveexec_b32 s7, vcc_lo
	s_delay_alu instid0(SALU_CYCLE_1)
	s_xor_b32 s7, exec_lo, s7
	s_cbranch_execnz .LBB44_139
; %bb.97:
	s_or_saveexec_b32 s7, s7
                                        ; implicit-def: $sgpr8
	s_delay_alu instid0(SALU_CYCLE_1)
	s_xor_b32 exec_lo, exec_lo, s7
	s_cbranch_execnz .LBB44_140
.LBB44_98:
	s_or_b32 exec_lo, exec_lo, s7
	v_mov_b32_e32 v3, s8
	s_and_saveexec_b32 s7, s6
.LBB44_99:
	v_lshrrev_b32_e32 v3, 24, v20
	s_delay_alu instid0(VALU_DEP_1) | instskip(NEXT) | instid1(VALU_DEP_1)
	v_and_or_b32 v3, 0x80, v3, v24
	v_lshlrev_b32_e32 v3, 16, v3
.LBB44_100:
	s_or_b32 exec_lo, exec_lo, s7
.LBB44_101:
	s_delay_alu instid0(SALU_CYCLE_1) | instskip(SKIP_2) | instid1(VALU_DEP_1)
	s_or_b32 exec_lo, exec_lo, s3
	v_cvt_f32_f16_e32 v14, v14
	s_mov_b32 s3, exec_lo
	v_mul_f32_e32 v9, v9, v14
	s_delay_alu instid0(VALU_DEP_1) | instskip(SKIP_1) | instid1(VALU_DEP_2)
	v_maxmin_f32 v9, v9, v10, v11
	v_bfrev_b32_e32 v11, 1
	v_and_b32_e32 v10, 0x7fffffff, v9
	s_delay_alu instid0(VALU_DEP_1)
	v_cmpx_gt_u32_e32 0x43800000, v10
	s_cbranch_execz .LBB44_107
; %bb.102:
	v_cmp_lt_u32_e32 vcc_lo, 0x3bffffff, v10
	s_mov_b32 s6, 0
                                        ; implicit-def: $vgpr10
	s_and_saveexec_b32 s7, vcc_lo
	s_delay_alu instid0(SALU_CYCLE_1)
	s_xor_b32 s7, exec_lo, s7
	s_cbranch_execnz .LBB44_141
; %bb.103:
	s_or_saveexec_b32 s7, s7
                                        ; implicit-def: $sgpr8
	s_delay_alu instid0(SALU_CYCLE_1)
	s_xor_b32 exec_lo, exec_lo, s7
	s_cbranch_execnz .LBB44_142
.LBB44_104:
	s_or_b32 exec_lo, exec_lo, s7
	v_mov_b32_e32 v11, s8
	s_and_saveexec_b32 s7, s6
.LBB44_105:
	v_lshlrev_b32_e32 v10, 24, v10
	s_delay_alu instid0(VALU_DEP_1)
	v_and_or_b32 v11, 0x80000000, v9, v10
.LBB44_106:
	s_or_b32 exec_lo, exec_lo, s7
.LBB44_107:
	s_delay_alu instid0(SALU_CYCLE_1)
	s_or_b32 exec_lo, exec_lo, s3
	v_lshlrev_b32_e32 v9, 8, v21
	v_lshlrev_b32_e32 v8, 8, v8
	;; [unrolled: 1-line block ×5, first 2 shown]
	v_perm_b32 v6, v9, v6, 0xc0c0500
	v_perm_b32 v4, v8, v4, 0xc0c0500
	;; [unrolled: 1-line block ×3, first 2 shown]
	v_or_b32_e32 v2, v17, v2
	s_or_b32 s5, s5, exec_lo
	v_and_or_b32 v6, 0xff0000, v14, v6
	v_and_or_b32 v4, 0xff0000, v19, v4
	v_or3_b32 v10, v1, v0, v18
	v_or3_b32 v11, v3, v2, v11
	s_delay_alu instid0(VALU_DEP_4) | instskip(NEXT) | instid1(VALU_DEP_4)
	v_lshl_or_b32 v9, v7, 24, v6
	v_lshl_or_b32 v8, v5, 24, v4
.LBB44_108:
	s_or_b32 exec_lo, exec_lo, s2
	s_delay_alu instid0(SALU_CYCLE_1)
	s_and_b32 exec_lo, exec_lo, s5
	s_cbranch_execz .LBB44_110
; %bb.109:
	s_load_b64 s[0:1], s[0:1], 0x8
	v_lshlrev_b32_e32 v2, 7, v12
	v_alignbit_b32 v0, v16, v12, 25
	s_ashr_i32 s2, s4, 31
	s_delay_alu instid0(VALU_DEP_2) | instid1(SALU_CYCLE_1)
	v_mul_lo_u32 v3, v2, s2
	s_delay_alu instid0(VALU_DEP_2) | instskip(SKIP_3) | instid1(VALU_DEP_2)
	v_mul_lo_u32 v4, v0, s4
	s_waitcnt lgkmcnt(0)
	v_mad_u64_u32 v[0:1], null, v2, s4, s[0:1]
	v_ashrrev_i32_e32 v2, 31, v13
	v_add3_u32 v1, v4, v1, v3
	v_lshlrev_b32_e32 v3, 4, v15
	s_delay_alu instid0(VALU_DEP_4) | instskip(NEXT) | instid1(VALU_DEP_3)
	v_add_co_u32 v0, vcc_lo, v0, v13
	v_add_co_ci_u32_e32 v1, vcc_lo, v1, v2, vcc_lo
	s_delay_alu instid0(VALU_DEP_2) | instskip(NEXT) | instid1(VALU_DEP_2)
	v_add_co_u32 v0, vcc_lo, v0, v3
	v_add_co_ci_u32_e32 v1, vcc_lo, 0, v1, vcc_lo
	global_store_b128 v[0:1], v[8:11], off
.LBB44_110:
	s_nop 0
	s_sendmsg sendmsg(MSG_DEALLOC_VGPRS)
	s_endpgm
.LBB44_111:
	v_bfe_u32 v4, v24, 20, 1
	s_mov_b32 s6, exec_lo
	s_delay_alu instid0(VALU_DEP_1) | instskip(NEXT) | instid1(VALU_DEP_1)
	v_add3_u32 v4, v24, v4, 0x487ffff
	v_lshrrev_b32_e32 v25, 20, v4
	s_or_saveexec_b32 s7, s7
                                        ; implicit-def: $sgpr8
	s_delay_alu instid0(SALU_CYCLE_1)
	s_xor_b32 exec_lo, exec_lo, s7
	s_cbranch_execz .LBB44_14
.LBB44_112:
	v_add_f32_e64 v4, 0x46000000, |v24|
	s_and_not1_b32 s6, s6, exec_lo
	s_mov_b32 s8, 0
	s_delay_alu instid0(VALU_DEP_1) | instskip(NEXT) | instid1(VALU_DEP_1)
	v_and_b32_e32 v25, 0xff, v4
	v_cmp_ne_u32_e32 vcc_lo, 0, v25
	s_and_b32 s9, vcc_lo, exec_lo
	s_delay_alu instid0(SALU_CYCLE_1)
	s_or_b32 s6, s6, s9
	s_or_b32 exec_lo, exec_lo, s7
	v_mov_b32_e32 v4, s8
	s_and_saveexec_b32 s7, s6
	s_cbranch_execnz .LBB44_15
	s_branch .LBB44_16
.LBB44_113:
	v_bfe_u32 v8, v19, 20, 1
	s_mov_b32 s6, exec_lo
	s_delay_alu instid0(VALU_DEP_1) | instskip(NEXT) | instid1(VALU_DEP_1)
	v_add3_u32 v8, v19, v8, 0x487ffff
	v_lshrrev_b32_e32 v24, 20, v8
	s_or_saveexec_b32 s7, s7
                                        ; implicit-def: $sgpr8
	s_delay_alu instid0(SALU_CYCLE_1)
	s_xor_b32 exec_lo, exec_lo, s7
	s_cbranch_execz .LBB44_20
.LBB44_114:
	v_add_f32_e64 v8, 0x46000000, |v19|
	s_and_not1_b32 s6, s6, exec_lo
	s_mov_b32 s8, 0
	s_delay_alu instid0(VALU_DEP_1) | instskip(NEXT) | instid1(VALU_DEP_1)
	v_and_b32_e32 v24, 0xff, v8
	v_cmp_ne_u32_e32 vcc_lo, 0, v24
	s_and_b32 s9, vcc_lo, exec_lo
	s_delay_alu instid0(SALU_CYCLE_1)
	s_or_b32 s6, s6, s9
	s_or_b32 exec_lo, exec_lo, s7
	v_mov_b32_e32 v8, s8
	s_and_saveexec_b32 s7, s6
	s_cbranch_execnz .LBB44_21
	s_branch .LBB44_22
.LBB44_115:
	v_bfe_u32 v19, v24, 20, 1
	s_mov_b32 s6, exec_lo
	s_delay_alu instid0(VALU_DEP_1) | instskip(NEXT) | instid1(VALU_DEP_1)
	v_add3_u32 v19, v24, v19, 0x487ffff
	v_lshrrev_b32_e32 v25, 20, v19
	s_or_saveexec_b32 s7, s7
                                        ; implicit-def: $sgpr8
	s_delay_alu instid0(SALU_CYCLE_1)
	s_xor_b32 exec_lo, exec_lo, s7
	s_cbranch_execz .LBB44_26
.LBB44_116:
	v_add_f32_e64 v19, 0x46000000, |v24|
	s_and_not1_b32 s6, s6, exec_lo
	s_mov_b32 s8, 0
	s_delay_alu instid0(VALU_DEP_1) | instskip(NEXT) | instid1(VALU_DEP_1)
	v_and_b32_e32 v25, 0xff, v19
	v_cmp_ne_u32_e32 vcc_lo, 0, v25
	s_and_b32 s9, vcc_lo, exec_lo
	s_delay_alu instid0(SALU_CYCLE_1)
	s_or_b32 s6, s6, s9
	s_or_b32 exec_lo, exec_lo, s7
	v_mov_b32_e32 v19, s8
	s_and_saveexec_b32 s7, s6
	s_cbranch_execnz .LBB44_27
	s_branch .LBB44_28
.LBB44_117:
	v_bfe_u32 v5, v21, 20, 1
	s_mov_b32 s6, exec_lo
	s_delay_alu instid0(VALU_DEP_1) | instskip(NEXT) | instid1(VALU_DEP_1)
	v_add3_u32 v5, v21, v5, 0x487ffff
	v_lshrrev_b32_e32 v24, 20, v5
	s_or_saveexec_b32 s7, s7
                                        ; implicit-def: $sgpr8
	s_delay_alu instid0(SALU_CYCLE_1)
	s_xor_b32 exec_lo, exec_lo, s7
	s_cbranch_execz .LBB44_32
.LBB44_118:
	v_add_f32_e64 v5, 0x46000000, |v21|
	s_and_not1_b32 s6, s6, exec_lo
	s_mov_b32 s8, 0
	s_delay_alu instid0(VALU_DEP_1) | instskip(NEXT) | instid1(VALU_DEP_1)
	v_and_b32_e32 v24, 0xff, v5
	v_cmp_ne_u32_e32 vcc_lo, 0, v24
	s_and_b32 s9, vcc_lo, exec_lo
	s_delay_alu instid0(SALU_CYCLE_1)
	s_or_b32 s6, s6, s9
	s_or_b32 exec_lo, exec_lo, s7
	v_mov_b32_e32 v5, s8
	s_and_saveexec_b32 s7, s6
	s_cbranch_execnz .LBB44_33
	s_branch .LBB44_34
.LBB44_119:
	v_bfe_u32 v6, v24, 20, 1
	s_mov_b32 s6, exec_lo
	s_delay_alu instid0(VALU_DEP_1) | instskip(NEXT) | instid1(VALU_DEP_1)
	v_add3_u32 v6, v24, v6, 0x487ffff
	v_lshrrev_b32_e32 v25, 20, v6
	s_or_saveexec_b32 s7, s7
                                        ; implicit-def: $sgpr8
	s_delay_alu instid0(SALU_CYCLE_1)
	s_xor_b32 exec_lo, exec_lo, s7
	s_cbranch_execz .LBB44_38
.LBB44_120:
	v_add_f32_e64 v6, 0x46000000, |v24|
	s_and_not1_b32 s6, s6, exec_lo
	s_mov_b32 s8, 0
	s_delay_alu instid0(VALU_DEP_1) | instskip(NEXT) | instid1(VALU_DEP_1)
	v_and_b32_e32 v25, 0xff, v6
	v_cmp_ne_u32_e32 vcc_lo, 0, v25
	s_and_b32 s9, vcc_lo, exec_lo
	s_delay_alu instid0(SALU_CYCLE_1)
	s_or_b32 s6, s6, s9
	s_or_b32 exec_lo, exec_lo, s7
	v_mov_b32_e32 v6, s8
	s_and_saveexec_b32 s7, s6
	s_cbranch_execnz .LBB44_39
	s_branch .LBB44_40
.LBB44_121:
	v_bfe_u32 v21, v23, 20, 1
	s_mov_b32 s6, exec_lo
	s_delay_alu instid0(VALU_DEP_1) | instskip(NEXT) | instid1(VALU_DEP_1)
	v_add3_u32 v21, v23, v21, 0x487ffff
	v_lshrrev_b32_e32 v24, 20, v21
	s_or_saveexec_b32 s7, s7
                                        ; implicit-def: $sgpr8
	s_delay_alu instid0(SALU_CYCLE_1)
	s_xor_b32 exec_lo, exec_lo, s7
	s_cbranch_execz .LBB44_44
.LBB44_122:
	v_add_f32_e64 v21, 0x46000000, |v23|
	s_and_not1_b32 s6, s6, exec_lo
	s_mov_b32 s8, 0
	s_delay_alu instid0(VALU_DEP_1) | instskip(NEXT) | instid1(VALU_DEP_1)
	v_and_b32_e32 v24, 0xff, v21
	v_cmp_ne_u32_e32 vcc_lo, 0, v24
	s_and_b32 s9, vcc_lo, exec_lo
	s_delay_alu instid0(SALU_CYCLE_1)
	s_or_b32 s6, s6, s9
	s_or_b32 exec_lo, exec_lo, s7
	v_mov_b32_e32 v21, s8
	s_and_saveexec_b32 s7, s6
	s_cbranch_execnz .LBB44_45
	s_branch .LBB44_46
.LBB44_123:
	v_bfe_u32 v23, v24, 20, 1
	s_mov_b32 s6, exec_lo
	s_delay_alu instid0(VALU_DEP_1) | instskip(NEXT) | instid1(VALU_DEP_1)
	v_add3_u32 v23, v24, v23, 0x487ffff
	v_lshrrev_b32_e32 v25, 20, v23
	s_or_saveexec_b32 s7, s7
                                        ; implicit-def: $sgpr8
	s_delay_alu instid0(SALU_CYCLE_1)
	s_xor_b32 exec_lo, exec_lo, s7
	s_cbranch_execz .LBB44_50
.LBB44_124:
	v_add_f32_e64 v23, 0x46000000, |v24|
	s_and_not1_b32 s6, s6, exec_lo
	s_mov_b32 s8, 0
	s_delay_alu instid0(VALU_DEP_1) | instskip(NEXT) | instid1(VALU_DEP_1)
	v_and_b32_e32 v25, 0xff, v23
	v_cmp_ne_u32_e32 vcc_lo, 0, v25
	s_and_b32 s9, vcc_lo, exec_lo
	s_delay_alu instid0(SALU_CYCLE_1)
	s_or_b32 s6, s6, s9
	s_or_b32 exec_lo, exec_lo, s7
	v_mov_b32_e32 v23, s8
	s_and_saveexec_b32 s7, s6
	s_cbranch_execnz .LBB44_51
	s_branch .LBB44_52
.LBB44_125:
	v_bfe_u32 v7, v22, 20, 1
	s_mov_b32 s6, exec_lo
	s_delay_alu instid0(VALU_DEP_1) | instskip(NEXT) | instid1(VALU_DEP_1)
	v_add3_u32 v7, v22, v7, 0x487ffff
	v_lshrrev_b32_e32 v24, 20, v7
	s_or_saveexec_b32 s7, s7
                                        ; implicit-def: $sgpr8
	s_delay_alu instid0(SALU_CYCLE_1)
	s_xor_b32 exec_lo, exec_lo, s7
	s_cbranch_execz .LBB44_56
.LBB44_126:
	v_add_f32_e64 v7, 0x46000000, |v22|
	s_and_not1_b32 s6, s6, exec_lo
	s_mov_b32 s8, 0
	s_delay_alu instid0(VALU_DEP_1) | instskip(NEXT) | instid1(VALU_DEP_1)
	v_and_b32_e32 v24, 0xff, v7
	v_cmp_ne_u32_e32 vcc_lo, 0, v24
	s_and_b32 s9, vcc_lo, exec_lo
	s_delay_alu instid0(SALU_CYCLE_1)
	s_or_b32 s6, s6, s9
	s_or_b32 exec_lo, exec_lo, s7
	v_mov_b32_e32 v7, s8
	s_and_saveexec_b32 s7, s6
	s_cbranch_execnz .LBB44_57
	s_branch .LBB44_58
.LBB44_127:
	v_bfe_u32 v0, v24, 20, 1
	s_mov_b32 s6, exec_lo
	s_delay_alu instid0(VALU_DEP_1) | instskip(NEXT) | instid1(VALU_DEP_1)
	v_add3_u32 v0, v24, v0, 0x487ffff
	v_lshrrev_b32_e32 v25, 20, v0
	s_or_saveexec_b32 s7, s7
                                        ; implicit-def: $sgpr8
	s_delay_alu instid0(SALU_CYCLE_1)
	s_xor_b32 exec_lo, exec_lo, s7
	s_cbranch_execz .LBB44_62
.LBB44_128:
	v_add_f32_e64 v0, 0x46000000, |v24|
	s_and_not1_b32 s6, s6, exec_lo
	s_mov_b32 s8, 0
	s_delay_alu instid0(VALU_DEP_1) | instskip(NEXT) | instid1(VALU_DEP_1)
	v_and_b32_e32 v25, 0xff, v0
	v_cmp_ne_u32_e32 vcc_lo, 0, v25
	s_and_b32 s9, vcc_lo, exec_lo
	s_delay_alu instid0(SALU_CYCLE_1)
	s_or_b32 s6, s6, s9
	s_or_b32 exec_lo, exec_lo, s7
	v_mov_b32_e32 v0, s8
	s_and_saveexec_b32 s7, s6
	s_cbranch_execnz .LBB44_63
	s_branch .LBB44_64
.LBB44_129:
	v_bfe_u32 v22, v20, 20, 1
	s_mov_b32 s6, exec_lo
	s_delay_alu instid0(VALU_DEP_1) | instskip(NEXT) | instid1(VALU_DEP_1)
	v_add3_u32 v22, v20, v22, 0x487ffff
	v_lshrrev_b32_e32 v24, 20, v22
	s_or_saveexec_b32 s7, s7
                                        ; implicit-def: $sgpr8
	s_delay_alu instid0(SALU_CYCLE_1)
	s_xor_b32 exec_lo, exec_lo, s7
	s_cbranch_execz .LBB44_68
.LBB44_130:
	v_add_f32_e64 v22, 0x46000000, |v20|
	s_and_not1_b32 s6, s6, exec_lo
	s_mov_b32 s8, 0
	s_delay_alu instid0(VALU_DEP_1) | instskip(NEXT) | instid1(VALU_DEP_1)
	v_and_b32_e32 v24, 0xff, v22
	v_cmp_ne_u32_e32 vcc_lo, 0, v24
	s_and_b32 s9, vcc_lo, exec_lo
	s_delay_alu instid0(SALU_CYCLE_1)
	s_or_b32 s6, s6, s9
	s_or_b32 exec_lo, exec_lo, s7
	v_mov_b32_e32 v22, s8
	s_and_saveexec_b32 s7, s6
	s_cbranch_execnz .LBB44_69
	s_branch .LBB44_70
.LBB44_131:
	v_bfe_u32 v1, v20, 20, 1
	s_mov_b32 s6, exec_lo
	s_delay_alu instid0(VALU_DEP_1) | instskip(NEXT) | instid1(VALU_DEP_1)
	v_add3_u32 v1, v20, v1, 0x487ffff
	v_lshrrev_b32_e32 v24, 20, v1
	s_or_saveexec_b32 s7, s7
                                        ; implicit-def: $sgpr8
	s_delay_alu instid0(SALU_CYCLE_1)
	s_xor_b32 exec_lo, exec_lo, s7
	s_cbranch_execz .LBB44_74
.LBB44_132:
	v_add_f32_e64 v1, 0x46000000, |v20|
	s_and_not1_b32 s6, s6, exec_lo
	s_mov_b32 s8, 0
	s_delay_alu instid0(VALU_DEP_1) | instskip(NEXT) | instid1(VALU_DEP_1)
	v_and_b32_e32 v24, 0xff, v1
	v_cmp_ne_u32_e32 vcc_lo, 0, v24
	s_and_b32 s9, vcc_lo, exec_lo
	s_delay_alu instid0(SALU_CYCLE_1)
	s_or_b32 s6, s6, s9
	s_or_b32 exec_lo, exec_lo, s7
	v_mov_b32_e32 v1, s8
	s_and_saveexec_b32 s7, s6
	s_cbranch_execnz .LBB44_75
	s_branch .LBB44_76
.LBB44_133:
	v_bfe_u32 v18, v20, 20, 1
	s_mov_b32 s6, exec_lo
	s_delay_alu instid0(VALU_DEP_1) | instskip(NEXT) | instid1(VALU_DEP_1)
	v_add3_u32 v18, v20, v18, 0x487ffff
	v_lshrrev_b32_e32 v24, 20, v18
	s_or_saveexec_b32 s7, s7
                                        ; implicit-def: $sgpr8
	s_delay_alu instid0(SALU_CYCLE_1)
	s_xor_b32 exec_lo, exec_lo, s7
	s_cbranch_execz .LBB44_80
.LBB44_134:
	v_add_f32_e64 v18, 0x46000000, |v20|
	s_and_not1_b32 s6, s6, exec_lo
	s_mov_b32 s8, 0
	s_delay_alu instid0(VALU_DEP_1) | instskip(NEXT) | instid1(VALU_DEP_1)
	v_and_b32_e32 v24, 0xff, v18
	v_cmp_ne_u32_e32 vcc_lo, 0, v24
	s_and_b32 s9, vcc_lo, exec_lo
	s_delay_alu instid0(SALU_CYCLE_1)
	s_or_b32 s6, s6, s9
	s_or_b32 exec_lo, exec_lo, s7
	v_mov_b32_e32 v18, s8
	s_and_saveexec_b32 s7, s6
	s_cbranch_execnz .LBB44_81
	s_branch .LBB44_82
.LBB44_135:
	v_bfe_u32 v2, v20, 20, 1
	s_mov_b32 s6, exec_lo
	s_delay_alu instid0(VALU_DEP_1) | instskip(NEXT) | instid1(VALU_DEP_1)
	v_add3_u32 v2, v20, v2, 0x487ffff
	v_bfe_u32 v24, v2, 20, 8
	s_or_saveexec_b32 s7, s7
                                        ; implicit-def: $sgpr8
	s_delay_alu instid0(SALU_CYCLE_1)
	s_xor_b32 exec_lo, exec_lo, s7
	s_cbranch_execz .LBB44_86
.LBB44_136:
	v_add_f32_e64 v2, 0x46000000, |v20|
	s_and_not1_b32 s6, s6, exec_lo
	s_mov_b32 s8, 0
	s_delay_alu instid0(VALU_DEP_1) | instskip(NEXT) | instid1(VALU_DEP_1)
	v_and_b32_e32 v24, 0xff, v2
	v_cmp_ne_u32_e32 vcc_lo, 0, v24
	s_and_b32 s9, vcc_lo, exec_lo
	s_delay_alu instid0(SALU_CYCLE_1)
	s_or_b32 s6, s6, s9
	s_or_b32 exec_lo, exec_lo, s7
	v_mov_b32_e32 v2, s8
	s_and_saveexec_b32 s7, s6
	s_cbranch_execnz .LBB44_87
	s_branch .LBB44_88
.LBB44_137:
	v_bfe_u32 v17, v20, 20, 1
	s_mov_b32 s6, exec_lo
	s_delay_alu instid0(VALU_DEP_1) | instskip(NEXT) | instid1(VALU_DEP_1)
	v_add3_u32 v17, v20, v17, 0x487ffff
	v_bfe_u32 v24, v17, 20, 8
	s_or_saveexec_b32 s7, s7
                                        ; implicit-def: $sgpr8
	s_delay_alu instid0(SALU_CYCLE_1)
	s_xor_b32 exec_lo, exec_lo, s7
	s_cbranch_execz .LBB44_92
.LBB44_138:
	v_add_f32_e64 v17, 0x46000000, |v20|
	s_and_not1_b32 s6, s6, exec_lo
	s_mov_b32 s8, 0
	s_delay_alu instid0(VALU_DEP_1) | instskip(NEXT) | instid1(VALU_DEP_1)
	v_and_b32_e32 v24, 0xff, v17
	v_cmp_ne_u32_e32 vcc_lo, 0, v24
	s_and_b32 s9, vcc_lo, exec_lo
	s_delay_alu instid0(SALU_CYCLE_1)
	s_or_b32 s6, s6, s9
	s_or_b32 exec_lo, exec_lo, s7
	v_mov_b32_e32 v17, s8
	s_and_saveexec_b32 s7, s6
	s_cbranch_execnz .LBB44_93
	s_branch .LBB44_94
.LBB44_139:
	v_bfe_u32 v3, v20, 20, 1
	s_mov_b32 s6, exec_lo
	s_delay_alu instid0(VALU_DEP_1) | instskip(NEXT) | instid1(VALU_DEP_1)
	v_add3_u32 v3, v20, v3, 0x487ffff
	v_bfe_u32 v24, v3, 20, 8
	s_or_saveexec_b32 s7, s7
                                        ; implicit-def: $sgpr8
	s_delay_alu instid0(SALU_CYCLE_1)
	s_xor_b32 exec_lo, exec_lo, s7
	s_cbranch_execz .LBB44_98
.LBB44_140:
	v_add_f32_e64 v3, 0x46000000, |v20|
	s_and_not1_b32 s6, s6, exec_lo
	s_mov_b32 s8, 0
	s_delay_alu instid0(VALU_DEP_1) | instskip(NEXT) | instid1(VALU_DEP_1)
	v_and_b32_e32 v24, 0xff, v3
	v_cmp_ne_u32_e32 vcc_lo, 0, v24
	s_and_b32 s9, vcc_lo, exec_lo
	s_delay_alu instid0(SALU_CYCLE_1)
	s_or_b32 s6, s6, s9
	s_or_b32 exec_lo, exec_lo, s7
	v_mov_b32_e32 v3, s8
	s_and_saveexec_b32 s7, s6
	s_cbranch_execnz .LBB44_99
	s_branch .LBB44_100
.LBB44_141:
	v_bfe_u32 v10, v9, 20, 1
	s_mov_b32 s6, exec_lo
	s_delay_alu instid0(VALU_DEP_1) | instskip(NEXT) | instid1(VALU_DEP_1)
	v_add3_u32 v10, v9, v10, 0x487ffff
	v_bfe_u32 v10, v10, 20, 8
	s_or_saveexec_b32 s7, s7
                                        ; implicit-def: $sgpr8
	s_delay_alu instid0(SALU_CYCLE_1)
	s_xor_b32 exec_lo, exec_lo, s7
	s_cbranch_execz .LBB44_104
.LBB44_142:
	v_add_f32_e64 v10, 0x46000000, |v9|
	s_and_not1_b32 s6, s6, exec_lo
	s_mov_b32 s8, 0
	s_delay_alu instid0(VALU_DEP_1) | instskip(NEXT) | instid1(VALU_DEP_1)
	v_and_b32_e32 v10, 0xff, v10
	v_cmp_ne_u32_e32 vcc_lo, 0, v10
	s_and_b32 s9, vcc_lo, exec_lo
	s_delay_alu instid0(SALU_CYCLE_1)
	s_or_b32 s6, s6, s9
	s_or_b32 exec_lo, exec_lo, s7
	v_mov_b32_e32 v11, s8
	s_and_saveexec_b32 s7, s6
	s_cbranch_execnz .LBB44_105
	s_branch .LBB44_106
	.section	.rodata,"a",@progbits
	.p2align	6, 0x0
	.amdhsa_kernel _Z49per_token_group_quant_8bit_packed_register_kernelIN3c104HalfENS0_15Float8_e4m3fnuzELi128ELi4ELi4EEvPKT_PvPjiiiiilfff
		.amdhsa_group_segment_fixed_size 0
		.amdhsa_private_segment_fixed_size 0
		.amdhsa_kernarg_size 68
		.amdhsa_user_sgpr_count 14
		.amdhsa_user_sgpr_dispatch_ptr 0
		.amdhsa_user_sgpr_queue_ptr 0
		.amdhsa_user_sgpr_kernarg_segment_ptr 1
		.amdhsa_user_sgpr_dispatch_id 0
		.amdhsa_user_sgpr_private_segment_size 0
		.amdhsa_wavefront_size32 1
		.amdhsa_uses_dynamic_stack 0
		.amdhsa_enable_private_segment 0
		.amdhsa_system_sgpr_workgroup_id_x 1
		.amdhsa_system_sgpr_workgroup_id_y 1
		.amdhsa_system_sgpr_workgroup_id_z 0
		.amdhsa_system_sgpr_workgroup_info 0
		.amdhsa_system_vgpr_workitem_id 0
		.amdhsa_next_free_vgpr 27
		.amdhsa_next_free_sgpr 16
		.amdhsa_reserve_vcc 1
		.amdhsa_float_round_mode_32 0
		.amdhsa_float_round_mode_16_64 0
		.amdhsa_float_denorm_mode_32 3
		.amdhsa_float_denorm_mode_16_64 3
		.amdhsa_dx10_clamp 1
		.amdhsa_ieee_mode 1
		.amdhsa_fp16_overflow 0
		.amdhsa_workgroup_processor_mode 1
		.amdhsa_memory_ordered 1
		.amdhsa_forward_progress 0
		.amdhsa_shared_vgpr_count 0
		.amdhsa_exception_fp_ieee_invalid_op 0
		.amdhsa_exception_fp_denorm_src 0
		.amdhsa_exception_fp_ieee_div_zero 0
		.amdhsa_exception_fp_ieee_overflow 0
		.amdhsa_exception_fp_ieee_underflow 0
		.amdhsa_exception_fp_ieee_inexact 0
		.amdhsa_exception_int_div_zero 0
	.end_amdhsa_kernel
	.section	.text._Z49per_token_group_quant_8bit_packed_register_kernelIN3c104HalfENS0_15Float8_e4m3fnuzELi128ELi4ELi4EEvPKT_PvPjiiiiilfff,"axG",@progbits,_Z49per_token_group_quant_8bit_packed_register_kernelIN3c104HalfENS0_15Float8_e4m3fnuzELi128ELi4ELi4EEvPKT_PvPjiiiiilfff,comdat
.Lfunc_end44:
	.size	_Z49per_token_group_quant_8bit_packed_register_kernelIN3c104HalfENS0_15Float8_e4m3fnuzELi128ELi4ELi4EEvPKT_PvPjiiiiilfff, .Lfunc_end44-_Z49per_token_group_quant_8bit_packed_register_kernelIN3c104HalfENS0_15Float8_e4m3fnuzELi128ELi4ELi4EEvPKT_PvPjiiiiilfff
                                        ; -- End function
	.section	.AMDGPU.csdata,"",@progbits
; Kernel info:
; codeLenInByte = 5632
; NumSgprs: 18
; NumVgprs: 27
; ScratchSize: 0
; MemoryBound: 0
; FloatMode: 240
; IeeeMode: 1
; LDSByteSize: 0 bytes/workgroup (compile time only)
; SGPRBlocks: 2
; VGPRBlocks: 3
; NumSGPRsForWavesPerEU: 18
; NumVGPRsForWavesPerEU: 27
; Occupancy: 16
; WaveLimiterHint : 0
; COMPUTE_PGM_RSRC2:SCRATCH_EN: 0
; COMPUTE_PGM_RSRC2:USER_SGPR: 14
; COMPUTE_PGM_RSRC2:TRAP_HANDLER: 0
; COMPUTE_PGM_RSRC2:TGID_X_EN: 1
; COMPUTE_PGM_RSRC2:TGID_Y_EN: 1
; COMPUTE_PGM_RSRC2:TGID_Z_EN: 0
; COMPUTE_PGM_RSRC2:TIDIG_COMP_CNT: 0
	.section	.text._Z49per_token_group_quant_8bit_packed_register_kernelIN3c108BFloat16EaLi128ELi16ELi1EEvPKT_PvPjiiiiilfff,"axG",@progbits,_Z49per_token_group_quant_8bit_packed_register_kernelIN3c108BFloat16EaLi128ELi16ELi1EEvPKT_PvPjiiiiilfff,comdat
	.protected	_Z49per_token_group_quant_8bit_packed_register_kernelIN3c108BFloat16EaLi128ELi16ELi1EEvPKT_PvPjiiiiilfff ; -- Begin function _Z49per_token_group_quant_8bit_packed_register_kernelIN3c108BFloat16EaLi128ELi16ELi1EEvPKT_PvPjiiiiilfff
	.globl	_Z49per_token_group_quant_8bit_packed_register_kernelIN3c108BFloat16EaLi128ELi16ELi1EEvPKT_PvPjiiiiilfff
	.p2align	8
	.type	_Z49per_token_group_quant_8bit_packed_register_kernelIN3c108BFloat16EaLi128ELi16ELi1EEvPKT_PvPjiiiiilfff,@function
_Z49per_token_group_quant_8bit_packed_register_kernelIN3c108BFloat16EaLi128ELi16ELi1EEvPKT_PvPjiiiiilfff: ; @_Z49per_token_group_quant_8bit_packed_register_kernelIN3c108BFloat16EaLi128ELi16ELi1EEvPKT_PvPjiiiiilfff
; %bb.0:
	s_load_b128 s[4:7], s[0:1], 0x1c
	v_lshrrev_b32_e32 v1, 7, v0
	s_mov_b32 s2, exec_lo
	s_delay_alu instid0(VALU_DEP_1) | instskip(SKIP_1) | instid1(VALU_DEP_1)
	v_add_nc_u32_e32 v4, s15, v1
	s_waitcnt lgkmcnt(0)
	v_cmpx_gt_i32_e64 s7, v4
	s_cbranch_execz .LBB45_14
; %bb.1:
	s_load_b128 s[8:11], s[0:1], 0x38
	v_lshrrev_b32_e32 v1, 3, v0
	s_lshl_b32 s3, s14, 4
	v_cmp_gt_i32_e64 s2, s5, v4
	v_dual_mov_b32 v6, 0 :: v_dual_and_b32 v7, 7, v0
	s_delay_alu instid0(VALU_DEP_3) | instskip(SKIP_3) | instid1(VALU_DEP_4)
	v_and_or_b32 v2, v1, 15, s3
	v_ashrrev_i32_e32 v8, 31, v4
	v_dual_mov_b32 v9, 0 :: v_dual_mov_b32 v10, 0
	v_dual_mov_b32 v11, 0 :: v_dual_mov_b32 v12, 0
	v_cmp_gt_i32_e64 s3, s4, v2
	v_dual_mov_b32 v13, 0 :: v_dual_mov_b32 v14, 0
	v_dual_mov_b32 v15, 0 :: v_dual_mov_b32 v16, 0
	;; [unrolled: 1-line block ×3, first 2 shown]
	s_waitcnt lgkmcnt(0)
	v_dual_mov_b32 v0, s8 :: v_dual_lshlrev_b32 v5, 7, v2
	v_dual_mov_b32 v19, 0 :: v_dual_mov_b32 v20, 0
	v_dual_mov_b32 v21, 0 :: v_dual_mov_b32 v22, 0
	v_mov_b32_e32 v23, 0
	s_and_b32 s5, s2, s3
	s_delay_alu instid0(SALU_CYCLE_1)
	s_and_saveexec_b32 s11, s5
	s_cbranch_execz .LBB45_3
; %bb.2:
	s_load_b64 s[12:13], s[0:1], 0x0
	v_lshlrev_b32_e32 v3, 8, v4
	v_alignbit_b32 v0, v8, v4, 24
	s_ashr_i32 s14, s4, 31
	v_ashrrev_i32_e32 v6, 31, v5
	s_delay_alu instid0(VALU_DEP_3) | instskip(NEXT) | instid1(VALU_DEP_3)
	v_mul_lo_u32 v11, v3, s14
	v_mul_lo_u32 v12, v0, s4
	s_delay_alu instid0(VALU_DEP_3) | instskip(SKIP_3) | instid1(VALU_DEP_2)
	v_lshlrev_b64 v[9:10], 1, v[5:6]
	s_waitcnt lgkmcnt(0)
	v_mad_u64_u32 v[0:1], null, v3, s4, s[12:13]
	v_lshlrev_b32_e32 v3, 5, v7
	v_add3_u32 v1, v12, v1, v11
	s_delay_alu instid0(VALU_DEP_3) | instskip(NEXT) | instid1(VALU_DEP_2)
	v_add_co_u32 v0, vcc_lo, v0, v9
	v_add_co_ci_u32_e32 v1, vcc_lo, v1, v10, vcc_lo
	s_delay_alu instid0(VALU_DEP_2) | instskip(NEXT) | instid1(VALU_DEP_2)
	v_add_co_u32 v0, vcc_lo, v0, v3
	v_add_co_ci_u32_e32 v1, vcc_lo, 0, v1, vcc_lo
	s_clause 0x1
	global_load_b128 v[9:12], v[0:1], off
	global_load_b128 v[24:27], v[0:1], off offset:16
	s_waitcnt vmcnt(1)
	v_lshlrev_b32_e32 v22, 16, v9
	v_and_b32_e32 v23, 0xffff0000, v9
	v_lshlrev_b32_e32 v21, 16, v10
	v_and_b32_e32 v20, 0xffff0000, v10
	;; [unrolled: 2-line block ×3, first 2 shown]
	v_max3_f32 v0, s8, |v22|, |v23|
	v_lshlrev_b32_e32 v17, 16, v12
	v_and_b32_e32 v16, 0xffff0000, v12
	s_waitcnt vmcnt(0)
	v_lshlrev_b32_e32 v14, 16, v24
	v_and_b32_e32 v15, 0xffff0000, v24
	v_max3_f32 v0, v0, |v21|, |v20|
	v_lshlrev_b32_e32 v13, 16, v25
	v_and_b32_e32 v12, 0xffff0000, v25
	v_lshlrev_b32_e32 v10, 16, v26
	v_and_b32_e32 v11, 0xffff0000, v26
	v_max3_f32 v0, v0, |v18|, |v19|
	v_lshlrev_b32_e32 v6, 16, v27
	v_and_b32_e32 v9, 0xffff0000, v27
	s_delay_alu instid0(VALU_DEP_3) | instskip(NEXT) | instid1(VALU_DEP_1)
	v_max3_f32 v0, v0, |v17|, |v16|
	v_max3_f32 v0, v0, |v14|, |v15|
	s_delay_alu instid0(VALU_DEP_1) | instskip(NEXT) | instid1(VALU_DEP_1)
	v_max3_f32 v0, v0, |v13|, |v12|
	v_max3_f32 v0, v0, |v10|, |v11|
	s_delay_alu instid0(VALU_DEP_1)
	v_max3_f32 v0, v0, |v6|, |v9|
.LBB45_3:
	s_or_b32 exec_lo, exec_lo, s11
	v_mbcnt_lo_u32_b32 v1, -1, 0
	s_xor_b32 s8, s5, -1
	s_mov_b32 s11, exec_lo
	s_delay_alu instid0(VALU_DEP_1) | instskip(SKIP_2) | instid1(VALU_DEP_2)
	v_xor_b32_e32 v24, 4, v1
	v_and_b32_e32 v3, 24, v1
	v_xor_b32_e32 v25, 2, v1
	v_add_nc_u32_e32 v3, 8, v3
	s_delay_alu instid0(VALU_DEP_1) | instskip(SKIP_1) | instid1(VALU_DEP_1)
	v_cmp_lt_i32_e32 vcc_lo, v24, v3
	v_cndmask_b32_e32 v24, v1, v24, vcc_lo
	v_lshlrev_b32_e32 v24, 2, v24
	ds_bpermute_b32 v24, v24, v0
	v_max_f32_e32 v0, v0, v0
	v_cmp_lt_i32_e32 vcc_lo, v25, v3
	v_cndmask_b32_e32 v25, v1, v25, vcc_lo
	s_waitcnt lgkmcnt(0)
	s_delay_alu instid0(VALU_DEP_1) | instskip(NEXT) | instid1(VALU_DEP_1)
	v_dual_max_f32 v24, v24, v24 :: v_dual_lshlrev_b32 v25, 2, v25
	v_max_f32_e32 v0, v0, v24
	ds_bpermute_b32 v24, v25, v0
	v_xor_b32_e32 v25, 1, v1
	s_delay_alu instid0(VALU_DEP_1) | instskip(SKIP_3) | instid1(VALU_DEP_1)
	v_cmp_lt_i32_e32 vcc_lo, v25, v3
	v_cndmask_b32_e32 v1, v1, v25, vcc_lo
	s_waitcnt lgkmcnt(0)
	v_max_f32_e32 v3, v24, v24
	v_dual_max_f32 v0, v0, v3 :: v_dual_lshlrev_b32 v1, 2, v1
	ds_bpermute_b32 v1, v1, v0
	s_waitcnt lgkmcnt(0)
	v_max_f32_e32 v1, v1, v1
	s_delay_alu instid0(VALU_DEP_1) | instskip(NEXT) | instid1(VALU_DEP_1)
	v_max_f32_e32 v0, v0, v1
	v_div_scale_f32 v1, null, s10, s10, v0
	v_div_scale_f32 v25, vcc_lo, v0, s10, v0
	s_delay_alu instid0(VALU_DEP_2) | instskip(SKIP_2) | instid1(VALU_DEP_1)
	v_rcp_f32_e32 v3, v1
	s_waitcnt_depctr 0xfff
	v_fma_f32 v24, -v1, v3, 1.0
	v_fmac_f32_e32 v3, v24, v3
	s_delay_alu instid0(VALU_DEP_1) | instskip(NEXT) | instid1(VALU_DEP_1)
	v_mul_f32_e32 v24, v25, v3
	v_fma_f32 v26, -v1, v24, v25
	s_delay_alu instid0(VALU_DEP_1) | instskip(NEXT) | instid1(VALU_DEP_1)
	v_fmac_f32_e32 v24, v26, v3
	v_fma_f32 v1, -v1, v24, v25
	s_delay_alu instid0(VALU_DEP_1) | instskip(NEXT) | instid1(VALU_DEP_1)
	v_div_fmas_f32 v1, v1, v3, v24
	v_div_fixup_f32 v0, v1, s10, v0
	s_delay_alu instid0(VALU_DEP_1) | instskip(NEXT) | instid1(VALU_DEP_1)
	v_max_f32_e32 v0, 0x2edbe6ff, v0
	v_and_b32_e32 v1, 0x7fffff, v0
	v_lshrrev_b32_e32 v0, 23, v0
	s_delay_alu instid0(VALU_DEP_2) | instskip(NEXT) | instid1(VALU_DEP_2)
	v_cmp_ne_u32_e32 vcc_lo, 0, v1
	v_add_co_ci_u32_e32 v24, vcc_lo, 0, v0, vcc_lo
	v_cmpx_eq_u32_e32 0, v7
	s_cbranch_execz .LBB45_8
; %bb.4:
	v_ashrrev_i32_e32 v0, 31, v2
	s_delay_alu instid0(VALU_DEP_1) | instskip(NEXT) | instid1(VALU_DEP_1)
	v_lshrrev_b32_e32 v0, 30, v0
	v_add_nc_u32_e32 v0, v2, v0
	s_delay_alu instid0(VALU_DEP_1) | instskip(NEXT) | instid1(VALU_DEP_1)
	v_ashrrev_i32_e32 v3, 2, v0
	v_mad_u64_u32 v[0:1], null, v3, s7, v[4:5]
	v_mov_b32_e32 v1, v24
	s_and_saveexec_b32 s7, s8
	s_cbranch_execz .LBB45_6
; %bb.5:
	s_load_b64 s[12:13], s[0:1], 0x30
	s_delay_alu instid0(VALU_DEP_2) | instskip(SKIP_2) | instid1(VALU_DEP_1)
	v_ashrrev_i32_e32 v1, 31, v0
	s_and_not1_b32 s5, s5, exec_lo
	s_waitcnt lgkmcnt(0)
	v_cmp_gt_i64_e32 vcc_lo, s[12:13], v[0:1]
	v_mov_b32_e32 v1, 0
	s_and_b32 s12, vcc_lo, exec_lo
	s_delay_alu instid0(SALU_CYCLE_1)
	s_or_b32 s5, s5, s12
.LBB45_6:
	s_or_b32 exec_lo, exec_lo, s7
	s_delay_alu instid0(SALU_CYCLE_1)
	s_and_b32 exec_lo, exec_lo, s5
	s_cbranch_execz .LBB45_8
; %bb.7:
	s_load_b64 s[12:13], s[0:1], 0x10
	v_lshlrev_b32_e32 v3, 2, v3
	s_delay_alu instid0(VALU_DEP_1) | instskip(NEXT) | instid1(VALU_DEP_1)
	v_sub_nc_u32_e32 v2, v2, v3
	v_lshl_add_u32 v0, v0, 2, v2
	s_delay_alu instid0(VALU_DEP_1) | instskip(SKIP_2) | instid1(VALU_DEP_2)
	v_ashrrev_i32_e32 v3, 31, v0
	s_waitcnt lgkmcnt(0)
	v_add_co_u32 v2, vcc_lo, s12, v0
	v_add_co_ci_u32_e32 v3, vcc_lo, s13, v3, vcc_lo
	global_store_b8 v[2:3], v1, off
.LBB45_8:
	s_or_b32 exec_lo, exec_lo, s11
	s_mov_b32 s5, 0
                                        ; implicit-def: $sgpr7
	s_and_saveexec_b32 s11, s8
	s_delay_alu instid0(SALU_CYCLE_1)
	s_xor_b32 s8, exec_lo, s11
; %bb.9:
	v_cmp_gt_i32_e32 vcc_lo, s6, v4
	s_xor_b32 s2, s2, -1
	s_mov_b32 s7, 0
                                        ; implicit-def: $vgpr6
                                        ; implicit-def: $vgpr9
                                        ; implicit-def: $vgpr10
                                        ; implicit-def: $vgpr11
                                        ; implicit-def: $vgpr13
                                        ; implicit-def: $vgpr12
                                        ; implicit-def: $vgpr14
                                        ; implicit-def: $vgpr15
                                        ; implicit-def: $vgpr17
                                        ; implicit-def: $vgpr16
                                        ; implicit-def: $vgpr18
                                        ; implicit-def: $vgpr19
                                        ; implicit-def: $vgpr21
                                        ; implicit-def: $vgpr20
                                        ; implicit-def: $vgpr22
                                        ; implicit-def: $vgpr23
                                        ; implicit-def: $vgpr24
	s_and_b32 s2, vcc_lo, s2
	s_delay_alu instid0(SALU_CYCLE_1) | instskip(NEXT) | instid1(SALU_CYCLE_1)
	s_and_b32 s2, s3, s2
	s_and_b32 s5, s2, exec_lo
; %bb.10:
	s_or_saveexec_b32 s2, s8
	v_dual_mov_b32 v3, s7 :: v_dual_mov_b32 v2, s7
	v_dual_mov_b32 v1, s7 :: v_dual_mov_b32 v0, s7
	s_xor_b32 exec_lo, exec_lo, s2
	s_cbranch_execz .LBB45_12
; %bb.11:
	v_lshlrev_b32_e32 v0, 23, v24
	s_or_b32 s5, s5, exec_lo
	s_delay_alu instid0(VALU_DEP_1) | instskip(NEXT) | instid1(VALU_DEP_1)
	v_and_b32_e32 v0, 0x7f800000, v0
	v_div_scale_f32 v1, null, v0, v0, 1.0
	v_div_scale_f32 v24, vcc_lo, 1.0, v0, 1.0
	s_delay_alu instid0(VALU_DEP_2) | instskip(SKIP_2) | instid1(VALU_DEP_1)
	v_rcp_f32_e32 v2, v1
	s_waitcnt_depctr 0xfff
	v_fma_f32 v3, -v1, v2, 1.0
	v_fmac_f32_e32 v2, v3, v2
	s_delay_alu instid0(VALU_DEP_1) | instskip(NEXT) | instid1(VALU_DEP_1)
	v_mul_f32_e32 v3, v24, v2
	v_fma_f32 v25, -v1, v3, v24
	s_delay_alu instid0(VALU_DEP_1) | instskip(NEXT) | instid1(VALU_DEP_1)
	v_fmac_f32_e32 v3, v25, v2
	v_fma_f32 v1, -v1, v3, v24
	s_delay_alu instid0(VALU_DEP_1) | instskip(SKIP_1) | instid1(VALU_DEP_2)
	v_div_fmas_f32 v1, v1, v2, v3
	v_max_f32_e64 v2, s10, s10
	v_div_fixup_f32 v0, v1, v0, 1.0
	v_max_f32_e64 v1, s9, s9
	s_delay_alu instid0(VALU_DEP_2)
	v_mul_f32_e32 v21, v0, v21
	v_mul_f32_e32 v6, v0, v6
	;; [unrolled: 1-line block ×6, first 2 shown]
	v_maxmin_f32 v6, v6, v1, v2
	v_mul_f32_e32 v3, v0, v22
	v_maxmin_f32 v19, v19, v1, v2
	v_maxmin_f32 v15, v15, v1, v2
	;; [unrolled: 1-line block ×3, first 2 shown]
	v_cvt_i32_f32_e32 v6, v6
	v_mul_f32_e32 v17, v0, v17
	v_maxmin_f32 v11, v11, v1, v2
	v_mul_f32_e32 v20, v0, v20
	v_mul_f32_e32 v10, v0, v10
	v_and_b32_e32 v6, 0xff, v6
	v_maxmin_f32 v17, v17, v1, v2
	v_cvt_i32_f32_e32 v19, v19
	v_mul_f32_e32 v18, v0, v18
	v_cvt_i32_f32_e32 v15, v15
	v_mul_f32_e32 v16, v0, v16
	;; [unrolled: 2-line block ×5, first 2 shown]
	v_mul_f32_e32 v0, v0, v9
	v_and_b32_e32 v17, 0xff, v17
	v_maxmin_f32 v9, v22, v1, v2
	v_and_b32_e32 v11, 0xff, v11
	v_maxmin_f32 v3, v3, v1, v2
	v_maxmin_f32 v21, v21, v1, v2
	;; [unrolled: 1-line block ×6, first 2 shown]
	v_and_b32_e32 v19, 0xff, v19
	v_maxmin_f32 v18, v18, v1, v2
	v_and_b32_e32 v15, 0xff, v15
	v_maxmin_f32 v16, v16, v1, v2
	;; [unrolled: 2-line block ×3, first 2 shown]
	v_cvt_i32_f32_e32 v2, v9
	v_cvt_i32_f32_e32 v1, v3
	;; [unrolled: 1-line block ×6, first 2 shown]
	v_and_b32_e32 v2, 0xff, v2
	v_and_b32_e32 v3, 0xff, v3
	v_cvt_i32_f32_e32 v9, v20
	v_perm_b32 v14, v15, v14, 0x6050400
	v_perm_b32 v10, v11, v10, 0x6050400
	;; [unrolled: 1-line block ×4, first 2 shown]
	v_cvt_i32_f32_e32 v16, v16
	v_cvt_i32_f32_e32 v12, v12
	v_cvt_i32_f32_e32 v11, v0
	v_lshl_or_b32 v0, v3, 16, v1
	v_lshl_or_b32 v1, v17, 16, v2
	;; [unrolled: 1-line block ×4, first 2 shown]
	s_delay_alu instid0(VALU_DEP_4) | instskip(NEXT) | instid1(VALU_DEP_4)
	v_lshl_or_b32 v0, v9, 24, v0
	v_lshl_or_b32 v1, v16, 24, v1
	s_delay_alu instid0(VALU_DEP_4) | instskip(NEXT) | instid1(VALU_DEP_4)
	v_lshl_or_b32 v2, v12, 24, v2
	v_lshl_or_b32 v3, v11, 24, v3
.LBB45_12:
	s_or_b32 exec_lo, exec_lo, s2
	s_delay_alu instid0(SALU_CYCLE_1)
	s_and_b32 exec_lo, exec_lo, s5
	s_cbranch_execz .LBB45_14
; %bb.13:
	s_load_b64 s[0:1], s[0:1], 0x8
	v_lshlrev_b32_e32 v6, 7, v4
	v_alignbit_b32 v4, v8, v4, 25
	s_ashr_i32 s2, s4, 31
	v_lshlrev_b32_e32 v7, 4, v7
	s_delay_alu instid0(VALU_DEP_3) | instskip(NEXT) | instid1(VALU_DEP_3)
	v_mul_lo_u32 v10, v6, s2
	v_mul_lo_u32 v4, v4, s4
	s_waitcnt lgkmcnt(0)
	v_mad_u64_u32 v[8:9], null, v6, s4, s[0:1]
	v_ashrrev_i32_e32 v6, 31, v5
	s_delay_alu instid0(VALU_DEP_2) | instskip(NEXT) | instid1(VALU_DEP_3)
	v_add3_u32 v4, v4, v9, v10
	v_add_co_u32 v5, vcc_lo, v8, v5
	s_delay_alu instid0(VALU_DEP_2) | instskip(NEXT) | instid1(VALU_DEP_2)
	v_add_co_ci_u32_e32 v6, vcc_lo, v4, v6, vcc_lo
	v_add_co_u32 v4, vcc_lo, v5, v7
	s_delay_alu instid0(VALU_DEP_2)
	v_add_co_ci_u32_e32 v5, vcc_lo, 0, v6, vcc_lo
	global_store_b128 v[4:5], v[0:3], off
.LBB45_14:
	s_nop 0
	s_sendmsg sendmsg(MSG_DEALLOC_VGPRS)
	s_endpgm
	.section	.rodata,"a",@progbits
	.p2align	6, 0x0
	.amdhsa_kernel _Z49per_token_group_quant_8bit_packed_register_kernelIN3c108BFloat16EaLi128ELi16ELi1EEvPKT_PvPjiiiiilfff
		.amdhsa_group_segment_fixed_size 0
		.amdhsa_private_segment_fixed_size 0
		.amdhsa_kernarg_size 68
		.amdhsa_user_sgpr_count 14
		.amdhsa_user_sgpr_dispatch_ptr 0
		.amdhsa_user_sgpr_queue_ptr 0
		.amdhsa_user_sgpr_kernarg_segment_ptr 1
		.amdhsa_user_sgpr_dispatch_id 0
		.amdhsa_user_sgpr_private_segment_size 0
		.amdhsa_wavefront_size32 1
		.amdhsa_uses_dynamic_stack 0
		.amdhsa_enable_private_segment 0
		.amdhsa_system_sgpr_workgroup_id_x 1
		.amdhsa_system_sgpr_workgroup_id_y 1
		.amdhsa_system_sgpr_workgroup_id_z 0
		.amdhsa_system_sgpr_workgroup_info 0
		.amdhsa_system_vgpr_workitem_id 0
		.amdhsa_next_free_vgpr 28
		.amdhsa_next_free_sgpr 16
		.amdhsa_reserve_vcc 1
		.amdhsa_float_round_mode_32 0
		.amdhsa_float_round_mode_16_64 0
		.amdhsa_float_denorm_mode_32 3
		.amdhsa_float_denorm_mode_16_64 3
		.amdhsa_dx10_clamp 1
		.amdhsa_ieee_mode 1
		.amdhsa_fp16_overflow 0
		.amdhsa_workgroup_processor_mode 1
		.amdhsa_memory_ordered 1
		.amdhsa_forward_progress 0
		.amdhsa_shared_vgpr_count 0
		.amdhsa_exception_fp_ieee_invalid_op 0
		.amdhsa_exception_fp_denorm_src 0
		.amdhsa_exception_fp_ieee_div_zero 0
		.amdhsa_exception_fp_ieee_overflow 0
		.amdhsa_exception_fp_ieee_underflow 0
		.amdhsa_exception_fp_ieee_inexact 0
		.amdhsa_exception_int_div_zero 0
	.end_amdhsa_kernel
	.section	.text._Z49per_token_group_quant_8bit_packed_register_kernelIN3c108BFloat16EaLi128ELi16ELi1EEvPKT_PvPjiiiiilfff,"axG",@progbits,_Z49per_token_group_quant_8bit_packed_register_kernelIN3c108BFloat16EaLi128ELi16ELi1EEvPKT_PvPjiiiiilfff,comdat
.Lfunc_end45:
	.size	_Z49per_token_group_quant_8bit_packed_register_kernelIN3c108BFloat16EaLi128ELi16ELi1EEvPKT_PvPjiiiiilfff, .Lfunc_end45-_Z49per_token_group_quant_8bit_packed_register_kernelIN3c108BFloat16EaLi128ELi16ELi1EEvPKT_PvPjiiiiilfff
                                        ; -- End function
	.section	.AMDGPU.csdata,"",@progbits
; Kernel info:
; codeLenInByte = 1752
; NumSgprs: 18
; NumVgprs: 28
; ScratchSize: 0
; MemoryBound: 0
; FloatMode: 240
; IeeeMode: 1
; LDSByteSize: 0 bytes/workgroup (compile time only)
; SGPRBlocks: 2
; VGPRBlocks: 3
; NumSGPRsForWavesPerEU: 18
; NumVGPRsForWavesPerEU: 28
; Occupancy: 16
; WaveLimiterHint : 0
; COMPUTE_PGM_RSRC2:SCRATCH_EN: 0
; COMPUTE_PGM_RSRC2:USER_SGPR: 14
; COMPUTE_PGM_RSRC2:TRAP_HANDLER: 0
; COMPUTE_PGM_RSRC2:TGID_X_EN: 1
; COMPUTE_PGM_RSRC2:TGID_Y_EN: 1
; COMPUTE_PGM_RSRC2:TGID_Z_EN: 0
; COMPUTE_PGM_RSRC2:TIDIG_COMP_CNT: 0
	.section	.text._Z49per_token_group_quant_8bit_packed_register_kernelIN3c108BFloat16EaLi128ELi8ELi2EEvPKT_PvPjiiiiilfff,"axG",@progbits,_Z49per_token_group_quant_8bit_packed_register_kernelIN3c108BFloat16EaLi128ELi8ELi2EEvPKT_PvPjiiiiilfff,comdat
	.protected	_Z49per_token_group_quant_8bit_packed_register_kernelIN3c108BFloat16EaLi128ELi8ELi2EEvPKT_PvPjiiiiilfff ; -- Begin function _Z49per_token_group_quant_8bit_packed_register_kernelIN3c108BFloat16EaLi128ELi8ELi2EEvPKT_PvPjiiiiilfff
	.globl	_Z49per_token_group_quant_8bit_packed_register_kernelIN3c108BFloat16EaLi128ELi8ELi2EEvPKT_PvPjiiiiilfff
	.p2align	8
	.type	_Z49per_token_group_quant_8bit_packed_register_kernelIN3c108BFloat16EaLi128ELi8ELi2EEvPKT_PvPjiiiiilfff,@function
_Z49per_token_group_quant_8bit_packed_register_kernelIN3c108BFloat16EaLi128ELi8ELi2EEvPKT_PvPjiiiiilfff: ; @_Z49per_token_group_quant_8bit_packed_register_kernelIN3c108BFloat16EaLi128ELi8ELi2EEvPKT_PvPjiiiiilfff
; %bb.0:
	s_load_b128 s[4:7], s[0:1], 0x1c
	v_lshrrev_b32_e32 v1, 6, v0
	s_mov_b32 s2, exec_lo
	s_delay_alu instid0(VALU_DEP_1) | instskip(SKIP_1) | instid1(VALU_DEP_1)
	v_lshl_add_u32 v4, s15, 1, v1
	s_waitcnt lgkmcnt(0)
	v_cmpx_gt_i32_e64 s7, v4
	s_cbranch_execz .LBB46_14
; %bb.1:
	s_load_b128 s[8:11], s[0:1], 0x38
	v_lshrrev_b32_e32 v1, 3, v0
	s_lshl_b32 s3, s14, 3
	v_cmp_gt_i32_e64 s2, s5, v4
	v_dual_mov_b32 v6, 0 :: v_dual_and_b32 v7, 7, v0
	s_delay_alu instid0(VALU_DEP_3) | instskip(SKIP_3) | instid1(VALU_DEP_4)
	v_and_or_b32 v2, v1, 7, s3
	v_ashrrev_i32_e32 v8, 31, v4
	v_dual_mov_b32 v9, 0 :: v_dual_mov_b32 v10, 0
	v_dual_mov_b32 v11, 0 :: v_dual_mov_b32 v12, 0
	v_cmp_gt_i32_e64 s3, s4, v2
	v_dual_mov_b32 v13, 0 :: v_dual_mov_b32 v14, 0
	v_dual_mov_b32 v15, 0 :: v_dual_mov_b32 v16, 0
	;; [unrolled: 1-line block ×3, first 2 shown]
	s_waitcnt lgkmcnt(0)
	v_dual_mov_b32 v0, s8 :: v_dual_lshlrev_b32 v5, 7, v2
	v_dual_mov_b32 v19, 0 :: v_dual_mov_b32 v20, 0
	v_dual_mov_b32 v21, 0 :: v_dual_mov_b32 v22, 0
	v_mov_b32_e32 v23, 0
	s_and_b32 s5, s2, s3
	s_delay_alu instid0(SALU_CYCLE_1)
	s_and_saveexec_b32 s11, s5
	s_cbranch_execz .LBB46_3
; %bb.2:
	s_load_b64 s[12:13], s[0:1], 0x0
	v_lshlrev_b32_e32 v3, 8, v4
	v_alignbit_b32 v0, v8, v4, 24
	s_ashr_i32 s14, s4, 31
	v_ashrrev_i32_e32 v6, 31, v5
	s_delay_alu instid0(VALU_DEP_3) | instskip(NEXT) | instid1(VALU_DEP_3)
	v_mul_lo_u32 v11, v3, s14
	v_mul_lo_u32 v12, v0, s4
	s_delay_alu instid0(VALU_DEP_3) | instskip(SKIP_3) | instid1(VALU_DEP_2)
	v_lshlrev_b64 v[9:10], 1, v[5:6]
	s_waitcnt lgkmcnt(0)
	v_mad_u64_u32 v[0:1], null, v3, s4, s[12:13]
	v_lshlrev_b32_e32 v3, 5, v7
	v_add3_u32 v1, v12, v1, v11
	s_delay_alu instid0(VALU_DEP_3) | instskip(NEXT) | instid1(VALU_DEP_2)
	v_add_co_u32 v0, vcc_lo, v0, v9
	v_add_co_ci_u32_e32 v1, vcc_lo, v1, v10, vcc_lo
	s_delay_alu instid0(VALU_DEP_2) | instskip(NEXT) | instid1(VALU_DEP_2)
	v_add_co_u32 v0, vcc_lo, v0, v3
	v_add_co_ci_u32_e32 v1, vcc_lo, 0, v1, vcc_lo
	s_clause 0x1
	global_load_b128 v[9:12], v[0:1], off
	global_load_b128 v[24:27], v[0:1], off offset:16
	s_waitcnt vmcnt(1)
	v_lshlrev_b32_e32 v22, 16, v9
	v_and_b32_e32 v23, 0xffff0000, v9
	v_lshlrev_b32_e32 v21, 16, v10
	v_and_b32_e32 v20, 0xffff0000, v10
	;; [unrolled: 2-line block ×3, first 2 shown]
	v_max3_f32 v0, s8, |v22|, |v23|
	v_lshlrev_b32_e32 v17, 16, v12
	v_and_b32_e32 v16, 0xffff0000, v12
	s_waitcnt vmcnt(0)
	v_lshlrev_b32_e32 v14, 16, v24
	v_and_b32_e32 v15, 0xffff0000, v24
	v_max3_f32 v0, v0, |v21|, |v20|
	v_lshlrev_b32_e32 v13, 16, v25
	v_and_b32_e32 v12, 0xffff0000, v25
	v_lshlrev_b32_e32 v10, 16, v26
	v_and_b32_e32 v11, 0xffff0000, v26
	v_max3_f32 v0, v0, |v18|, |v19|
	v_lshlrev_b32_e32 v6, 16, v27
	v_and_b32_e32 v9, 0xffff0000, v27
	s_delay_alu instid0(VALU_DEP_3) | instskip(NEXT) | instid1(VALU_DEP_1)
	v_max3_f32 v0, v0, |v17|, |v16|
	v_max3_f32 v0, v0, |v14|, |v15|
	s_delay_alu instid0(VALU_DEP_1) | instskip(NEXT) | instid1(VALU_DEP_1)
	v_max3_f32 v0, v0, |v13|, |v12|
	v_max3_f32 v0, v0, |v10|, |v11|
	s_delay_alu instid0(VALU_DEP_1)
	v_max3_f32 v0, v0, |v6|, |v9|
.LBB46_3:
	s_or_b32 exec_lo, exec_lo, s11
	v_mbcnt_lo_u32_b32 v1, -1, 0
	s_xor_b32 s8, s5, -1
	s_mov_b32 s11, exec_lo
	s_delay_alu instid0(VALU_DEP_1) | instskip(SKIP_2) | instid1(VALU_DEP_2)
	v_xor_b32_e32 v24, 4, v1
	v_and_b32_e32 v3, 24, v1
	v_xor_b32_e32 v25, 2, v1
	v_add_nc_u32_e32 v3, 8, v3
	s_delay_alu instid0(VALU_DEP_1) | instskip(SKIP_1) | instid1(VALU_DEP_1)
	v_cmp_lt_i32_e32 vcc_lo, v24, v3
	v_cndmask_b32_e32 v24, v1, v24, vcc_lo
	v_lshlrev_b32_e32 v24, 2, v24
	ds_bpermute_b32 v24, v24, v0
	v_max_f32_e32 v0, v0, v0
	v_cmp_lt_i32_e32 vcc_lo, v25, v3
	v_cndmask_b32_e32 v25, v1, v25, vcc_lo
	s_waitcnt lgkmcnt(0)
	s_delay_alu instid0(VALU_DEP_1) | instskip(NEXT) | instid1(VALU_DEP_1)
	v_dual_max_f32 v24, v24, v24 :: v_dual_lshlrev_b32 v25, 2, v25
	v_max_f32_e32 v0, v0, v24
	ds_bpermute_b32 v24, v25, v0
	v_xor_b32_e32 v25, 1, v1
	s_delay_alu instid0(VALU_DEP_1) | instskip(SKIP_3) | instid1(VALU_DEP_1)
	v_cmp_lt_i32_e32 vcc_lo, v25, v3
	v_cndmask_b32_e32 v1, v1, v25, vcc_lo
	s_waitcnt lgkmcnt(0)
	v_max_f32_e32 v3, v24, v24
	v_dual_max_f32 v0, v0, v3 :: v_dual_lshlrev_b32 v1, 2, v1
	ds_bpermute_b32 v1, v1, v0
	s_waitcnt lgkmcnt(0)
	v_max_f32_e32 v1, v1, v1
	s_delay_alu instid0(VALU_DEP_1) | instskip(NEXT) | instid1(VALU_DEP_1)
	v_max_f32_e32 v0, v0, v1
	v_div_scale_f32 v1, null, s10, s10, v0
	v_div_scale_f32 v25, vcc_lo, v0, s10, v0
	s_delay_alu instid0(VALU_DEP_2) | instskip(SKIP_2) | instid1(VALU_DEP_1)
	v_rcp_f32_e32 v3, v1
	s_waitcnt_depctr 0xfff
	v_fma_f32 v24, -v1, v3, 1.0
	v_fmac_f32_e32 v3, v24, v3
	s_delay_alu instid0(VALU_DEP_1) | instskip(NEXT) | instid1(VALU_DEP_1)
	v_mul_f32_e32 v24, v25, v3
	v_fma_f32 v26, -v1, v24, v25
	s_delay_alu instid0(VALU_DEP_1) | instskip(NEXT) | instid1(VALU_DEP_1)
	v_fmac_f32_e32 v24, v26, v3
	v_fma_f32 v1, -v1, v24, v25
	s_delay_alu instid0(VALU_DEP_1) | instskip(NEXT) | instid1(VALU_DEP_1)
	v_div_fmas_f32 v1, v1, v3, v24
	v_div_fixup_f32 v0, v1, s10, v0
	s_delay_alu instid0(VALU_DEP_1) | instskip(NEXT) | instid1(VALU_DEP_1)
	v_max_f32_e32 v0, 0x2edbe6ff, v0
	v_and_b32_e32 v1, 0x7fffff, v0
	v_lshrrev_b32_e32 v0, 23, v0
	s_delay_alu instid0(VALU_DEP_2) | instskip(NEXT) | instid1(VALU_DEP_2)
	v_cmp_ne_u32_e32 vcc_lo, 0, v1
	v_add_co_ci_u32_e32 v24, vcc_lo, 0, v0, vcc_lo
	v_cmpx_eq_u32_e32 0, v7
	s_cbranch_execz .LBB46_8
; %bb.4:
	v_ashrrev_i32_e32 v0, 31, v2
	s_delay_alu instid0(VALU_DEP_1) | instskip(NEXT) | instid1(VALU_DEP_1)
	v_lshrrev_b32_e32 v0, 30, v0
	v_add_nc_u32_e32 v0, v2, v0
	s_delay_alu instid0(VALU_DEP_1) | instskip(NEXT) | instid1(VALU_DEP_1)
	v_ashrrev_i32_e32 v3, 2, v0
	v_mad_u64_u32 v[0:1], null, v3, s7, v[4:5]
	v_mov_b32_e32 v1, v24
	s_and_saveexec_b32 s7, s8
	s_cbranch_execz .LBB46_6
; %bb.5:
	s_load_b64 s[12:13], s[0:1], 0x30
	s_delay_alu instid0(VALU_DEP_2) | instskip(SKIP_2) | instid1(VALU_DEP_1)
	v_ashrrev_i32_e32 v1, 31, v0
	s_and_not1_b32 s5, s5, exec_lo
	s_waitcnt lgkmcnt(0)
	v_cmp_gt_i64_e32 vcc_lo, s[12:13], v[0:1]
	v_mov_b32_e32 v1, 0
	s_and_b32 s12, vcc_lo, exec_lo
	s_delay_alu instid0(SALU_CYCLE_1)
	s_or_b32 s5, s5, s12
.LBB46_6:
	s_or_b32 exec_lo, exec_lo, s7
	s_delay_alu instid0(SALU_CYCLE_1)
	s_and_b32 exec_lo, exec_lo, s5
	s_cbranch_execz .LBB46_8
; %bb.7:
	s_load_b64 s[12:13], s[0:1], 0x10
	v_lshlrev_b32_e32 v3, 2, v3
	s_delay_alu instid0(VALU_DEP_1) | instskip(NEXT) | instid1(VALU_DEP_1)
	v_sub_nc_u32_e32 v2, v2, v3
	v_lshl_add_u32 v0, v0, 2, v2
	s_delay_alu instid0(VALU_DEP_1) | instskip(SKIP_2) | instid1(VALU_DEP_2)
	v_ashrrev_i32_e32 v3, 31, v0
	s_waitcnt lgkmcnt(0)
	v_add_co_u32 v2, vcc_lo, s12, v0
	v_add_co_ci_u32_e32 v3, vcc_lo, s13, v3, vcc_lo
	global_store_b8 v[2:3], v1, off
.LBB46_8:
	s_or_b32 exec_lo, exec_lo, s11
	s_mov_b32 s5, 0
                                        ; implicit-def: $sgpr7
	s_and_saveexec_b32 s11, s8
	s_delay_alu instid0(SALU_CYCLE_1)
	s_xor_b32 s8, exec_lo, s11
; %bb.9:
	v_cmp_gt_i32_e32 vcc_lo, s6, v4
	s_xor_b32 s2, s2, -1
	s_mov_b32 s7, 0
                                        ; implicit-def: $vgpr6
                                        ; implicit-def: $vgpr9
                                        ; implicit-def: $vgpr10
                                        ; implicit-def: $vgpr11
                                        ; implicit-def: $vgpr13
                                        ; implicit-def: $vgpr12
                                        ; implicit-def: $vgpr14
                                        ; implicit-def: $vgpr15
                                        ; implicit-def: $vgpr17
                                        ; implicit-def: $vgpr16
                                        ; implicit-def: $vgpr18
                                        ; implicit-def: $vgpr19
                                        ; implicit-def: $vgpr21
                                        ; implicit-def: $vgpr20
                                        ; implicit-def: $vgpr22
                                        ; implicit-def: $vgpr23
                                        ; implicit-def: $vgpr24
	s_and_b32 s2, vcc_lo, s2
	s_delay_alu instid0(SALU_CYCLE_1) | instskip(NEXT) | instid1(SALU_CYCLE_1)
	s_and_b32 s2, s3, s2
	s_and_b32 s5, s2, exec_lo
; %bb.10:
	s_or_saveexec_b32 s2, s8
	v_dual_mov_b32 v3, s7 :: v_dual_mov_b32 v2, s7
	v_dual_mov_b32 v1, s7 :: v_dual_mov_b32 v0, s7
	s_xor_b32 exec_lo, exec_lo, s2
	s_cbranch_execz .LBB46_12
; %bb.11:
	v_lshlrev_b32_e32 v0, 23, v24
	s_or_b32 s5, s5, exec_lo
	s_delay_alu instid0(VALU_DEP_1) | instskip(NEXT) | instid1(VALU_DEP_1)
	v_and_b32_e32 v0, 0x7f800000, v0
	v_div_scale_f32 v1, null, v0, v0, 1.0
	v_div_scale_f32 v24, vcc_lo, 1.0, v0, 1.0
	s_delay_alu instid0(VALU_DEP_2) | instskip(SKIP_2) | instid1(VALU_DEP_1)
	v_rcp_f32_e32 v2, v1
	s_waitcnt_depctr 0xfff
	v_fma_f32 v3, -v1, v2, 1.0
	v_fmac_f32_e32 v2, v3, v2
	s_delay_alu instid0(VALU_DEP_1) | instskip(NEXT) | instid1(VALU_DEP_1)
	v_mul_f32_e32 v3, v24, v2
	v_fma_f32 v25, -v1, v3, v24
	s_delay_alu instid0(VALU_DEP_1) | instskip(NEXT) | instid1(VALU_DEP_1)
	v_fmac_f32_e32 v3, v25, v2
	v_fma_f32 v1, -v1, v3, v24
	s_delay_alu instid0(VALU_DEP_1) | instskip(SKIP_1) | instid1(VALU_DEP_2)
	v_div_fmas_f32 v1, v1, v2, v3
	v_max_f32_e64 v2, s10, s10
	v_div_fixup_f32 v0, v1, v0, 1.0
	v_max_f32_e64 v1, s9, s9
	s_delay_alu instid0(VALU_DEP_2)
	v_mul_f32_e32 v21, v0, v21
	v_mul_f32_e32 v6, v0, v6
	v_mul_f32_e32 v19, v0, v19
	v_mul_f32_e32 v15, v0, v15
	v_mul_f32_e32 v13, v0, v13
	v_mul_f32_e32 v11, v0, v11
	v_maxmin_f32 v6, v6, v1, v2
	v_mul_f32_e32 v3, v0, v22
	v_maxmin_f32 v19, v19, v1, v2
	v_maxmin_f32 v15, v15, v1, v2
	;; [unrolled: 1-line block ×3, first 2 shown]
	v_cvt_i32_f32_e32 v6, v6
	v_mul_f32_e32 v17, v0, v17
	v_maxmin_f32 v11, v11, v1, v2
	v_mul_f32_e32 v20, v0, v20
	v_mul_f32_e32 v10, v0, v10
	v_and_b32_e32 v6, 0xff, v6
	v_maxmin_f32 v17, v17, v1, v2
	v_cvt_i32_f32_e32 v19, v19
	v_mul_f32_e32 v18, v0, v18
	v_cvt_i32_f32_e32 v15, v15
	v_mul_f32_e32 v16, v0, v16
	;; [unrolled: 2-line block ×5, first 2 shown]
	v_mul_f32_e32 v0, v0, v9
	v_and_b32_e32 v17, 0xff, v17
	v_maxmin_f32 v9, v22, v1, v2
	v_and_b32_e32 v11, 0xff, v11
	v_maxmin_f32 v3, v3, v1, v2
	v_maxmin_f32 v21, v21, v1, v2
	v_maxmin_f32 v20, v20, v1, v2
	v_maxmin_f32 v12, v12, v1, v2
	v_maxmin_f32 v10, v10, v1, v2
	v_maxmin_f32 v0, v0, v1, v2
	v_and_b32_e32 v19, 0xff, v19
	v_maxmin_f32 v18, v18, v1, v2
	v_and_b32_e32 v15, 0xff, v15
	v_maxmin_f32 v16, v16, v1, v2
	;; [unrolled: 2-line block ×3, first 2 shown]
	v_cvt_i32_f32_e32 v2, v9
	v_cvt_i32_f32_e32 v1, v3
	;; [unrolled: 1-line block ×6, first 2 shown]
	v_and_b32_e32 v2, 0xff, v2
	v_and_b32_e32 v3, 0xff, v3
	v_cvt_i32_f32_e32 v9, v20
	v_perm_b32 v14, v15, v14, 0x6050400
	v_perm_b32 v10, v11, v10, 0x6050400
	;; [unrolled: 1-line block ×4, first 2 shown]
	v_cvt_i32_f32_e32 v16, v16
	v_cvt_i32_f32_e32 v12, v12
	;; [unrolled: 1-line block ×3, first 2 shown]
	v_lshl_or_b32 v0, v3, 16, v1
	v_lshl_or_b32 v1, v17, 16, v2
	;; [unrolled: 1-line block ×4, first 2 shown]
	s_delay_alu instid0(VALU_DEP_4) | instskip(NEXT) | instid1(VALU_DEP_4)
	v_lshl_or_b32 v0, v9, 24, v0
	v_lshl_or_b32 v1, v16, 24, v1
	s_delay_alu instid0(VALU_DEP_4) | instskip(NEXT) | instid1(VALU_DEP_4)
	v_lshl_or_b32 v2, v12, 24, v2
	v_lshl_or_b32 v3, v11, 24, v3
.LBB46_12:
	s_or_b32 exec_lo, exec_lo, s2
	s_delay_alu instid0(SALU_CYCLE_1)
	s_and_b32 exec_lo, exec_lo, s5
	s_cbranch_execz .LBB46_14
; %bb.13:
	s_load_b64 s[0:1], s[0:1], 0x8
	v_lshlrev_b32_e32 v6, 7, v4
	v_alignbit_b32 v4, v8, v4, 25
	s_ashr_i32 s2, s4, 31
	v_lshlrev_b32_e32 v7, 4, v7
	s_delay_alu instid0(VALU_DEP_3) | instskip(NEXT) | instid1(VALU_DEP_3)
	v_mul_lo_u32 v10, v6, s2
	v_mul_lo_u32 v4, v4, s4
	s_waitcnt lgkmcnt(0)
	v_mad_u64_u32 v[8:9], null, v6, s4, s[0:1]
	v_ashrrev_i32_e32 v6, 31, v5
	s_delay_alu instid0(VALU_DEP_2) | instskip(NEXT) | instid1(VALU_DEP_3)
	v_add3_u32 v4, v4, v9, v10
	v_add_co_u32 v5, vcc_lo, v8, v5
	s_delay_alu instid0(VALU_DEP_2) | instskip(NEXT) | instid1(VALU_DEP_2)
	v_add_co_ci_u32_e32 v6, vcc_lo, v4, v6, vcc_lo
	v_add_co_u32 v4, vcc_lo, v5, v7
	s_delay_alu instid0(VALU_DEP_2)
	v_add_co_ci_u32_e32 v5, vcc_lo, 0, v6, vcc_lo
	global_store_b128 v[4:5], v[0:3], off
.LBB46_14:
	s_nop 0
	s_sendmsg sendmsg(MSG_DEALLOC_VGPRS)
	s_endpgm
	.section	.rodata,"a",@progbits
	.p2align	6, 0x0
	.amdhsa_kernel _Z49per_token_group_quant_8bit_packed_register_kernelIN3c108BFloat16EaLi128ELi8ELi2EEvPKT_PvPjiiiiilfff
		.amdhsa_group_segment_fixed_size 0
		.amdhsa_private_segment_fixed_size 0
		.amdhsa_kernarg_size 68
		.amdhsa_user_sgpr_count 14
		.amdhsa_user_sgpr_dispatch_ptr 0
		.amdhsa_user_sgpr_queue_ptr 0
		.amdhsa_user_sgpr_kernarg_segment_ptr 1
		.amdhsa_user_sgpr_dispatch_id 0
		.amdhsa_user_sgpr_private_segment_size 0
		.amdhsa_wavefront_size32 1
		.amdhsa_uses_dynamic_stack 0
		.amdhsa_enable_private_segment 0
		.amdhsa_system_sgpr_workgroup_id_x 1
		.amdhsa_system_sgpr_workgroup_id_y 1
		.amdhsa_system_sgpr_workgroup_id_z 0
		.amdhsa_system_sgpr_workgroup_info 0
		.amdhsa_system_vgpr_workitem_id 0
		.amdhsa_next_free_vgpr 28
		.amdhsa_next_free_sgpr 16
		.amdhsa_reserve_vcc 1
		.amdhsa_float_round_mode_32 0
		.amdhsa_float_round_mode_16_64 0
		.amdhsa_float_denorm_mode_32 3
		.amdhsa_float_denorm_mode_16_64 3
		.amdhsa_dx10_clamp 1
		.amdhsa_ieee_mode 1
		.amdhsa_fp16_overflow 0
		.amdhsa_workgroup_processor_mode 1
		.amdhsa_memory_ordered 1
		.amdhsa_forward_progress 0
		.amdhsa_shared_vgpr_count 0
		.amdhsa_exception_fp_ieee_invalid_op 0
		.amdhsa_exception_fp_denorm_src 0
		.amdhsa_exception_fp_ieee_div_zero 0
		.amdhsa_exception_fp_ieee_overflow 0
		.amdhsa_exception_fp_ieee_underflow 0
		.amdhsa_exception_fp_ieee_inexact 0
		.amdhsa_exception_int_div_zero 0
	.end_amdhsa_kernel
	.section	.text._Z49per_token_group_quant_8bit_packed_register_kernelIN3c108BFloat16EaLi128ELi8ELi2EEvPKT_PvPjiiiiilfff,"axG",@progbits,_Z49per_token_group_quant_8bit_packed_register_kernelIN3c108BFloat16EaLi128ELi8ELi2EEvPKT_PvPjiiiiilfff,comdat
.Lfunc_end46:
	.size	_Z49per_token_group_quant_8bit_packed_register_kernelIN3c108BFloat16EaLi128ELi8ELi2EEvPKT_PvPjiiiiilfff, .Lfunc_end46-_Z49per_token_group_quant_8bit_packed_register_kernelIN3c108BFloat16EaLi128ELi8ELi2EEvPKT_PvPjiiiiilfff
                                        ; -- End function
	.section	.AMDGPU.csdata,"",@progbits
; Kernel info:
; codeLenInByte = 1756
; NumSgprs: 18
; NumVgprs: 28
; ScratchSize: 0
; MemoryBound: 0
; FloatMode: 240
; IeeeMode: 1
; LDSByteSize: 0 bytes/workgroup (compile time only)
; SGPRBlocks: 2
; VGPRBlocks: 3
; NumSGPRsForWavesPerEU: 18
; NumVGPRsForWavesPerEU: 28
; Occupancy: 16
; WaveLimiterHint : 0
; COMPUTE_PGM_RSRC2:SCRATCH_EN: 0
; COMPUTE_PGM_RSRC2:USER_SGPR: 14
; COMPUTE_PGM_RSRC2:TRAP_HANDLER: 0
; COMPUTE_PGM_RSRC2:TGID_X_EN: 1
; COMPUTE_PGM_RSRC2:TGID_Y_EN: 1
; COMPUTE_PGM_RSRC2:TGID_Z_EN: 0
; COMPUTE_PGM_RSRC2:TIDIG_COMP_CNT: 0
	.section	.text._Z49per_token_group_quant_8bit_packed_register_kernelIN3c108BFloat16EaLi128ELi4ELi4EEvPKT_PvPjiiiiilfff,"axG",@progbits,_Z49per_token_group_quant_8bit_packed_register_kernelIN3c108BFloat16EaLi128ELi4ELi4EEvPKT_PvPjiiiiilfff,comdat
	.protected	_Z49per_token_group_quant_8bit_packed_register_kernelIN3c108BFloat16EaLi128ELi4ELi4EEvPKT_PvPjiiiiilfff ; -- Begin function _Z49per_token_group_quant_8bit_packed_register_kernelIN3c108BFloat16EaLi128ELi4ELi4EEvPKT_PvPjiiiiilfff
	.globl	_Z49per_token_group_quant_8bit_packed_register_kernelIN3c108BFloat16EaLi128ELi4ELi4EEvPKT_PvPjiiiiilfff
	.p2align	8
	.type	_Z49per_token_group_quant_8bit_packed_register_kernelIN3c108BFloat16EaLi128ELi4ELi4EEvPKT_PvPjiiiiilfff,@function
_Z49per_token_group_quant_8bit_packed_register_kernelIN3c108BFloat16EaLi128ELi4ELi4EEvPKT_PvPjiiiiilfff: ; @_Z49per_token_group_quant_8bit_packed_register_kernelIN3c108BFloat16EaLi128ELi4ELi4EEvPKT_PvPjiiiiilfff
; %bb.0:
	s_load_b128 s[4:7], s[0:1], 0x1c
	v_lshrrev_b32_e32 v1, 5, v0
	s_mov_b32 s2, exec_lo
	s_delay_alu instid0(VALU_DEP_1) | instskip(SKIP_1) | instid1(VALU_DEP_1)
	v_lshl_add_u32 v4, s15, 2, v1
	s_waitcnt lgkmcnt(0)
	v_cmpx_gt_i32_e64 s7, v4
	s_cbranch_execz .LBB47_14
; %bb.1:
	s_load_b128 s[8:11], s[0:1], 0x38
	v_lshrrev_b32_e32 v1, 3, v0
	s_lshl_b32 s3, s14, 2
	v_cmp_gt_i32_e64 s2, s5, v4
	v_dual_mov_b32 v6, 0 :: v_dual_and_b32 v7, 7, v0
	s_delay_alu instid0(VALU_DEP_3) | instskip(SKIP_3) | instid1(VALU_DEP_4)
	v_and_or_b32 v2, v1, 3, s3
	v_ashrrev_i32_e32 v8, 31, v4
	v_dual_mov_b32 v9, 0 :: v_dual_mov_b32 v10, 0
	v_dual_mov_b32 v11, 0 :: v_dual_mov_b32 v12, 0
	v_cmp_gt_i32_e64 s3, s4, v2
	v_dual_mov_b32 v13, 0 :: v_dual_mov_b32 v14, 0
	v_dual_mov_b32 v15, 0 :: v_dual_mov_b32 v16, 0
	v_dual_mov_b32 v17, 0 :: v_dual_mov_b32 v18, 0
	s_waitcnt lgkmcnt(0)
	v_dual_mov_b32 v0, s8 :: v_dual_lshlrev_b32 v5, 7, v2
	v_dual_mov_b32 v19, 0 :: v_dual_mov_b32 v20, 0
	v_dual_mov_b32 v21, 0 :: v_dual_mov_b32 v22, 0
	v_mov_b32_e32 v23, 0
	s_and_b32 s5, s2, s3
	s_delay_alu instid0(SALU_CYCLE_1)
	s_and_saveexec_b32 s11, s5
	s_cbranch_execz .LBB47_3
; %bb.2:
	s_load_b64 s[12:13], s[0:1], 0x0
	v_lshlrev_b32_e32 v3, 8, v4
	v_alignbit_b32 v0, v8, v4, 24
	s_ashr_i32 s14, s4, 31
	v_ashrrev_i32_e32 v6, 31, v5
	s_delay_alu instid0(VALU_DEP_3) | instskip(NEXT) | instid1(VALU_DEP_3)
	v_mul_lo_u32 v11, v3, s14
	v_mul_lo_u32 v12, v0, s4
	s_delay_alu instid0(VALU_DEP_3) | instskip(SKIP_3) | instid1(VALU_DEP_2)
	v_lshlrev_b64 v[9:10], 1, v[5:6]
	s_waitcnt lgkmcnt(0)
	v_mad_u64_u32 v[0:1], null, v3, s4, s[12:13]
	v_lshlrev_b32_e32 v3, 5, v7
	v_add3_u32 v1, v12, v1, v11
	s_delay_alu instid0(VALU_DEP_3) | instskip(NEXT) | instid1(VALU_DEP_2)
	v_add_co_u32 v0, vcc_lo, v0, v9
	v_add_co_ci_u32_e32 v1, vcc_lo, v1, v10, vcc_lo
	s_delay_alu instid0(VALU_DEP_2) | instskip(NEXT) | instid1(VALU_DEP_2)
	v_add_co_u32 v0, vcc_lo, v0, v3
	v_add_co_ci_u32_e32 v1, vcc_lo, 0, v1, vcc_lo
	s_clause 0x1
	global_load_b128 v[9:12], v[0:1], off
	global_load_b128 v[24:27], v[0:1], off offset:16
	s_waitcnt vmcnt(1)
	v_lshlrev_b32_e32 v22, 16, v9
	v_and_b32_e32 v23, 0xffff0000, v9
	v_lshlrev_b32_e32 v21, 16, v10
	v_and_b32_e32 v20, 0xffff0000, v10
	;; [unrolled: 2-line block ×3, first 2 shown]
	v_max3_f32 v0, s8, |v22|, |v23|
	v_lshlrev_b32_e32 v17, 16, v12
	v_and_b32_e32 v16, 0xffff0000, v12
	s_waitcnt vmcnt(0)
	v_lshlrev_b32_e32 v14, 16, v24
	v_and_b32_e32 v15, 0xffff0000, v24
	v_max3_f32 v0, v0, |v21|, |v20|
	v_lshlrev_b32_e32 v13, 16, v25
	v_and_b32_e32 v12, 0xffff0000, v25
	v_lshlrev_b32_e32 v10, 16, v26
	v_and_b32_e32 v11, 0xffff0000, v26
	v_max3_f32 v0, v0, |v18|, |v19|
	v_lshlrev_b32_e32 v6, 16, v27
	v_and_b32_e32 v9, 0xffff0000, v27
	s_delay_alu instid0(VALU_DEP_3) | instskip(NEXT) | instid1(VALU_DEP_1)
	v_max3_f32 v0, v0, |v17|, |v16|
	v_max3_f32 v0, v0, |v14|, |v15|
	s_delay_alu instid0(VALU_DEP_1) | instskip(NEXT) | instid1(VALU_DEP_1)
	v_max3_f32 v0, v0, |v13|, |v12|
	v_max3_f32 v0, v0, |v10|, |v11|
	s_delay_alu instid0(VALU_DEP_1)
	v_max3_f32 v0, v0, |v6|, |v9|
.LBB47_3:
	s_or_b32 exec_lo, exec_lo, s11
	v_mbcnt_lo_u32_b32 v1, -1, 0
	s_xor_b32 s8, s5, -1
	s_mov_b32 s11, exec_lo
	s_delay_alu instid0(VALU_DEP_1) | instskip(SKIP_2) | instid1(VALU_DEP_2)
	v_xor_b32_e32 v24, 4, v1
	v_and_b32_e32 v3, 24, v1
	v_xor_b32_e32 v25, 2, v1
	v_add_nc_u32_e32 v3, 8, v3
	s_delay_alu instid0(VALU_DEP_1) | instskip(SKIP_1) | instid1(VALU_DEP_1)
	v_cmp_lt_i32_e32 vcc_lo, v24, v3
	v_cndmask_b32_e32 v24, v1, v24, vcc_lo
	v_lshlrev_b32_e32 v24, 2, v24
	ds_bpermute_b32 v24, v24, v0
	v_max_f32_e32 v0, v0, v0
	v_cmp_lt_i32_e32 vcc_lo, v25, v3
	v_cndmask_b32_e32 v25, v1, v25, vcc_lo
	s_waitcnt lgkmcnt(0)
	s_delay_alu instid0(VALU_DEP_1) | instskip(NEXT) | instid1(VALU_DEP_1)
	v_dual_max_f32 v24, v24, v24 :: v_dual_lshlrev_b32 v25, 2, v25
	v_max_f32_e32 v0, v0, v24
	ds_bpermute_b32 v24, v25, v0
	v_xor_b32_e32 v25, 1, v1
	s_delay_alu instid0(VALU_DEP_1) | instskip(SKIP_3) | instid1(VALU_DEP_1)
	v_cmp_lt_i32_e32 vcc_lo, v25, v3
	v_cndmask_b32_e32 v1, v1, v25, vcc_lo
	s_waitcnt lgkmcnt(0)
	v_max_f32_e32 v3, v24, v24
	v_dual_max_f32 v0, v0, v3 :: v_dual_lshlrev_b32 v1, 2, v1
	ds_bpermute_b32 v1, v1, v0
	s_waitcnt lgkmcnt(0)
	v_max_f32_e32 v1, v1, v1
	s_delay_alu instid0(VALU_DEP_1) | instskip(NEXT) | instid1(VALU_DEP_1)
	v_max_f32_e32 v0, v0, v1
	v_div_scale_f32 v1, null, s10, s10, v0
	v_div_scale_f32 v25, vcc_lo, v0, s10, v0
	s_delay_alu instid0(VALU_DEP_2) | instskip(SKIP_2) | instid1(VALU_DEP_1)
	v_rcp_f32_e32 v3, v1
	s_waitcnt_depctr 0xfff
	v_fma_f32 v24, -v1, v3, 1.0
	v_fmac_f32_e32 v3, v24, v3
	s_delay_alu instid0(VALU_DEP_1) | instskip(NEXT) | instid1(VALU_DEP_1)
	v_mul_f32_e32 v24, v25, v3
	v_fma_f32 v26, -v1, v24, v25
	s_delay_alu instid0(VALU_DEP_1) | instskip(NEXT) | instid1(VALU_DEP_1)
	v_fmac_f32_e32 v24, v26, v3
	v_fma_f32 v1, -v1, v24, v25
	s_delay_alu instid0(VALU_DEP_1) | instskip(NEXT) | instid1(VALU_DEP_1)
	v_div_fmas_f32 v1, v1, v3, v24
	v_div_fixup_f32 v0, v1, s10, v0
	s_delay_alu instid0(VALU_DEP_1) | instskip(NEXT) | instid1(VALU_DEP_1)
	v_max_f32_e32 v0, 0x2edbe6ff, v0
	v_and_b32_e32 v1, 0x7fffff, v0
	v_lshrrev_b32_e32 v0, 23, v0
	s_delay_alu instid0(VALU_DEP_2) | instskip(NEXT) | instid1(VALU_DEP_2)
	v_cmp_ne_u32_e32 vcc_lo, 0, v1
	v_add_co_ci_u32_e32 v24, vcc_lo, 0, v0, vcc_lo
	v_cmpx_eq_u32_e32 0, v7
	s_cbranch_execz .LBB47_8
; %bb.4:
	v_ashrrev_i32_e32 v0, 31, v2
	s_delay_alu instid0(VALU_DEP_1) | instskip(NEXT) | instid1(VALU_DEP_1)
	v_lshrrev_b32_e32 v0, 30, v0
	v_add_nc_u32_e32 v0, v2, v0
	s_delay_alu instid0(VALU_DEP_1) | instskip(NEXT) | instid1(VALU_DEP_1)
	v_ashrrev_i32_e32 v3, 2, v0
	v_mad_u64_u32 v[0:1], null, v3, s7, v[4:5]
	v_mov_b32_e32 v1, v24
	s_and_saveexec_b32 s7, s8
	s_cbranch_execz .LBB47_6
; %bb.5:
	s_load_b64 s[12:13], s[0:1], 0x30
	s_delay_alu instid0(VALU_DEP_2) | instskip(SKIP_2) | instid1(VALU_DEP_1)
	v_ashrrev_i32_e32 v1, 31, v0
	s_and_not1_b32 s5, s5, exec_lo
	s_waitcnt lgkmcnt(0)
	v_cmp_gt_i64_e32 vcc_lo, s[12:13], v[0:1]
	v_mov_b32_e32 v1, 0
	s_and_b32 s12, vcc_lo, exec_lo
	s_delay_alu instid0(SALU_CYCLE_1)
	s_or_b32 s5, s5, s12
.LBB47_6:
	s_or_b32 exec_lo, exec_lo, s7
	s_delay_alu instid0(SALU_CYCLE_1)
	s_and_b32 exec_lo, exec_lo, s5
	s_cbranch_execz .LBB47_8
; %bb.7:
	s_load_b64 s[12:13], s[0:1], 0x10
	v_lshlrev_b32_e32 v3, 2, v3
	s_delay_alu instid0(VALU_DEP_1) | instskip(NEXT) | instid1(VALU_DEP_1)
	v_sub_nc_u32_e32 v2, v2, v3
	v_lshl_add_u32 v0, v0, 2, v2
	s_delay_alu instid0(VALU_DEP_1) | instskip(SKIP_2) | instid1(VALU_DEP_2)
	v_ashrrev_i32_e32 v3, 31, v0
	s_waitcnt lgkmcnt(0)
	v_add_co_u32 v2, vcc_lo, s12, v0
	v_add_co_ci_u32_e32 v3, vcc_lo, s13, v3, vcc_lo
	global_store_b8 v[2:3], v1, off
.LBB47_8:
	s_or_b32 exec_lo, exec_lo, s11
	s_mov_b32 s5, 0
                                        ; implicit-def: $sgpr7
	s_and_saveexec_b32 s11, s8
	s_delay_alu instid0(SALU_CYCLE_1)
	s_xor_b32 s8, exec_lo, s11
; %bb.9:
	v_cmp_gt_i32_e32 vcc_lo, s6, v4
	s_xor_b32 s2, s2, -1
	s_mov_b32 s7, 0
                                        ; implicit-def: $vgpr6
                                        ; implicit-def: $vgpr9
                                        ; implicit-def: $vgpr10
                                        ; implicit-def: $vgpr11
                                        ; implicit-def: $vgpr13
                                        ; implicit-def: $vgpr12
                                        ; implicit-def: $vgpr14
                                        ; implicit-def: $vgpr15
                                        ; implicit-def: $vgpr17
                                        ; implicit-def: $vgpr16
                                        ; implicit-def: $vgpr18
                                        ; implicit-def: $vgpr19
                                        ; implicit-def: $vgpr21
                                        ; implicit-def: $vgpr20
                                        ; implicit-def: $vgpr22
                                        ; implicit-def: $vgpr23
                                        ; implicit-def: $vgpr24
	s_and_b32 s2, vcc_lo, s2
	s_delay_alu instid0(SALU_CYCLE_1) | instskip(NEXT) | instid1(SALU_CYCLE_1)
	s_and_b32 s2, s3, s2
	s_and_b32 s5, s2, exec_lo
; %bb.10:
	s_or_saveexec_b32 s2, s8
	v_dual_mov_b32 v3, s7 :: v_dual_mov_b32 v2, s7
	v_dual_mov_b32 v1, s7 :: v_dual_mov_b32 v0, s7
	s_xor_b32 exec_lo, exec_lo, s2
	s_cbranch_execz .LBB47_12
; %bb.11:
	v_lshlrev_b32_e32 v0, 23, v24
	s_or_b32 s5, s5, exec_lo
	s_delay_alu instid0(VALU_DEP_1) | instskip(NEXT) | instid1(VALU_DEP_1)
	v_and_b32_e32 v0, 0x7f800000, v0
	v_div_scale_f32 v1, null, v0, v0, 1.0
	v_div_scale_f32 v24, vcc_lo, 1.0, v0, 1.0
	s_delay_alu instid0(VALU_DEP_2) | instskip(SKIP_2) | instid1(VALU_DEP_1)
	v_rcp_f32_e32 v2, v1
	s_waitcnt_depctr 0xfff
	v_fma_f32 v3, -v1, v2, 1.0
	v_fmac_f32_e32 v2, v3, v2
	s_delay_alu instid0(VALU_DEP_1) | instskip(NEXT) | instid1(VALU_DEP_1)
	v_mul_f32_e32 v3, v24, v2
	v_fma_f32 v25, -v1, v3, v24
	s_delay_alu instid0(VALU_DEP_1) | instskip(NEXT) | instid1(VALU_DEP_1)
	v_fmac_f32_e32 v3, v25, v2
	v_fma_f32 v1, -v1, v3, v24
	s_delay_alu instid0(VALU_DEP_1) | instskip(SKIP_1) | instid1(VALU_DEP_2)
	v_div_fmas_f32 v1, v1, v2, v3
	v_max_f32_e64 v2, s10, s10
	v_div_fixup_f32 v0, v1, v0, 1.0
	v_max_f32_e64 v1, s9, s9
	s_delay_alu instid0(VALU_DEP_2)
	v_mul_f32_e32 v21, v0, v21
	v_mul_f32_e32 v6, v0, v6
	;; [unrolled: 1-line block ×6, first 2 shown]
	v_maxmin_f32 v6, v6, v1, v2
	v_mul_f32_e32 v3, v0, v22
	v_maxmin_f32 v19, v19, v1, v2
	v_maxmin_f32 v15, v15, v1, v2
	;; [unrolled: 1-line block ×3, first 2 shown]
	v_cvt_i32_f32_e32 v6, v6
	v_mul_f32_e32 v17, v0, v17
	v_maxmin_f32 v11, v11, v1, v2
	v_mul_f32_e32 v20, v0, v20
	v_mul_f32_e32 v10, v0, v10
	v_and_b32_e32 v6, 0xff, v6
	v_maxmin_f32 v17, v17, v1, v2
	v_cvt_i32_f32_e32 v19, v19
	v_mul_f32_e32 v18, v0, v18
	v_cvt_i32_f32_e32 v15, v15
	v_mul_f32_e32 v16, v0, v16
	;; [unrolled: 2-line block ×5, first 2 shown]
	v_mul_f32_e32 v0, v0, v9
	v_and_b32_e32 v17, 0xff, v17
	v_maxmin_f32 v9, v22, v1, v2
	v_and_b32_e32 v11, 0xff, v11
	v_maxmin_f32 v3, v3, v1, v2
	v_maxmin_f32 v21, v21, v1, v2
	;; [unrolled: 1-line block ×6, first 2 shown]
	v_and_b32_e32 v19, 0xff, v19
	v_maxmin_f32 v18, v18, v1, v2
	v_and_b32_e32 v15, 0xff, v15
	v_maxmin_f32 v16, v16, v1, v2
	;; [unrolled: 2-line block ×3, first 2 shown]
	v_cvt_i32_f32_e32 v2, v9
	v_cvt_i32_f32_e32 v1, v3
	;; [unrolled: 1-line block ×6, first 2 shown]
	v_and_b32_e32 v2, 0xff, v2
	v_and_b32_e32 v3, 0xff, v3
	v_cvt_i32_f32_e32 v9, v20
	v_perm_b32 v14, v15, v14, 0x6050400
	v_perm_b32 v10, v11, v10, 0x6050400
	;; [unrolled: 1-line block ×4, first 2 shown]
	v_cvt_i32_f32_e32 v16, v16
	v_cvt_i32_f32_e32 v12, v12
	;; [unrolled: 1-line block ×3, first 2 shown]
	v_lshl_or_b32 v0, v3, 16, v1
	v_lshl_or_b32 v1, v17, 16, v2
	;; [unrolled: 1-line block ×4, first 2 shown]
	s_delay_alu instid0(VALU_DEP_4) | instskip(NEXT) | instid1(VALU_DEP_4)
	v_lshl_or_b32 v0, v9, 24, v0
	v_lshl_or_b32 v1, v16, 24, v1
	s_delay_alu instid0(VALU_DEP_4) | instskip(NEXT) | instid1(VALU_DEP_4)
	v_lshl_or_b32 v2, v12, 24, v2
	v_lshl_or_b32 v3, v11, 24, v3
.LBB47_12:
	s_or_b32 exec_lo, exec_lo, s2
	s_delay_alu instid0(SALU_CYCLE_1)
	s_and_b32 exec_lo, exec_lo, s5
	s_cbranch_execz .LBB47_14
; %bb.13:
	s_load_b64 s[0:1], s[0:1], 0x8
	v_lshlrev_b32_e32 v6, 7, v4
	v_alignbit_b32 v4, v8, v4, 25
	s_ashr_i32 s2, s4, 31
	v_lshlrev_b32_e32 v7, 4, v7
	s_delay_alu instid0(VALU_DEP_3) | instskip(NEXT) | instid1(VALU_DEP_3)
	v_mul_lo_u32 v10, v6, s2
	v_mul_lo_u32 v4, v4, s4
	s_waitcnt lgkmcnt(0)
	v_mad_u64_u32 v[8:9], null, v6, s4, s[0:1]
	v_ashrrev_i32_e32 v6, 31, v5
	s_delay_alu instid0(VALU_DEP_2) | instskip(NEXT) | instid1(VALU_DEP_3)
	v_add3_u32 v4, v4, v9, v10
	v_add_co_u32 v5, vcc_lo, v8, v5
	s_delay_alu instid0(VALU_DEP_2) | instskip(NEXT) | instid1(VALU_DEP_2)
	v_add_co_ci_u32_e32 v6, vcc_lo, v4, v6, vcc_lo
	v_add_co_u32 v4, vcc_lo, v5, v7
	s_delay_alu instid0(VALU_DEP_2)
	v_add_co_ci_u32_e32 v5, vcc_lo, 0, v6, vcc_lo
	global_store_b128 v[4:5], v[0:3], off
.LBB47_14:
	s_nop 0
	s_sendmsg sendmsg(MSG_DEALLOC_VGPRS)
	s_endpgm
	.section	.rodata,"a",@progbits
	.p2align	6, 0x0
	.amdhsa_kernel _Z49per_token_group_quant_8bit_packed_register_kernelIN3c108BFloat16EaLi128ELi4ELi4EEvPKT_PvPjiiiiilfff
		.amdhsa_group_segment_fixed_size 0
		.amdhsa_private_segment_fixed_size 0
		.amdhsa_kernarg_size 68
		.amdhsa_user_sgpr_count 14
		.amdhsa_user_sgpr_dispatch_ptr 0
		.amdhsa_user_sgpr_queue_ptr 0
		.amdhsa_user_sgpr_kernarg_segment_ptr 1
		.amdhsa_user_sgpr_dispatch_id 0
		.amdhsa_user_sgpr_private_segment_size 0
		.amdhsa_wavefront_size32 1
		.amdhsa_uses_dynamic_stack 0
		.amdhsa_enable_private_segment 0
		.amdhsa_system_sgpr_workgroup_id_x 1
		.amdhsa_system_sgpr_workgroup_id_y 1
		.amdhsa_system_sgpr_workgroup_id_z 0
		.amdhsa_system_sgpr_workgroup_info 0
		.amdhsa_system_vgpr_workitem_id 0
		.amdhsa_next_free_vgpr 28
		.amdhsa_next_free_sgpr 16
		.amdhsa_reserve_vcc 1
		.amdhsa_float_round_mode_32 0
		.amdhsa_float_round_mode_16_64 0
		.amdhsa_float_denorm_mode_32 3
		.amdhsa_float_denorm_mode_16_64 3
		.amdhsa_dx10_clamp 1
		.amdhsa_ieee_mode 1
		.amdhsa_fp16_overflow 0
		.amdhsa_workgroup_processor_mode 1
		.amdhsa_memory_ordered 1
		.amdhsa_forward_progress 0
		.amdhsa_shared_vgpr_count 0
		.amdhsa_exception_fp_ieee_invalid_op 0
		.amdhsa_exception_fp_denorm_src 0
		.amdhsa_exception_fp_ieee_div_zero 0
		.amdhsa_exception_fp_ieee_overflow 0
		.amdhsa_exception_fp_ieee_underflow 0
		.amdhsa_exception_fp_ieee_inexact 0
		.amdhsa_exception_int_div_zero 0
	.end_amdhsa_kernel
	.section	.text._Z49per_token_group_quant_8bit_packed_register_kernelIN3c108BFloat16EaLi128ELi4ELi4EEvPKT_PvPjiiiiilfff,"axG",@progbits,_Z49per_token_group_quant_8bit_packed_register_kernelIN3c108BFloat16EaLi128ELi4ELi4EEvPKT_PvPjiiiiilfff,comdat
.Lfunc_end47:
	.size	_Z49per_token_group_quant_8bit_packed_register_kernelIN3c108BFloat16EaLi128ELi4ELi4EEvPKT_PvPjiiiiilfff, .Lfunc_end47-_Z49per_token_group_quant_8bit_packed_register_kernelIN3c108BFloat16EaLi128ELi4ELi4EEvPKT_PvPjiiiiilfff
                                        ; -- End function
	.section	.AMDGPU.csdata,"",@progbits
; Kernel info:
; codeLenInByte = 1756
; NumSgprs: 18
; NumVgprs: 28
; ScratchSize: 0
; MemoryBound: 0
; FloatMode: 240
; IeeeMode: 1
; LDSByteSize: 0 bytes/workgroup (compile time only)
; SGPRBlocks: 2
; VGPRBlocks: 3
; NumSGPRsForWavesPerEU: 18
; NumVGPRsForWavesPerEU: 28
; Occupancy: 16
; WaveLimiterHint : 0
; COMPUTE_PGM_RSRC2:SCRATCH_EN: 0
; COMPUTE_PGM_RSRC2:USER_SGPR: 14
; COMPUTE_PGM_RSRC2:TRAP_HANDLER: 0
; COMPUTE_PGM_RSRC2:TGID_X_EN: 1
; COMPUTE_PGM_RSRC2:TGID_Y_EN: 1
; COMPUTE_PGM_RSRC2:TGID_Z_EN: 0
; COMPUTE_PGM_RSRC2:TIDIG_COMP_CNT: 0
	.section	.text._Z49per_token_group_quant_8bit_packed_register_kernelIN3c108BFloat16ENS0_13Float8_e4m3fnELi128ELi16ELi1EEvPKT_PvPjiiiiilfff,"axG",@progbits,_Z49per_token_group_quant_8bit_packed_register_kernelIN3c108BFloat16ENS0_13Float8_e4m3fnELi128ELi16ELi1EEvPKT_PvPjiiiiilfff,comdat
	.protected	_Z49per_token_group_quant_8bit_packed_register_kernelIN3c108BFloat16ENS0_13Float8_e4m3fnELi128ELi16ELi1EEvPKT_PvPjiiiiilfff ; -- Begin function _Z49per_token_group_quant_8bit_packed_register_kernelIN3c108BFloat16ENS0_13Float8_e4m3fnELi128ELi16ELi1EEvPKT_PvPjiiiiilfff
	.globl	_Z49per_token_group_quant_8bit_packed_register_kernelIN3c108BFloat16ENS0_13Float8_e4m3fnELi128ELi16ELi1EEvPKT_PvPjiiiiilfff
	.p2align	8
	.type	_Z49per_token_group_quant_8bit_packed_register_kernelIN3c108BFloat16ENS0_13Float8_e4m3fnELi128ELi16ELi1EEvPKT_PvPjiiiiilfff,@function
_Z49per_token_group_quant_8bit_packed_register_kernelIN3c108BFloat16ENS0_13Float8_e4m3fnELi128ELi16ELi1EEvPKT_PvPjiiiiilfff: ; @_Z49per_token_group_quant_8bit_packed_register_kernelIN3c108BFloat16ENS0_13Float8_e4m3fnELi128ELi16ELi1EEvPKT_PvPjiiiiilfff
; %bb.0:
	s_load_b128 s[4:7], s[0:1], 0x1c
	v_lshrrev_b32_e32 v1, 7, v0
	s_mov_b32 s2, exec_lo
	s_delay_alu instid0(VALU_DEP_1) | instskip(SKIP_1) | instid1(VALU_DEP_1)
	v_add_nc_u32_e32 v12, s15, v1
	s_waitcnt lgkmcnt(0)
	v_cmpx_gt_i32_e64 s7, v12
	s_cbranch_execz .LBB48_110
; %bb.1:
	s_load_b128 s[8:11], s[0:1], 0x38
	v_lshrrev_b32_e32 v1, 3, v0
	s_lshl_b32 s2, s14, 4
	v_and_b32_e32 v15, 7, v0
	v_ashrrev_i32_e32 v16, 31, v12
                                        ; implicit-def: $vgpr14
                                        ; implicit-def: $vgpr3
                                        ; implicit-def: $vgpr17
                                        ; implicit-def: $vgpr18
                                        ; implicit-def: $vgpr23
                                        ; implicit-def: $vgpr26
                                        ; implicit-def: $vgpr7
                                        ; implicit-def: $vgpr28
                                        ; implicit-def: $vgpr24
                                        ; implicit-def: $vgpr19
	s_delay_alu instid0(VALU_DEP_3) | instskip(SKIP_1) | instid1(VALU_DEP_2)
	v_and_or_b32 v10, v1, 15, s2
	v_cmp_gt_i32_e64 s2, s5, v12
	v_cmp_gt_i32_e64 s3, s4, v10
	v_lshlrev_b32_e32 v13, 7, v10
	s_waitcnt lgkmcnt(0)
	s_delay_alu instid0(VALU_DEP_2)
	s_and_b32 s11, s2, s3
	v_mov_b32_e32 v8, s8
	s_and_saveexec_b32 s5, s11
	s_cbranch_execz .LBB48_3
; %bb.2:
	s_load_b64 s[12:13], s[0:1], 0x0
	v_lshlrev_b32_e32 v2, 8, v12
	v_alignbit_b32 v0, v16, v12, 24
	s_ashr_i32 s14, s4, 31
	v_ashrrev_i32_e32 v14, 31, v13
	s_delay_alu instid0(VALU_DEP_3) | instskip(NEXT) | instid1(VALU_DEP_3)
	v_mul_lo_u32 v4, v2, s14
	v_mul_lo_u32 v5, v0, s4
	s_waitcnt lgkmcnt(0)
	v_mad_u64_u32 v[0:1], null, v2, s4, s[12:13]
	v_lshlrev_b64 v[2:3], 1, v[13:14]
	s_delay_alu instid0(VALU_DEP_2) | instskip(SKIP_1) | instid1(VALU_DEP_3)
	v_add3_u32 v1, v5, v1, v4
	v_lshlrev_b32_e32 v4, 5, v15
	v_add_co_u32 v0, vcc_lo, v0, v2
	s_delay_alu instid0(VALU_DEP_3) | instskip(NEXT) | instid1(VALU_DEP_2)
	v_add_co_ci_u32_e32 v1, vcc_lo, v1, v3, vcc_lo
	v_add_co_u32 v0, vcc_lo, v0, v4
	s_delay_alu instid0(VALU_DEP_2)
	v_add_co_ci_u32_e32 v1, vcc_lo, 0, v1, vcc_lo
	s_clause 0x1
	global_load_b128 v[4:7], v[0:1], off
	global_load_b128 v[0:3], v[0:1], off offset:16
	s_waitcnt vmcnt(1)
	v_lshlrev_b32_e32 v8, 16, v4
	v_and_b32_e32 v9, 0xffff0000, v4
	v_lshlrev_b32_e32 v11, 16, v5
	v_and_b32_e32 v14, 0xffff0000, v5
	v_and_b32_e32 v17, 0xffff0000, v6
	v_lshrrev_b32_e32 v19, 16, v4
	v_max3_f32 v8, s8, |v8|, |v9|
	v_lshlrev_b32_e32 v9, 16, v6
	v_lshrrev_b32_e32 v24, 16, v5
	v_lshrrev_b32_e32 v28, 16, v6
	;; [unrolled: 1-line block ×3, first 2 shown]
	v_max3_f32 v8, v8, |v11|, |v14|
	v_lshlrev_b32_e32 v11, 16, v7
	v_and_b32_e32 v14, 0xffff0000, v7
	s_waitcnt vmcnt(0)
	v_lshrrev_b32_e32 v23, 16, v0
	v_lshrrev_b32_e32 v18, 16, v1
	v_max3_f32 v8, v8, |v9|, |v17|
	v_lshlrev_b32_e32 v9, 16, v0
	v_and_b32_e32 v17, 0xffff0000, v0
	s_delay_alu instid0(VALU_DEP_3) | instskip(SKIP_2) | instid1(VALU_DEP_3)
	v_max3_f32 v8, v8, |v11|, |v14|
	v_lshlrev_b32_e32 v11, 16, v1
	v_and_b32_e32 v14, 0xffff0000, v1
	v_max3_f32 v8, v8, |v9|, |v17|
	v_lshlrev_b32_e32 v9, 16, v2
	v_and_b32_e32 v17, 0xffff0000, v2
	s_delay_alu instid0(VALU_DEP_3) | instskip(SKIP_2) | instid1(VALU_DEP_3)
	v_max3_f32 v8, v8, |v11|, |v14|
	v_lshlrev_b32_e32 v11, 16, v3
	v_lshrrev_b32_e32 v14, 16, v3
	v_max3_f32 v8, v8, |v9|, |v17|
	v_and_b32_e32 v9, 0xffff0000, v3
	v_lshrrev_b32_e32 v17, 16, v2
	s_delay_alu instid0(VALU_DEP_2)
	v_max3_f32 v8, v8, |v11|, |v9|
.LBB48_3:
	s_or_b32 exec_lo, exec_lo, s5
	v_mbcnt_lo_u32_b32 v9, -1, 0
	s_xor_b32 s8, s11, -1
	s_mov_b32 s5, 0
	s_mov_b32 s12, exec_lo
	s_delay_alu instid0(VALU_DEP_1) | instskip(SKIP_2) | instid1(VALU_DEP_2)
	v_xor_b32_e32 v20, 4, v9
	v_and_b32_e32 v11, 24, v9
	v_xor_b32_e32 v21, 2, v9
	v_add_nc_u32_e32 v11, 8, v11
	s_delay_alu instid0(VALU_DEP_1) | instskip(SKIP_1) | instid1(VALU_DEP_1)
	v_cmp_lt_i32_e32 vcc_lo, v20, v11
	v_cndmask_b32_e32 v20, v9, v20, vcc_lo
	v_lshlrev_b32_e32 v20, 2, v20
	ds_bpermute_b32 v20, v20, v8
	v_max_f32_e32 v8, v8, v8
	v_cmp_lt_i32_e32 vcc_lo, v21, v11
	v_cndmask_b32_e32 v21, v9, v21, vcc_lo
	s_waitcnt lgkmcnt(0)
	s_delay_alu instid0(VALU_DEP_1) | instskip(NEXT) | instid1(VALU_DEP_1)
	v_dual_max_f32 v20, v20, v20 :: v_dual_lshlrev_b32 v21, 2, v21
	v_max_f32_e32 v8, v8, v20
	ds_bpermute_b32 v20, v21, v8
	v_xor_b32_e32 v21, 1, v9
	s_delay_alu instid0(VALU_DEP_1) | instskip(SKIP_3) | instid1(VALU_DEP_1)
	v_cmp_lt_i32_e32 vcc_lo, v21, v11
	v_cndmask_b32_e32 v9, v9, v21, vcc_lo
	s_waitcnt lgkmcnt(0)
	v_max_f32_e32 v11, v20, v20
	v_dual_max_f32 v8, v8, v11 :: v_dual_lshlrev_b32 v9, 2, v9
	ds_bpermute_b32 v9, v9, v8
	s_waitcnt lgkmcnt(0)
	v_max_f32_e32 v9, v9, v9
	s_delay_alu instid0(VALU_DEP_1) | instskip(NEXT) | instid1(VALU_DEP_1)
	v_max_f32_e32 v8, v8, v9
	v_div_scale_f32 v9, null, s10, s10, v8
	v_div_scale_f32 v21, vcc_lo, v8, s10, v8
	s_delay_alu instid0(VALU_DEP_2) | instskip(SKIP_2) | instid1(VALU_DEP_1)
	v_rcp_f32_e32 v11, v9
	s_waitcnt_depctr 0xfff
	v_fma_f32 v20, -v9, v11, 1.0
	v_fmac_f32_e32 v11, v20, v11
	s_delay_alu instid0(VALU_DEP_1) | instskip(NEXT) | instid1(VALU_DEP_1)
	v_mul_f32_e32 v20, v21, v11
	v_fma_f32 v22, -v9, v20, v21
	s_delay_alu instid0(VALU_DEP_1) | instskip(NEXT) | instid1(VALU_DEP_1)
	v_fmac_f32_e32 v20, v22, v11
	v_fma_f32 v9, -v9, v20, v21
	s_delay_alu instid0(VALU_DEP_1) | instskip(NEXT) | instid1(VALU_DEP_1)
	v_div_fmas_f32 v9, v9, v11, v20
	v_div_fixup_f32 v8, v9, s10, v8
	s_delay_alu instid0(VALU_DEP_1) | instskip(NEXT) | instid1(VALU_DEP_1)
	v_max_f32_e32 v8, 0x2edbe6ff, v8
	v_and_b32_e32 v9, 0x7fffff, v8
	v_lshrrev_b32_e32 v8, 23, v8
	s_delay_alu instid0(VALU_DEP_2) | instskip(NEXT) | instid1(VALU_DEP_2)
	v_cmp_ne_u32_e32 vcc_lo, 0, v9
	v_add_co_ci_u32_e32 v20, vcc_lo, 0, v8, vcc_lo
	v_cmpx_eq_u32_e32 0, v15
	s_cbranch_execz .LBB48_8
; %bb.4:
	v_ashrrev_i32_e32 v8, 31, v10
	s_delay_alu instid0(VALU_DEP_1) | instskip(NEXT) | instid1(VALU_DEP_1)
	v_lshrrev_b32_e32 v8, 30, v8
	v_add_nc_u32_e32 v8, v10, v8
	s_delay_alu instid0(VALU_DEP_1) | instskip(NEXT) | instid1(VALU_DEP_1)
	v_ashrrev_i32_e32 v11, 2, v8
	v_mad_u64_u32 v[8:9], null, v11, s7, v[12:13]
	v_mov_b32_e32 v9, v20
	s_and_saveexec_b32 s7, s8
	s_cbranch_execz .LBB48_6
; %bb.5:
	s_load_b64 s[14:15], s[0:1], 0x30
	s_delay_alu instid0(VALU_DEP_2) | instskip(SKIP_2) | instid1(VALU_DEP_1)
	v_ashrrev_i32_e32 v9, 31, v8
	s_and_not1_b32 s11, s11, exec_lo
	s_waitcnt lgkmcnt(0)
	v_cmp_gt_i64_e32 vcc_lo, s[14:15], v[8:9]
	v_mov_b32_e32 v9, 0
	s_and_b32 s13, vcc_lo, exec_lo
	s_delay_alu instid0(SALU_CYCLE_1)
	s_or_b32 s11, s11, s13
.LBB48_6:
	s_or_b32 exec_lo, exec_lo, s7
	s_delay_alu instid0(SALU_CYCLE_1)
	s_and_b32 exec_lo, exec_lo, s11
	s_cbranch_execz .LBB48_8
; %bb.7:
	s_load_b64 s[14:15], s[0:1], 0x10
	v_lshlrev_b32_e32 v11, 2, v11
	s_delay_alu instid0(VALU_DEP_1) | instskip(NEXT) | instid1(VALU_DEP_1)
	v_sub_nc_u32_e32 v10, v10, v11
	v_lshl_add_u32 v8, v8, 2, v10
	s_delay_alu instid0(VALU_DEP_1) | instskip(SKIP_2) | instid1(VALU_DEP_2)
	v_ashrrev_i32_e32 v11, 31, v8
	s_waitcnt lgkmcnt(0)
	v_add_co_u32 v10, vcc_lo, s14, v8
	v_add_co_ci_u32_e32 v11, vcc_lo, s15, v11, vcc_lo
	global_store_b8 v[10:11], v9, off
.LBB48_8:
	s_or_b32 exec_lo, exec_lo, s12
                                        ; implicit-def: $sgpr7
	s_and_saveexec_b32 s11, s8
	s_delay_alu instid0(SALU_CYCLE_1)
	s_xor_b32 s8, exec_lo, s11
; %bb.9:
	v_cmp_gt_i32_e32 vcc_lo, s6, v12
	s_xor_b32 s2, s2, -1
	s_mov_b32 s7, 0
                                        ; implicit-def: $vgpr14
                                        ; implicit-def: $vgpr3
                                        ; implicit-def: $vgpr17
                                        ; implicit-def: $vgpr18
                                        ; implicit-def: $vgpr23
                                        ; implicit-def: $vgpr26
                                        ; implicit-def: $vgpr7
                                        ; implicit-def: $vgpr28
                                        ; implicit-def: $vgpr24
                                        ; implicit-def: $vgpr19
                                        ; implicit-def: $vgpr20
	s_and_b32 s2, vcc_lo, s2
	s_delay_alu instid0(SALU_CYCLE_1) | instskip(NEXT) | instid1(SALU_CYCLE_1)
	s_and_b32 s2, s3, s2
	s_and_b32 s5, s2, exec_lo
; %bb.10:
	s_or_saveexec_b32 s2, s8
	v_dual_mov_b32 v11, s7 :: v_dual_mov_b32 v10, s7
	v_dual_mov_b32 v9, s7 :: v_dual_mov_b32 v8, s7
	s_xor_b32 exec_lo, exec_lo, s2
	s_cbranch_execz .LBB48_108
; %bb.11:
	v_lshlrev_b32_e32 v8, 23, v20
	v_lshlrev_b32_e32 v4, 16, v4
	v_max_f32_e64 v22, s10, s10
	s_mov_b32 s3, exec_lo
	s_delay_alu instid0(VALU_DEP_3) | instskip(NEXT) | instid1(VALU_DEP_1)
	v_and_b32_e32 v8, 0x7f800000, v8
	v_div_scale_f32 v9, null, v8, v8, 1.0
	v_div_scale_f32 v20, vcc_lo, 1.0, v8, 1.0
	s_delay_alu instid0(VALU_DEP_2) | instskip(SKIP_2) | instid1(VALU_DEP_1)
	v_rcp_f32_e32 v10, v9
	s_waitcnt_depctr 0xfff
	v_fma_f32 v11, -v9, v10, 1.0
	v_fmac_f32_e32 v10, v11, v10
	s_delay_alu instid0(VALU_DEP_1) | instskip(NEXT) | instid1(VALU_DEP_1)
	v_mul_f32_e32 v11, v20, v10
	v_fma_f32 v21, -v9, v11, v20
	s_delay_alu instid0(VALU_DEP_1) | instskip(SKIP_1) | instid1(VALU_DEP_2)
	v_fmac_f32_e32 v11, v21, v10
	v_max_f32_e64 v21, s9, s9
	v_fma_f32 v9, -v9, v11, v20
	s_delay_alu instid0(VALU_DEP_1) | instskip(NEXT) | instid1(VALU_DEP_1)
	v_div_fmas_f32 v9, v9, v10, v11
	v_div_fixup_f32 v20, v9, v8, 1.0
	v_mov_b32_e32 v8, 0x7f
	s_delay_alu instid0(VALU_DEP_2) | instskip(NEXT) | instid1(VALU_DEP_1)
	v_mul_f32_e32 v4, v20, v4
	v_maxmin_f32 v9, v4, v21, v22
	v_mov_b32_e32 v4, 0x7f
	s_delay_alu instid0(VALU_DEP_2) | instskip(NEXT) | instid1(VALU_DEP_1)
	v_and_b32_e32 v10, 0x7fffffff, v9
	v_cmpx_gt_u32_e32 0x43f00000, v10
	s_cbranch_execz .LBB48_17
; %bb.12:
	s_mov_b32 s6, exec_lo
                                        ; implicit-def: $vgpr8
	v_cmpx_lt_u32_e32 0x3c7fffff, v10
	s_xor_b32 s6, exec_lo, s6
; %bb.13:
	v_bfe_u32 v8, v9, 20, 1
	s_delay_alu instid0(VALU_DEP_1) | instskip(NEXT) | instid1(VALU_DEP_1)
	v_add3_u32 v8, v9, v8, 0x407ffff
	v_lshrrev_b32_e32 v8, 20, v8
; %bb.14:
	s_and_not1_saveexec_b32 s6, s6
; %bb.15:
	v_add_f32_e64 v8, 0x46800000, |v9|
; %bb.16:
	s_or_b32 exec_lo, exec_lo, s6
.LBB48_17:
	s_delay_alu instid0(SALU_CYCLE_1) | instskip(SKIP_2) | instid1(VALU_DEP_1)
	s_or_b32 exec_lo, exec_lo, s3
	v_lshlrev_b32_e32 v10, 16, v19
	s_mov_b32 s3, exec_lo
	v_mul_f32_e32 v10, v20, v10
	s_delay_alu instid0(VALU_DEP_1) | instskip(NEXT) | instid1(VALU_DEP_1)
	v_maxmin_f32 v10, v10, v21, v22
	v_and_b32_e32 v11, 0x7fffffff, v10
	s_delay_alu instid0(VALU_DEP_1)
	v_cmpx_gt_u32_e32 0x43f00000, v11
	s_cbranch_execz .LBB48_23
; %bb.18:
	s_mov_b32 s6, exec_lo
                                        ; implicit-def: $vgpr4
	v_cmpx_lt_u32_e32 0x3c7fffff, v11
	s_xor_b32 s6, exec_lo, s6
; %bb.19:
	v_bfe_u32 v4, v10, 20, 1
	s_delay_alu instid0(VALU_DEP_1) | instskip(NEXT) | instid1(VALU_DEP_1)
	v_add3_u32 v4, v10, v4, 0x407ffff
	v_lshrrev_b32_e32 v4, 20, v4
; %bb.20:
	s_and_not1_saveexec_b32 s6, s6
; %bb.21:
	v_add_f32_e64 v4, 0x46800000, |v10|
; %bb.22:
	s_or_b32 exec_lo, exec_lo, s6
.LBB48_23:
	s_delay_alu instid0(SALU_CYCLE_1) | instskip(SKIP_3) | instid1(VALU_DEP_2)
	s_or_b32 exec_lo, exec_lo, s3
	v_lshlrev_b32_e32 v5, 16, v5
	v_mov_b32_e32 v19, 0x7f
	s_mov_b32 s3, exec_lo
	v_mul_f32_e32 v5, v20, v5
	s_delay_alu instid0(VALU_DEP_1) | instskip(SKIP_1) | instid1(VALU_DEP_2)
	v_maxmin_f32 v11, v5, v21, v22
	v_mov_b32_e32 v5, 0x7f
	v_and_b32_e32 v25, 0x7fffffff, v11
	s_delay_alu instid0(VALU_DEP_1)
	v_cmpx_gt_u32_e32 0x43f00000, v25
	s_cbranch_execz .LBB48_29
; %bb.24:
	s_mov_b32 s6, exec_lo
                                        ; implicit-def: $vgpr19
	v_cmpx_lt_u32_e32 0x3c7fffff, v25
	s_xor_b32 s6, exec_lo, s6
; %bb.25:
	v_bfe_u32 v19, v11, 20, 1
	s_delay_alu instid0(VALU_DEP_1) | instskip(NEXT) | instid1(VALU_DEP_1)
	v_add3_u32 v19, v11, v19, 0x407ffff
	v_lshrrev_b32_e32 v19, 20, v19
; %bb.26:
	s_and_not1_saveexec_b32 s6, s6
; %bb.27:
	v_add_f32_e64 v19, 0x46800000, |v11|
; %bb.28:
	s_or_b32 exec_lo, exec_lo, s6
.LBB48_29:
	s_delay_alu instid0(SALU_CYCLE_1) | instskip(SKIP_2) | instid1(VALU_DEP_1)
	s_or_b32 exec_lo, exec_lo, s3
	v_lshlrev_b32_e32 v24, 16, v24
	s_mov_b32 s3, exec_lo
	v_mul_f32_e32 v24, v20, v24
	s_delay_alu instid0(VALU_DEP_1) | instskip(NEXT) | instid1(VALU_DEP_1)
	v_maxmin_f32 v24, v24, v21, v22
	v_and_b32_e32 v25, 0x7fffffff, v24
	s_delay_alu instid0(VALU_DEP_1)
	v_cmpx_gt_u32_e32 0x43f00000, v25
	s_cbranch_execz .LBB48_35
; %bb.30:
	s_mov_b32 s6, exec_lo
                                        ; implicit-def: $vgpr5
	v_cmpx_lt_u32_e32 0x3c7fffff, v25
	s_xor_b32 s6, exec_lo, s6
; %bb.31:
	v_bfe_u32 v5, v24, 20, 1
	s_delay_alu instid0(VALU_DEP_1) | instskip(NEXT) | instid1(VALU_DEP_1)
	v_add3_u32 v5, v24, v5, 0x407ffff
	v_lshrrev_b32_e32 v5, 20, v5
; %bb.32:
	s_and_not1_saveexec_b32 s6, s6
; %bb.33:
	v_add_f32_e64 v5, 0x46800000, |v24|
; %bb.34:
	s_or_b32 exec_lo, exec_lo, s6
.LBB48_35:
	s_delay_alu instid0(SALU_CYCLE_1) | instskip(SKIP_2) | instid1(VALU_DEP_1)
	s_or_b32 exec_lo, exec_lo, s3
	v_dual_mov_b32 v25, 0x7f :: v_dual_lshlrev_b32 v6, 16, v6
	s_mov_b32 s3, exec_lo
	v_mul_f32_e32 v6, v20, v6
	s_delay_alu instid0(VALU_DEP_1) | instskip(SKIP_1) | instid1(VALU_DEP_2)
	v_maxmin_f32 v27, v6, v21, v22
	v_mov_b32_e32 v6, 0x7f
	v_and_b32_e32 v29, 0x7fffffff, v27
	s_delay_alu instid0(VALU_DEP_1)
	v_cmpx_gt_u32_e32 0x43f00000, v29
	s_cbranch_execz .LBB48_41
; %bb.36:
	s_mov_b32 s6, exec_lo
                                        ; implicit-def: $vgpr25
	v_cmpx_lt_u32_e32 0x3c7fffff, v29
	s_xor_b32 s6, exec_lo, s6
; %bb.37:
	v_bfe_u32 v25, v27, 20, 1
	s_delay_alu instid0(VALU_DEP_1) | instskip(NEXT) | instid1(VALU_DEP_1)
	v_add3_u32 v25, v27, v25, 0x407ffff
	v_lshrrev_b32_e32 v25, 20, v25
; %bb.38:
	s_and_not1_saveexec_b32 s6, s6
; %bb.39:
	v_add_f32_e64 v25, 0x46800000, |v27|
; %bb.40:
	s_or_b32 exec_lo, exec_lo, s6
.LBB48_41:
	s_delay_alu instid0(SALU_CYCLE_1) | instskip(SKIP_2) | instid1(VALU_DEP_1)
	s_or_b32 exec_lo, exec_lo, s3
	v_lshlrev_b32_e32 v28, 16, v28
	s_mov_b32 s3, exec_lo
	v_mul_f32_e32 v28, v20, v28
	s_delay_alu instid0(VALU_DEP_1) | instskip(NEXT) | instid1(VALU_DEP_1)
	v_maxmin_f32 v28, v28, v21, v22
	v_and_b32_e32 v29, 0x7fffffff, v28
	s_delay_alu instid0(VALU_DEP_1)
	v_cmpx_gt_u32_e32 0x43f00000, v29
	s_cbranch_execz .LBB48_47
; %bb.42:
	s_mov_b32 s6, exec_lo
                                        ; implicit-def: $vgpr6
	v_cmpx_lt_u32_e32 0x3c7fffff, v29
	s_xor_b32 s6, exec_lo, s6
; %bb.43:
	v_bfe_u32 v6, v28, 20, 1
	s_delay_alu instid0(VALU_DEP_1) | instskip(NEXT) | instid1(VALU_DEP_1)
	v_add3_u32 v6, v28, v6, 0x407ffff
	v_lshrrev_b32_e32 v6, 20, v6
; %bb.44:
	s_and_not1_saveexec_b32 s6, s6
; %bb.45:
	v_add_f32_e64 v6, 0x46800000, |v28|
; %bb.46:
	s_or_b32 exec_lo, exec_lo, s6
.LBB48_47:
	s_delay_alu instid0(SALU_CYCLE_1) | instskip(SKIP_3) | instid1(VALU_DEP_2)
	s_or_b32 exec_lo, exec_lo, s3
	v_lshlrev_b32_e32 v7, 16, v7
	v_mov_b32_e32 v29, 0x7f
	s_mov_b32 s3, exec_lo
	v_mul_f32_e32 v7, v20, v7
	s_delay_alu instid0(VALU_DEP_1) | instskip(SKIP_1) | instid1(VALU_DEP_2)
	v_maxmin_f32 v30, v7, v21, v22
	v_mov_b32_e32 v7, 0x7f
	v_and_b32_e32 v31, 0x7fffffff, v30
	s_delay_alu instid0(VALU_DEP_1)
	v_cmpx_gt_u32_e32 0x43f00000, v31
	s_cbranch_execz .LBB48_53
; %bb.48:
	s_mov_b32 s6, exec_lo
                                        ; implicit-def: $vgpr29
	v_cmpx_lt_u32_e32 0x3c7fffff, v31
	s_xor_b32 s6, exec_lo, s6
; %bb.49:
	v_bfe_u32 v29, v30, 20, 1
	s_delay_alu instid0(VALU_DEP_1) | instskip(NEXT) | instid1(VALU_DEP_1)
	v_add3_u32 v29, v30, v29, 0x407ffff
	v_lshrrev_b32_e32 v29, 20, v29
; %bb.50:
	s_and_not1_saveexec_b32 s6, s6
; %bb.51:
	v_add_f32_e64 v29, 0x46800000, |v30|
; %bb.52:
	s_or_b32 exec_lo, exec_lo, s6
.LBB48_53:
	s_delay_alu instid0(SALU_CYCLE_1) | instskip(SKIP_2) | instid1(VALU_DEP_1)
	s_or_b32 exec_lo, exec_lo, s3
	v_lshlrev_b32_e32 v26, 16, v26
	s_mov_b32 s3, exec_lo
	v_mul_f32_e32 v26, v20, v26
	s_delay_alu instid0(VALU_DEP_1) | instskip(NEXT) | instid1(VALU_DEP_1)
	v_maxmin_f32 v26, v26, v21, v22
	v_and_b32_e32 v31, 0x7fffffff, v26
	s_delay_alu instid0(VALU_DEP_1)
	v_cmpx_gt_u32_e32 0x43f00000, v31
	s_cbranch_execz .LBB48_59
; %bb.54:
	s_mov_b32 s6, exec_lo
                                        ; implicit-def: $vgpr7
	v_cmpx_lt_u32_e32 0x3c7fffff, v31
	s_xor_b32 s6, exec_lo, s6
; %bb.55:
	v_bfe_u32 v7, v26, 20, 1
	s_delay_alu instid0(VALU_DEP_1) | instskip(NEXT) | instid1(VALU_DEP_1)
	v_add3_u32 v7, v26, v7, 0x407ffff
	v_lshrrev_b32_e32 v7, 20, v7
; %bb.56:
	s_and_not1_saveexec_b32 s6, s6
; %bb.57:
	v_add_f32_e64 v7, 0x46800000, |v26|
; %bb.58:
	s_or_b32 exec_lo, exec_lo, s6
.LBB48_59:
	s_delay_alu instid0(SALU_CYCLE_1) | instskip(SKIP_2) | instid1(VALU_DEP_1)
	s_or_b32 exec_lo, exec_lo, s3
	v_dual_mov_b32 v31, 0x7f :: v_dual_lshlrev_b32 v0, 16, v0
	s_mov_b32 s3, exec_lo
	v_mul_f32_e32 v0, v20, v0
	s_delay_alu instid0(VALU_DEP_1) | instskip(SKIP_1) | instid1(VALU_DEP_2)
	v_maxmin_f32 v32, v0, v21, v22
	v_mov_b32_e32 v0, 0x7f
	v_and_b32_e32 v33, 0x7fffffff, v32
	s_delay_alu instid0(VALU_DEP_1)
	v_cmpx_gt_u32_e32 0x43f00000, v33
	s_cbranch_execz .LBB48_65
; %bb.60:
	s_mov_b32 s6, exec_lo
                                        ; implicit-def: $vgpr31
	v_cmpx_lt_u32_e32 0x3c7fffff, v33
	s_xor_b32 s6, exec_lo, s6
; %bb.61:
	v_bfe_u32 v31, v32, 20, 1
	s_delay_alu instid0(VALU_DEP_1) | instskip(NEXT) | instid1(VALU_DEP_1)
	v_add3_u32 v31, v32, v31, 0x407ffff
	v_lshrrev_b32_e32 v31, 20, v31
; %bb.62:
	s_and_not1_saveexec_b32 s6, s6
; %bb.63:
	v_add_f32_e64 v31, 0x46800000, |v32|
; %bb.64:
	s_or_b32 exec_lo, exec_lo, s6
.LBB48_65:
	s_delay_alu instid0(SALU_CYCLE_1) | instskip(SKIP_2) | instid1(VALU_DEP_1)
	s_or_b32 exec_lo, exec_lo, s3
	v_lshlrev_b32_e32 v23, 16, v23
	s_mov_b32 s3, exec_lo
	v_mul_f32_e32 v23, v20, v23
	s_delay_alu instid0(VALU_DEP_1) | instskip(NEXT) | instid1(VALU_DEP_1)
	v_maxmin_f32 v23, v23, v21, v22
	v_and_b32_e32 v33, 0x7fffffff, v23
	s_delay_alu instid0(VALU_DEP_1)
	v_cmpx_gt_u32_e32 0x43f00000, v33
	s_cbranch_execz .LBB48_71
; %bb.66:
	s_mov_b32 s6, exec_lo
                                        ; implicit-def: $vgpr0
	v_cmpx_lt_u32_e32 0x3c7fffff, v33
	s_xor_b32 s6, exec_lo, s6
; %bb.67:
	v_bfe_u32 v0, v23, 20, 1
	s_delay_alu instid0(VALU_DEP_1) | instskip(NEXT) | instid1(VALU_DEP_1)
	v_add3_u32 v0, v23, v0, 0x407ffff
	v_lshrrev_b32_e32 v0, 20, v0
; %bb.68:
	s_and_not1_saveexec_b32 s6, s6
; %bb.69:
	v_add_f32_e64 v0, 0x46800000, |v23|
; %bb.70:
	s_or_b32 exec_lo, exec_lo, s6
.LBB48_71:
	s_delay_alu instid0(SALU_CYCLE_1) | instskip(SKIP_3) | instid1(VALU_DEP_2)
	s_or_b32 exec_lo, exec_lo, s3
	v_lshlrev_b32_e32 v1, 16, v1
	v_mov_b32_e32 v33, 0x7f
	s_mov_b32 s3, exec_lo
	v_mul_f32_e32 v1, v20, v1
	s_delay_alu instid0(VALU_DEP_1) | instskip(SKIP_1) | instid1(VALU_DEP_2)
	v_maxmin_f32 v34, v1, v21, v22
	v_mov_b32_e32 v1, 0x7f
	v_and_b32_e32 v35, 0x7fffffff, v34
	s_delay_alu instid0(VALU_DEP_1)
	v_cmpx_gt_u32_e32 0x43f00000, v35
	s_cbranch_execz .LBB48_77
; %bb.72:
	s_mov_b32 s6, exec_lo
                                        ; implicit-def: $vgpr33
	v_cmpx_lt_u32_e32 0x3c7fffff, v35
	s_xor_b32 s6, exec_lo, s6
; %bb.73:
	v_bfe_u32 v33, v34, 20, 1
	s_delay_alu instid0(VALU_DEP_1) | instskip(NEXT) | instid1(VALU_DEP_1)
	v_add3_u32 v33, v34, v33, 0x407ffff
	v_lshrrev_b32_e32 v33, 20, v33
; %bb.74:
	s_and_not1_saveexec_b32 s6, s6
; %bb.75:
	v_add_f32_e64 v33, 0x46800000, |v34|
; %bb.76:
	s_or_b32 exec_lo, exec_lo, s6
.LBB48_77:
	s_delay_alu instid0(SALU_CYCLE_1) | instskip(SKIP_2) | instid1(VALU_DEP_1)
	s_or_b32 exec_lo, exec_lo, s3
	v_lshlrev_b32_e32 v18, 16, v18
	s_mov_b32 s3, exec_lo
	v_mul_f32_e32 v18, v20, v18
	s_delay_alu instid0(VALU_DEP_1) | instskip(NEXT) | instid1(VALU_DEP_1)
	v_maxmin_f32 v18, v18, v21, v22
	v_and_b32_e32 v35, 0x7fffffff, v18
	s_delay_alu instid0(VALU_DEP_1)
	v_cmpx_gt_u32_e32 0x43f00000, v35
	s_cbranch_execz .LBB48_83
; %bb.78:
	s_mov_b32 s6, exec_lo
                                        ; implicit-def: $vgpr1
	v_cmpx_lt_u32_e32 0x3c7fffff, v35
	s_xor_b32 s6, exec_lo, s6
; %bb.79:
	v_bfe_u32 v1, v18, 20, 1
	s_delay_alu instid0(VALU_DEP_1) | instskip(NEXT) | instid1(VALU_DEP_1)
	v_add3_u32 v1, v18, v1, 0x407ffff
	v_lshrrev_b32_e32 v1, 20, v1
; %bb.80:
	s_and_not1_saveexec_b32 s6, s6
; %bb.81:
	v_add_f32_e64 v1, 0x46800000, |v18|
; %bb.82:
	s_or_b32 exec_lo, exec_lo, s6
.LBB48_83:
	s_delay_alu instid0(SALU_CYCLE_1) | instskip(SKIP_2) | instid1(VALU_DEP_1)
	s_or_b32 exec_lo, exec_lo, s3
	v_dual_mov_b32 v35, 0x7f :: v_dual_lshlrev_b32 v2, 16, v2
	s_mov_b32 s3, exec_lo
	v_mul_f32_e32 v2, v20, v2
	s_delay_alu instid0(VALU_DEP_1) | instskip(SKIP_1) | instid1(VALU_DEP_2)
	v_maxmin_f32 v36, v2, v21, v22
	v_mov_b32_e32 v2, 0x7f
	v_and_b32_e32 v37, 0x7fffffff, v36
	s_delay_alu instid0(VALU_DEP_1)
	v_cmpx_gt_u32_e32 0x43f00000, v37
	s_cbranch_execz .LBB48_89
; %bb.84:
	s_mov_b32 s6, exec_lo
                                        ; implicit-def: $vgpr35
	v_cmpx_lt_u32_e32 0x3c7fffff, v37
	s_xor_b32 s6, exec_lo, s6
; %bb.85:
	v_bfe_u32 v35, v36, 20, 1
	s_delay_alu instid0(VALU_DEP_1) | instskip(NEXT) | instid1(VALU_DEP_1)
	v_add3_u32 v35, v36, v35, 0x407ffff
	v_lshrrev_b32_e32 v35, 20, v35
; %bb.86:
	s_and_not1_saveexec_b32 s6, s6
; %bb.87:
	v_add_f32_e64 v35, 0x46800000, |v36|
; %bb.88:
	s_or_b32 exec_lo, exec_lo, s6
.LBB48_89:
	s_delay_alu instid0(SALU_CYCLE_1) | instskip(SKIP_2) | instid1(VALU_DEP_1)
	s_or_b32 exec_lo, exec_lo, s3
	v_lshlrev_b32_e32 v17, 16, v17
	s_mov_b32 s3, exec_lo
	v_mul_f32_e32 v17, v20, v17
	s_delay_alu instid0(VALU_DEP_1) | instskip(NEXT) | instid1(VALU_DEP_1)
	v_maxmin_f32 v17, v17, v21, v22
	v_and_b32_e32 v37, 0x7fffffff, v17
	s_delay_alu instid0(VALU_DEP_1)
	v_cmpx_gt_u32_e32 0x43f00000, v37
	s_cbranch_execz .LBB48_95
; %bb.90:
	s_mov_b32 s6, exec_lo
                                        ; implicit-def: $vgpr2
	v_cmpx_lt_u32_e32 0x3c7fffff, v37
	s_xor_b32 s6, exec_lo, s6
; %bb.91:
	v_bfe_u32 v2, v17, 20, 1
	s_delay_alu instid0(VALU_DEP_1) | instskip(NEXT) | instid1(VALU_DEP_1)
	v_add3_u32 v2, v17, v2, 0x407ffff
	v_lshrrev_b32_e32 v2, 20, v2
; %bb.92:
	s_and_not1_saveexec_b32 s6, s6
; %bb.93:
	v_add_f32_e64 v2, 0x46800000, |v17|
; %bb.94:
	s_or_b32 exec_lo, exec_lo, s6
.LBB48_95:
	s_delay_alu instid0(SALU_CYCLE_1) | instskip(SKIP_3) | instid1(VALU_DEP_2)
	s_or_b32 exec_lo, exec_lo, s3
	v_lshlrev_b32_e32 v3, 16, v3
	v_mov_b32_e32 v37, 0x7f
	s_mov_b32 s3, exec_lo
	v_mul_f32_e32 v3, v20, v3
	s_delay_alu instid0(VALU_DEP_1) | instskip(SKIP_1) | instid1(VALU_DEP_2)
	v_maxmin_f32 v38, v3, v21, v22
	v_mov_b32_e32 v3, 0x7f
	v_and_b32_e32 v39, 0x7fffffff, v38
	s_delay_alu instid0(VALU_DEP_1)
	v_cmpx_gt_u32_e32 0x43f00000, v39
	s_cbranch_execz .LBB48_101
; %bb.96:
	s_mov_b32 s6, exec_lo
                                        ; implicit-def: $vgpr37
	v_cmpx_lt_u32_e32 0x3c7fffff, v39
	s_xor_b32 s6, exec_lo, s6
; %bb.97:
	v_bfe_u32 v37, v38, 20, 1
	s_delay_alu instid0(VALU_DEP_1) | instskip(NEXT) | instid1(VALU_DEP_1)
	v_add3_u32 v37, v38, v37, 0x407ffff
	v_lshrrev_b32_e32 v37, 20, v37
; %bb.98:
	s_and_not1_saveexec_b32 s6, s6
; %bb.99:
	v_add_f32_e64 v37, 0x46800000, |v38|
; %bb.100:
	s_or_b32 exec_lo, exec_lo, s6
.LBB48_101:
	s_delay_alu instid0(SALU_CYCLE_1) | instskip(SKIP_2) | instid1(VALU_DEP_1)
	s_or_b32 exec_lo, exec_lo, s3
	v_lshlrev_b32_e32 v14, 16, v14
	s_mov_b32 s3, exec_lo
	v_mul_f32_e32 v14, v20, v14
	s_delay_alu instid0(VALU_DEP_1) | instskip(NEXT) | instid1(VALU_DEP_1)
	v_maxmin_f32 v14, v14, v21, v22
	v_and_b32_e32 v20, 0x7fffffff, v14
	s_delay_alu instid0(VALU_DEP_1)
	v_cmpx_gt_u32_e32 0x43f00000, v20
	s_cbranch_execz .LBB48_107
; %bb.102:
	s_mov_b32 s6, exec_lo
                                        ; implicit-def: $vgpr3
	v_cmpx_lt_u32_e32 0x3c7fffff, v20
	s_xor_b32 s6, exec_lo, s6
; %bb.103:
	v_bfe_u32 v3, v14, 20, 1
	s_delay_alu instid0(VALU_DEP_1) | instskip(NEXT) | instid1(VALU_DEP_1)
	v_add3_u32 v3, v14, v3, 0x407ffff
	v_lshrrev_b32_e32 v3, 20, v3
; %bb.104:
	s_and_not1_saveexec_b32 s6, s6
; %bb.105:
	v_add_f32_e64 v3, 0x46800000, |v14|
; %bb.106:
	s_or_b32 exec_lo, exec_lo, s6
.LBB48_107:
	s_delay_alu instid0(SALU_CYCLE_1)
	s_or_b32 exec_lo, exec_lo, s3
	v_lshrrev_b32_e32 v20, 24, v36
	v_lshrrev_b32_e32 v17, 24, v17
	v_lshrrev_b32_e32 v21, 24, v38
	v_lshrrev_b32_e32 v22, 24, v32
	v_lshrrev_b32_e32 v23, 24, v23
	v_and_b32_e32 v20, 0x80, v20
	v_and_b32_e32 v17, 0x80, v17
	v_lshrrev_b32_e32 v32, 24, v34
	v_and_b32_e32 v22, 0x80, v22
	v_and_b32_e32 v23, 0x80, v23
	v_and_or_b32 v20, 0xff, v35, v20
	v_and_or_b32 v2, 0xff, v2, v17
	v_and_b32_e32 v17, 0x80, v21
	v_and_or_b32 v21, 0xff, v31, v22
	v_and_or_b32 v0, 0xff, v0, v23
	v_and_b32_e32 v22, 0x80, v32
	v_lshl_or_b32 v2, v2, 8, v20
	v_and_or_b32 v17, 0xff, v37, v17
	v_lshrrev_b32_e32 v20, 24, v27
	v_lshl_or_b32 v0, v0, 8, v21
	v_and_or_b32 v21, 0xff, v33, v22
	v_lshrrev_b32_e32 v9, 24, v9
	v_lshl_or_b32 v2, v17, 16, v2
	v_and_b32_e32 v17, 0x80, v20
	v_lshrrev_b32_e32 v20, 24, v28
	v_lshrrev_b32_e32 v10, 24, v10
	v_lshl_or_b32 v0, v21, 16, v0
	v_lshrrev_b32_e32 v21, 24, v30
	v_and_b32_e32 v9, 0x80, v9
	v_and_b32_e32 v20, 0x80, v20
	;; [unrolled: 1-line block ×3, first 2 shown]
	v_lshrrev_b32_e32 v11, 24, v11
	v_and_or_b32 v17, 0xff, v25, v17
	v_and_or_b32 v8, 0xff, v8, v9
	;; [unrolled: 1-line block ×3, first 2 shown]
	v_and_b32_e32 v20, 0x80, v21
	v_and_or_b32 v4, 0xff, v4, v10
	v_and_b32_e32 v9, 0x80, v11
	v_lshlrev_b32_e32 v1, 24, v1
	v_lshl_or_b32 v6, v6, 8, v17
	v_and_or_b32 v10, 0xff, v29, v20
	v_lshl_or_b32 v4, v4, 8, v8
	v_and_or_b32 v8, 0xff, v19, v9
	v_and_b32_e32 v9, 0x80000000, v18
	v_lshlrev_b32_e32 v7, 24, v7
	v_lshl_or_b32 v6, v10, 16, v6
	v_and_b32_e32 v11, 0x80000000, v26
	v_lshl_or_b32 v4, v8, 16, v4
	v_lshlrev_b32_e32 v5, 24, v5
	v_and_b32_e32 v8, 0x80000000, v24
	v_and_b32_e32 v14, 0x80000000, v14
	v_lshlrev_b32_e32 v3, 24, v3
	v_or3_b32 v10, v9, v1, v0
	v_or3_b32 v9, v11, v7, v6
	v_or3_b32 v8, v8, v5, v4
	s_or_b32 s5, s5, exec_lo
	v_or3_b32 v11, v14, v3, v2
.LBB48_108:
	s_or_b32 exec_lo, exec_lo, s2
	s_delay_alu instid0(SALU_CYCLE_1)
	s_and_b32 exec_lo, exec_lo, s5
	s_cbranch_execz .LBB48_110
; %bb.109:
	s_load_b64 s[0:1], s[0:1], 0x8
	v_lshlrev_b32_e32 v2, 7, v12
	v_alignbit_b32 v0, v16, v12, 25
	s_ashr_i32 s2, s4, 31
	s_delay_alu instid0(VALU_DEP_2) | instid1(SALU_CYCLE_1)
	v_mul_lo_u32 v3, v2, s2
	s_delay_alu instid0(VALU_DEP_2) | instskip(SKIP_3) | instid1(VALU_DEP_2)
	v_mul_lo_u32 v4, v0, s4
	s_waitcnt lgkmcnt(0)
	v_mad_u64_u32 v[0:1], null, v2, s4, s[0:1]
	v_ashrrev_i32_e32 v2, 31, v13
	v_add3_u32 v1, v4, v1, v3
	v_lshlrev_b32_e32 v3, 4, v15
	s_delay_alu instid0(VALU_DEP_4) | instskip(NEXT) | instid1(VALU_DEP_3)
	v_add_co_u32 v0, vcc_lo, v0, v13
	v_add_co_ci_u32_e32 v1, vcc_lo, v1, v2, vcc_lo
	s_delay_alu instid0(VALU_DEP_2) | instskip(NEXT) | instid1(VALU_DEP_2)
	v_add_co_u32 v0, vcc_lo, v0, v3
	v_add_co_ci_u32_e32 v1, vcc_lo, 0, v1, vcc_lo
	global_store_b128 v[0:1], v[8:11], off
.LBB48_110:
	s_nop 0
	s_sendmsg sendmsg(MSG_DEALLOC_VGPRS)
	s_endpgm
	.section	.rodata,"a",@progbits
	.p2align	6, 0x0
	.amdhsa_kernel _Z49per_token_group_quant_8bit_packed_register_kernelIN3c108BFloat16ENS0_13Float8_e4m3fnELi128ELi16ELi1EEvPKT_PvPjiiiiilfff
		.amdhsa_group_segment_fixed_size 0
		.amdhsa_private_segment_fixed_size 0
		.amdhsa_kernarg_size 68
		.amdhsa_user_sgpr_count 14
		.amdhsa_user_sgpr_dispatch_ptr 0
		.amdhsa_user_sgpr_queue_ptr 0
		.amdhsa_user_sgpr_kernarg_segment_ptr 1
		.amdhsa_user_sgpr_dispatch_id 0
		.amdhsa_user_sgpr_private_segment_size 0
		.amdhsa_wavefront_size32 1
		.amdhsa_uses_dynamic_stack 0
		.amdhsa_enable_private_segment 0
		.amdhsa_system_sgpr_workgroup_id_x 1
		.amdhsa_system_sgpr_workgroup_id_y 1
		.amdhsa_system_sgpr_workgroup_id_z 0
		.amdhsa_system_sgpr_workgroup_info 0
		.amdhsa_system_vgpr_workitem_id 0
		.amdhsa_next_free_vgpr 40
		.amdhsa_next_free_sgpr 16
		.amdhsa_reserve_vcc 1
		.amdhsa_float_round_mode_32 0
		.amdhsa_float_round_mode_16_64 0
		.amdhsa_float_denorm_mode_32 3
		.amdhsa_float_denorm_mode_16_64 3
		.amdhsa_dx10_clamp 1
		.amdhsa_ieee_mode 1
		.amdhsa_fp16_overflow 0
		.amdhsa_workgroup_processor_mode 1
		.amdhsa_memory_ordered 1
		.amdhsa_forward_progress 0
		.amdhsa_shared_vgpr_count 0
		.amdhsa_exception_fp_ieee_invalid_op 0
		.amdhsa_exception_fp_denorm_src 0
		.amdhsa_exception_fp_ieee_div_zero 0
		.amdhsa_exception_fp_ieee_overflow 0
		.amdhsa_exception_fp_ieee_underflow 0
		.amdhsa_exception_fp_ieee_inexact 0
		.amdhsa_exception_int_div_zero 0
	.end_amdhsa_kernel
	.section	.text._Z49per_token_group_quant_8bit_packed_register_kernelIN3c108BFloat16ENS0_13Float8_e4m3fnELi128ELi16ELi1EEvPKT_PvPjiiiiilfff,"axG",@progbits,_Z49per_token_group_quant_8bit_packed_register_kernelIN3c108BFloat16ENS0_13Float8_e4m3fnELi128ELi16ELi1EEvPKT_PvPjiiiiilfff,comdat
.Lfunc_end48:
	.size	_Z49per_token_group_quant_8bit_packed_register_kernelIN3c108BFloat16ENS0_13Float8_e4m3fnELi128ELi16ELi1EEvPKT_PvPjiiiiilfff, .Lfunc_end48-_Z49per_token_group_quant_8bit_packed_register_kernelIN3c108BFloat16ENS0_13Float8_e4m3fnELi128ELi16ELi1EEvPKT_PvPjiiiiilfff
                                        ; -- End function
	.section	.AMDGPU.csdata,"",@progbits
; Kernel info:
; codeLenInByte = 3756
; NumSgprs: 18
; NumVgprs: 40
; ScratchSize: 0
; MemoryBound: 0
; FloatMode: 240
; IeeeMode: 1
; LDSByteSize: 0 bytes/workgroup (compile time only)
; SGPRBlocks: 2
; VGPRBlocks: 4
; NumSGPRsForWavesPerEU: 18
; NumVGPRsForWavesPerEU: 40
; Occupancy: 16
; WaveLimiterHint : 0
; COMPUTE_PGM_RSRC2:SCRATCH_EN: 0
; COMPUTE_PGM_RSRC2:USER_SGPR: 14
; COMPUTE_PGM_RSRC2:TRAP_HANDLER: 0
; COMPUTE_PGM_RSRC2:TGID_X_EN: 1
; COMPUTE_PGM_RSRC2:TGID_Y_EN: 1
; COMPUTE_PGM_RSRC2:TGID_Z_EN: 0
; COMPUTE_PGM_RSRC2:TIDIG_COMP_CNT: 0
	.section	.text._Z49per_token_group_quant_8bit_packed_register_kernelIN3c108BFloat16ENS0_13Float8_e4m3fnELi128ELi8ELi2EEvPKT_PvPjiiiiilfff,"axG",@progbits,_Z49per_token_group_quant_8bit_packed_register_kernelIN3c108BFloat16ENS0_13Float8_e4m3fnELi128ELi8ELi2EEvPKT_PvPjiiiiilfff,comdat
	.protected	_Z49per_token_group_quant_8bit_packed_register_kernelIN3c108BFloat16ENS0_13Float8_e4m3fnELi128ELi8ELi2EEvPKT_PvPjiiiiilfff ; -- Begin function _Z49per_token_group_quant_8bit_packed_register_kernelIN3c108BFloat16ENS0_13Float8_e4m3fnELi128ELi8ELi2EEvPKT_PvPjiiiiilfff
	.globl	_Z49per_token_group_quant_8bit_packed_register_kernelIN3c108BFloat16ENS0_13Float8_e4m3fnELi128ELi8ELi2EEvPKT_PvPjiiiiilfff
	.p2align	8
	.type	_Z49per_token_group_quant_8bit_packed_register_kernelIN3c108BFloat16ENS0_13Float8_e4m3fnELi128ELi8ELi2EEvPKT_PvPjiiiiilfff,@function
_Z49per_token_group_quant_8bit_packed_register_kernelIN3c108BFloat16ENS0_13Float8_e4m3fnELi128ELi8ELi2EEvPKT_PvPjiiiiilfff: ; @_Z49per_token_group_quant_8bit_packed_register_kernelIN3c108BFloat16ENS0_13Float8_e4m3fnELi128ELi8ELi2EEvPKT_PvPjiiiiilfff
; %bb.0:
	s_load_b128 s[4:7], s[0:1], 0x1c
	v_lshrrev_b32_e32 v1, 6, v0
	s_mov_b32 s2, exec_lo
	s_delay_alu instid0(VALU_DEP_1) | instskip(SKIP_1) | instid1(VALU_DEP_1)
	v_lshl_add_u32 v12, s15, 1, v1
	s_waitcnt lgkmcnt(0)
	v_cmpx_gt_i32_e64 s7, v12
	s_cbranch_execz .LBB49_110
; %bb.1:
	s_load_b128 s[8:11], s[0:1], 0x38
	v_lshrrev_b32_e32 v1, 3, v0
	s_lshl_b32 s2, s14, 3
	v_and_b32_e32 v15, 7, v0
	v_ashrrev_i32_e32 v16, 31, v12
                                        ; implicit-def: $vgpr14
                                        ; implicit-def: $vgpr3
                                        ; implicit-def: $vgpr17
                                        ; implicit-def: $vgpr18
                                        ; implicit-def: $vgpr23
                                        ; implicit-def: $vgpr26
                                        ; implicit-def: $vgpr7
                                        ; implicit-def: $vgpr28
                                        ; implicit-def: $vgpr24
                                        ; implicit-def: $vgpr19
	s_delay_alu instid0(VALU_DEP_3) | instskip(SKIP_1) | instid1(VALU_DEP_2)
	v_and_or_b32 v10, v1, 7, s2
	v_cmp_gt_i32_e64 s2, s5, v12
	v_cmp_gt_i32_e64 s3, s4, v10
	v_lshlrev_b32_e32 v13, 7, v10
	s_waitcnt lgkmcnt(0)
	s_delay_alu instid0(VALU_DEP_2)
	s_and_b32 s11, s2, s3
	v_mov_b32_e32 v8, s8
	s_and_saveexec_b32 s5, s11
	s_cbranch_execz .LBB49_3
; %bb.2:
	s_load_b64 s[12:13], s[0:1], 0x0
	v_lshlrev_b32_e32 v2, 8, v12
	v_alignbit_b32 v0, v16, v12, 24
	s_ashr_i32 s14, s4, 31
	v_ashrrev_i32_e32 v14, 31, v13
	s_delay_alu instid0(VALU_DEP_3) | instskip(NEXT) | instid1(VALU_DEP_3)
	v_mul_lo_u32 v4, v2, s14
	v_mul_lo_u32 v5, v0, s4
	s_waitcnt lgkmcnt(0)
	v_mad_u64_u32 v[0:1], null, v2, s4, s[12:13]
	v_lshlrev_b64 v[2:3], 1, v[13:14]
	s_delay_alu instid0(VALU_DEP_2) | instskip(SKIP_1) | instid1(VALU_DEP_3)
	v_add3_u32 v1, v5, v1, v4
	v_lshlrev_b32_e32 v4, 5, v15
	v_add_co_u32 v0, vcc_lo, v0, v2
	s_delay_alu instid0(VALU_DEP_3) | instskip(NEXT) | instid1(VALU_DEP_2)
	v_add_co_ci_u32_e32 v1, vcc_lo, v1, v3, vcc_lo
	v_add_co_u32 v0, vcc_lo, v0, v4
	s_delay_alu instid0(VALU_DEP_2)
	v_add_co_ci_u32_e32 v1, vcc_lo, 0, v1, vcc_lo
	s_clause 0x1
	global_load_b128 v[4:7], v[0:1], off
	global_load_b128 v[0:3], v[0:1], off offset:16
	s_waitcnt vmcnt(1)
	v_lshlrev_b32_e32 v8, 16, v4
	v_and_b32_e32 v9, 0xffff0000, v4
	v_lshlrev_b32_e32 v11, 16, v5
	v_and_b32_e32 v14, 0xffff0000, v5
	v_and_b32_e32 v17, 0xffff0000, v6
	v_lshrrev_b32_e32 v19, 16, v4
	v_max3_f32 v8, s8, |v8|, |v9|
	v_lshlrev_b32_e32 v9, 16, v6
	v_lshrrev_b32_e32 v24, 16, v5
	v_lshrrev_b32_e32 v28, 16, v6
	;; [unrolled: 1-line block ×3, first 2 shown]
	v_max3_f32 v8, v8, |v11|, |v14|
	v_lshlrev_b32_e32 v11, 16, v7
	v_and_b32_e32 v14, 0xffff0000, v7
	s_waitcnt vmcnt(0)
	v_lshrrev_b32_e32 v23, 16, v0
	v_lshrrev_b32_e32 v18, 16, v1
	v_max3_f32 v8, v8, |v9|, |v17|
	v_lshlrev_b32_e32 v9, 16, v0
	v_and_b32_e32 v17, 0xffff0000, v0
	s_delay_alu instid0(VALU_DEP_3) | instskip(SKIP_2) | instid1(VALU_DEP_3)
	v_max3_f32 v8, v8, |v11|, |v14|
	v_lshlrev_b32_e32 v11, 16, v1
	v_and_b32_e32 v14, 0xffff0000, v1
	v_max3_f32 v8, v8, |v9|, |v17|
	v_lshlrev_b32_e32 v9, 16, v2
	v_and_b32_e32 v17, 0xffff0000, v2
	s_delay_alu instid0(VALU_DEP_3) | instskip(SKIP_2) | instid1(VALU_DEP_3)
	v_max3_f32 v8, v8, |v11|, |v14|
	v_lshlrev_b32_e32 v11, 16, v3
	v_lshrrev_b32_e32 v14, 16, v3
	v_max3_f32 v8, v8, |v9|, |v17|
	v_and_b32_e32 v9, 0xffff0000, v3
	v_lshrrev_b32_e32 v17, 16, v2
	s_delay_alu instid0(VALU_DEP_2)
	v_max3_f32 v8, v8, |v11|, |v9|
.LBB49_3:
	s_or_b32 exec_lo, exec_lo, s5
	v_mbcnt_lo_u32_b32 v9, -1, 0
	s_xor_b32 s8, s11, -1
	s_mov_b32 s5, 0
	s_mov_b32 s12, exec_lo
	s_delay_alu instid0(VALU_DEP_1) | instskip(SKIP_2) | instid1(VALU_DEP_2)
	v_xor_b32_e32 v20, 4, v9
	v_and_b32_e32 v11, 24, v9
	v_xor_b32_e32 v21, 2, v9
	v_add_nc_u32_e32 v11, 8, v11
	s_delay_alu instid0(VALU_DEP_1) | instskip(SKIP_1) | instid1(VALU_DEP_1)
	v_cmp_lt_i32_e32 vcc_lo, v20, v11
	v_cndmask_b32_e32 v20, v9, v20, vcc_lo
	v_lshlrev_b32_e32 v20, 2, v20
	ds_bpermute_b32 v20, v20, v8
	v_max_f32_e32 v8, v8, v8
	v_cmp_lt_i32_e32 vcc_lo, v21, v11
	v_cndmask_b32_e32 v21, v9, v21, vcc_lo
	s_waitcnt lgkmcnt(0)
	s_delay_alu instid0(VALU_DEP_1) | instskip(NEXT) | instid1(VALU_DEP_1)
	v_dual_max_f32 v20, v20, v20 :: v_dual_lshlrev_b32 v21, 2, v21
	v_max_f32_e32 v8, v8, v20
	ds_bpermute_b32 v20, v21, v8
	v_xor_b32_e32 v21, 1, v9
	s_delay_alu instid0(VALU_DEP_1) | instskip(SKIP_3) | instid1(VALU_DEP_1)
	v_cmp_lt_i32_e32 vcc_lo, v21, v11
	v_cndmask_b32_e32 v9, v9, v21, vcc_lo
	s_waitcnt lgkmcnt(0)
	v_max_f32_e32 v11, v20, v20
	v_dual_max_f32 v8, v8, v11 :: v_dual_lshlrev_b32 v9, 2, v9
	ds_bpermute_b32 v9, v9, v8
	s_waitcnt lgkmcnt(0)
	v_max_f32_e32 v9, v9, v9
	s_delay_alu instid0(VALU_DEP_1) | instskip(NEXT) | instid1(VALU_DEP_1)
	v_max_f32_e32 v8, v8, v9
	v_div_scale_f32 v9, null, s10, s10, v8
	v_div_scale_f32 v21, vcc_lo, v8, s10, v8
	s_delay_alu instid0(VALU_DEP_2) | instskip(SKIP_2) | instid1(VALU_DEP_1)
	v_rcp_f32_e32 v11, v9
	s_waitcnt_depctr 0xfff
	v_fma_f32 v20, -v9, v11, 1.0
	v_fmac_f32_e32 v11, v20, v11
	s_delay_alu instid0(VALU_DEP_1) | instskip(NEXT) | instid1(VALU_DEP_1)
	v_mul_f32_e32 v20, v21, v11
	v_fma_f32 v22, -v9, v20, v21
	s_delay_alu instid0(VALU_DEP_1) | instskip(NEXT) | instid1(VALU_DEP_1)
	v_fmac_f32_e32 v20, v22, v11
	v_fma_f32 v9, -v9, v20, v21
	s_delay_alu instid0(VALU_DEP_1) | instskip(NEXT) | instid1(VALU_DEP_1)
	v_div_fmas_f32 v9, v9, v11, v20
	v_div_fixup_f32 v8, v9, s10, v8
	s_delay_alu instid0(VALU_DEP_1) | instskip(NEXT) | instid1(VALU_DEP_1)
	v_max_f32_e32 v8, 0x2edbe6ff, v8
	v_and_b32_e32 v9, 0x7fffff, v8
	v_lshrrev_b32_e32 v8, 23, v8
	s_delay_alu instid0(VALU_DEP_2) | instskip(NEXT) | instid1(VALU_DEP_2)
	v_cmp_ne_u32_e32 vcc_lo, 0, v9
	v_add_co_ci_u32_e32 v20, vcc_lo, 0, v8, vcc_lo
	v_cmpx_eq_u32_e32 0, v15
	s_cbranch_execz .LBB49_8
; %bb.4:
	v_ashrrev_i32_e32 v8, 31, v10
	s_delay_alu instid0(VALU_DEP_1) | instskip(NEXT) | instid1(VALU_DEP_1)
	v_lshrrev_b32_e32 v8, 30, v8
	v_add_nc_u32_e32 v8, v10, v8
	s_delay_alu instid0(VALU_DEP_1) | instskip(NEXT) | instid1(VALU_DEP_1)
	v_ashrrev_i32_e32 v11, 2, v8
	v_mad_u64_u32 v[8:9], null, v11, s7, v[12:13]
	v_mov_b32_e32 v9, v20
	s_and_saveexec_b32 s7, s8
	s_cbranch_execz .LBB49_6
; %bb.5:
	s_load_b64 s[14:15], s[0:1], 0x30
	s_delay_alu instid0(VALU_DEP_2) | instskip(SKIP_2) | instid1(VALU_DEP_1)
	v_ashrrev_i32_e32 v9, 31, v8
	s_and_not1_b32 s11, s11, exec_lo
	s_waitcnt lgkmcnt(0)
	v_cmp_gt_i64_e32 vcc_lo, s[14:15], v[8:9]
	v_mov_b32_e32 v9, 0
	s_and_b32 s13, vcc_lo, exec_lo
	s_delay_alu instid0(SALU_CYCLE_1)
	s_or_b32 s11, s11, s13
.LBB49_6:
	s_or_b32 exec_lo, exec_lo, s7
	s_delay_alu instid0(SALU_CYCLE_1)
	s_and_b32 exec_lo, exec_lo, s11
	s_cbranch_execz .LBB49_8
; %bb.7:
	s_load_b64 s[14:15], s[0:1], 0x10
	v_lshlrev_b32_e32 v11, 2, v11
	s_delay_alu instid0(VALU_DEP_1) | instskip(NEXT) | instid1(VALU_DEP_1)
	v_sub_nc_u32_e32 v10, v10, v11
	v_lshl_add_u32 v8, v8, 2, v10
	s_delay_alu instid0(VALU_DEP_1) | instskip(SKIP_2) | instid1(VALU_DEP_2)
	v_ashrrev_i32_e32 v11, 31, v8
	s_waitcnt lgkmcnt(0)
	v_add_co_u32 v10, vcc_lo, s14, v8
	v_add_co_ci_u32_e32 v11, vcc_lo, s15, v11, vcc_lo
	global_store_b8 v[10:11], v9, off
.LBB49_8:
	s_or_b32 exec_lo, exec_lo, s12
                                        ; implicit-def: $sgpr7
	s_and_saveexec_b32 s11, s8
	s_delay_alu instid0(SALU_CYCLE_1)
	s_xor_b32 s8, exec_lo, s11
; %bb.9:
	v_cmp_gt_i32_e32 vcc_lo, s6, v12
	s_xor_b32 s2, s2, -1
	s_mov_b32 s7, 0
                                        ; implicit-def: $vgpr14
                                        ; implicit-def: $vgpr3
                                        ; implicit-def: $vgpr17
                                        ; implicit-def: $vgpr18
                                        ; implicit-def: $vgpr23
                                        ; implicit-def: $vgpr26
                                        ; implicit-def: $vgpr7
                                        ; implicit-def: $vgpr28
                                        ; implicit-def: $vgpr24
                                        ; implicit-def: $vgpr19
                                        ; implicit-def: $vgpr20
	s_and_b32 s2, vcc_lo, s2
	s_delay_alu instid0(SALU_CYCLE_1) | instskip(NEXT) | instid1(SALU_CYCLE_1)
	s_and_b32 s2, s3, s2
	s_and_b32 s5, s2, exec_lo
; %bb.10:
	s_or_saveexec_b32 s2, s8
	v_dual_mov_b32 v11, s7 :: v_dual_mov_b32 v10, s7
	v_dual_mov_b32 v9, s7 :: v_dual_mov_b32 v8, s7
	s_xor_b32 exec_lo, exec_lo, s2
	s_cbranch_execz .LBB49_108
; %bb.11:
	v_lshlrev_b32_e32 v8, 23, v20
	v_lshlrev_b32_e32 v4, 16, v4
	v_max_f32_e64 v22, s10, s10
	s_mov_b32 s3, exec_lo
	s_delay_alu instid0(VALU_DEP_3) | instskip(NEXT) | instid1(VALU_DEP_1)
	v_and_b32_e32 v8, 0x7f800000, v8
	v_div_scale_f32 v9, null, v8, v8, 1.0
	v_div_scale_f32 v20, vcc_lo, 1.0, v8, 1.0
	s_delay_alu instid0(VALU_DEP_2) | instskip(SKIP_2) | instid1(VALU_DEP_1)
	v_rcp_f32_e32 v10, v9
	s_waitcnt_depctr 0xfff
	v_fma_f32 v11, -v9, v10, 1.0
	v_fmac_f32_e32 v10, v11, v10
	s_delay_alu instid0(VALU_DEP_1) | instskip(NEXT) | instid1(VALU_DEP_1)
	v_mul_f32_e32 v11, v20, v10
	v_fma_f32 v21, -v9, v11, v20
	s_delay_alu instid0(VALU_DEP_1) | instskip(SKIP_1) | instid1(VALU_DEP_2)
	v_fmac_f32_e32 v11, v21, v10
	v_max_f32_e64 v21, s9, s9
	v_fma_f32 v9, -v9, v11, v20
	s_delay_alu instid0(VALU_DEP_1) | instskip(NEXT) | instid1(VALU_DEP_1)
	v_div_fmas_f32 v9, v9, v10, v11
	v_div_fixup_f32 v20, v9, v8, 1.0
	v_mov_b32_e32 v8, 0x7f
	s_delay_alu instid0(VALU_DEP_2) | instskip(NEXT) | instid1(VALU_DEP_1)
	v_mul_f32_e32 v4, v20, v4
	v_maxmin_f32 v9, v4, v21, v22
	v_mov_b32_e32 v4, 0x7f
	s_delay_alu instid0(VALU_DEP_2) | instskip(NEXT) | instid1(VALU_DEP_1)
	v_and_b32_e32 v10, 0x7fffffff, v9
	v_cmpx_gt_u32_e32 0x43f00000, v10
	s_cbranch_execz .LBB49_17
; %bb.12:
	s_mov_b32 s6, exec_lo
                                        ; implicit-def: $vgpr8
	v_cmpx_lt_u32_e32 0x3c7fffff, v10
	s_xor_b32 s6, exec_lo, s6
; %bb.13:
	v_bfe_u32 v8, v9, 20, 1
	s_delay_alu instid0(VALU_DEP_1) | instskip(NEXT) | instid1(VALU_DEP_1)
	v_add3_u32 v8, v9, v8, 0x407ffff
	v_lshrrev_b32_e32 v8, 20, v8
; %bb.14:
	s_and_not1_saveexec_b32 s6, s6
; %bb.15:
	v_add_f32_e64 v8, 0x46800000, |v9|
; %bb.16:
	s_or_b32 exec_lo, exec_lo, s6
.LBB49_17:
	s_delay_alu instid0(SALU_CYCLE_1) | instskip(SKIP_2) | instid1(VALU_DEP_1)
	s_or_b32 exec_lo, exec_lo, s3
	v_lshlrev_b32_e32 v10, 16, v19
	s_mov_b32 s3, exec_lo
	v_mul_f32_e32 v10, v20, v10
	s_delay_alu instid0(VALU_DEP_1) | instskip(NEXT) | instid1(VALU_DEP_1)
	v_maxmin_f32 v10, v10, v21, v22
	v_and_b32_e32 v11, 0x7fffffff, v10
	s_delay_alu instid0(VALU_DEP_1)
	v_cmpx_gt_u32_e32 0x43f00000, v11
	s_cbranch_execz .LBB49_23
; %bb.18:
	s_mov_b32 s6, exec_lo
                                        ; implicit-def: $vgpr4
	v_cmpx_lt_u32_e32 0x3c7fffff, v11
	s_xor_b32 s6, exec_lo, s6
; %bb.19:
	v_bfe_u32 v4, v10, 20, 1
	s_delay_alu instid0(VALU_DEP_1) | instskip(NEXT) | instid1(VALU_DEP_1)
	v_add3_u32 v4, v10, v4, 0x407ffff
	v_lshrrev_b32_e32 v4, 20, v4
; %bb.20:
	s_and_not1_saveexec_b32 s6, s6
; %bb.21:
	v_add_f32_e64 v4, 0x46800000, |v10|
; %bb.22:
	s_or_b32 exec_lo, exec_lo, s6
.LBB49_23:
	s_delay_alu instid0(SALU_CYCLE_1) | instskip(SKIP_3) | instid1(VALU_DEP_2)
	s_or_b32 exec_lo, exec_lo, s3
	v_lshlrev_b32_e32 v5, 16, v5
	v_mov_b32_e32 v19, 0x7f
	s_mov_b32 s3, exec_lo
	v_mul_f32_e32 v5, v20, v5
	s_delay_alu instid0(VALU_DEP_1) | instskip(SKIP_1) | instid1(VALU_DEP_2)
	v_maxmin_f32 v11, v5, v21, v22
	v_mov_b32_e32 v5, 0x7f
	v_and_b32_e32 v25, 0x7fffffff, v11
	s_delay_alu instid0(VALU_DEP_1)
	v_cmpx_gt_u32_e32 0x43f00000, v25
	s_cbranch_execz .LBB49_29
; %bb.24:
	s_mov_b32 s6, exec_lo
                                        ; implicit-def: $vgpr19
	v_cmpx_lt_u32_e32 0x3c7fffff, v25
	s_xor_b32 s6, exec_lo, s6
; %bb.25:
	v_bfe_u32 v19, v11, 20, 1
	s_delay_alu instid0(VALU_DEP_1) | instskip(NEXT) | instid1(VALU_DEP_1)
	v_add3_u32 v19, v11, v19, 0x407ffff
	v_lshrrev_b32_e32 v19, 20, v19
; %bb.26:
	s_and_not1_saveexec_b32 s6, s6
; %bb.27:
	v_add_f32_e64 v19, 0x46800000, |v11|
; %bb.28:
	s_or_b32 exec_lo, exec_lo, s6
.LBB49_29:
	s_delay_alu instid0(SALU_CYCLE_1) | instskip(SKIP_2) | instid1(VALU_DEP_1)
	s_or_b32 exec_lo, exec_lo, s3
	v_lshlrev_b32_e32 v24, 16, v24
	s_mov_b32 s3, exec_lo
	v_mul_f32_e32 v24, v20, v24
	s_delay_alu instid0(VALU_DEP_1) | instskip(NEXT) | instid1(VALU_DEP_1)
	v_maxmin_f32 v24, v24, v21, v22
	v_and_b32_e32 v25, 0x7fffffff, v24
	s_delay_alu instid0(VALU_DEP_1)
	v_cmpx_gt_u32_e32 0x43f00000, v25
	s_cbranch_execz .LBB49_35
; %bb.30:
	s_mov_b32 s6, exec_lo
                                        ; implicit-def: $vgpr5
	v_cmpx_lt_u32_e32 0x3c7fffff, v25
	s_xor_b32 s6, exec_lo, s6
; %bb.31:
	v_bfe_u32 v5, v24, 20, 1
	s_delay_alu instid0(VALU_DEP_1) | instskip(NEXT) | instid1(VALU_DEP_1)
	v_add3_u32 v5, v24, v5, 0x407ffff
	v_lshrrev_b32_e32 v5, 20, v5
; %bb.32:
	s_and_not1_saveexec_b32 s6, s6
; %bb.33:
	v_add_f32_e64 v5, 0x46800000, |v24|
; %bb.34:
	s_or_b32 exec_lo, exec_lo, s6
.LBB49_35:
	s_delay_alu instid0(SALU_CYCLE_1) | instskip(SKIP_2) | instid1(VALU_DEP_1)
	s_or_b32 exec_lo, exec_lo, s3
	v_dual_mov_b32 v25, 0x7f :: v_dual_lshlrev_b32 v6, 16, v6
	s_mov_b32 s3, exec_lo
	v_mul_f32_e32 v6, v20, v6
	s_delay_alu instid0(VALU_DEP_1) | instskip(SKIP_1) | instid1(VALU_DEP_2)
	v_maxmin_f32 v27, v6, v21, v22
	v_mov_b32_e32 v6, 0x7f
	v_and_b32_e32 v29, 0x7fffffff, v27
	s_delay_alu instid0(VALU_DEP_1)
	v_cmpx_gt_u32_e32 0x43f00000, v29
	s_cbranch_execz .LBB49_41
; %bb.36:
	s_mov_b32 s6, exec_lo
                                        ; implicit-def: $vgpr25
	v_cmpx_lt_u32_e32 0x3c7fffff, v29
	s_xor_b32 s6, exec_lo, s6
; %bb.37:
	v_bfe_u32 v25, v27, 20, 1
	s_delay_alu instid0(VALU_DEP_1) | instskip(NEXT) | instid1(VALU_DEP_1)
	v_add3_u32 v25, v27, v25, 0x407ffff
	v_lshrrev_b32_e32 v25, 20, v25
; %bb.38:
	s_and_not1_saveexec_b32 s6, s6
; %bb.39:
	v_add_f32_e64 v25, 0x46800000, |v27|
; %bb.40:
	s_or_b32 exec_lo, exec_lo, s6
.LBB49_41:
	s_delay_alu instid0(SALU_CYCLE_1) | instskip(SKIP_2) | instid1(VALU_DEP_1)
	s_or_b32 exec_lo, exec_lo, s3
	v_lshlrev_b32_e32 v28, 16, v28
	s_mov_b32 s3, exec_lo
	v_mul_f32_e32 v28, v20, v28
	s_delay_alu instid0(VALU_DEP_1) | instskip(NEXT) | instid1(VALU_DEP_1)
	v_maxmin_f32 v28, v28, v21, v22
	v_and_b32_e32 v29, 0x7fffffff, v28
	s_delay_alu instid0(VALU_DEP_1)
	v_cmpx_gt_u32_e32 0x43f00000, v29
	s_cbranch_execz .LBB49_47
; %bb.42:
	s_mov_b32 s6, exec_lo
                                        ; implicit-def: $vgpr6
	v_cmpx_lt_u32_e32 0x3c7fffff, v29
	s_xor_b32 s6, exec_lo, s6
; %bb.43:
	v_bfe_u32 v6, v28, 20, 1
	s_delay_alu instid0(VALU_DEP_1) | instskip(NEXT) | instid1(VALU_DEP_1)
	v_add3_u32 v6, v28, v6, 0x407ffff
	v_lshrrev_b32_e32 v6, 20, v6
; %bb.44:
	s_and_not1_saveexec_b32 s6, s6
; %bb.45:
	v_add_f32_e64 v6, 0x46800000, |v28|
; %bb.46:
	s_or_b32 exec_lo, exec_lo, s6
.LBB49_47:
	s_delay_alu instid0(SALU_CYCLE_1) | instskip(SKIP_3) | instid1(VALU_DEP_2)
	s_or_b32 exec_lo, exec_lo, s3
	v_lshlrev_b32_e32 v7, 16, v7
	v_mov_b32_e32 v29, 0x7f
	s_mov_b32 s3, exec_lo
	v_mul_f32_e32 v7, v20, v7
	s_delay_alu instid0(VALU_DEP_1) | instskip(SKIP_1) | instid1(VALU_DEP_2)
	v_maxmin_f32 v30, v7, v21, v22
	v_mov_b32_e32 v7, 0x7f
	v_and_b32_e32 v31, 0x7fffffff, v30
	s_delay_alu instid0(VALU_DEP_1)
	v_cmpx_gt_u32_e32 0x43f00000, v31
	s_cbranch_execz .LBB49_53
; %bb.48:
	s_mov_b32 s6, exec_lo
                                        ; implicit-def: $vgpr29
	v_cmpx_lt_u32_e32 0x3c7fffff, v31
	s_xor_b32 s6, exec_lo, s6
; %bb.49:
	v_bfe_u32 v29, v30, 20, 1
	s_delay_alu instid0(VALU_DEP_1) | instskip(NEXT) | instid1(VALU_DEP_1)
	v_add3_u32 v29, v30, v29, 0x407ffff
	v_lshrrev_b32_e32 v29, 20, v29
; %bb.50:
	s_and_not1_saveexec_b32 s6, s6
; %bb.51:
	v_add_f32_e64 v29, 0x46800000, |v30|
; %bb.52:
	s_or_b32 exec_lo, exec_lo, s6
.LBB49_53:
	s_delay_alu instid0(SALU_CYCLE_1) | instskip(SKIP_2) | instid1(VALU_DEP_1)
	s_or_b32 exec_lo, exec_lo, s3
	v_lshlrev_b32_e32 v26, 16, v26
	s_mov_b32 s3, exec_lo
	v_mul_f32_e32 v26, v20, v26
	s_delay_alu instid0(VALU_DEP_1) | instskip(NEXT) | instid1(VALU_DEP_1)
	v_maxmin_f32 v26, v26, v21, v22
	v_and_b32_e32 v31, 0x7fffffff, v26
	s_delay_alu instid0(VALU_DEP_1)
	v_cmpx_gt_u32_e32 0x43f00000, v31
	s_cbranch_execz .LBB49_59
; %bb.54:
	s_mov_b32 s6, exec_lo
                                        ; implicit-def: $vgpr7
	v_cmpx_lt_u32_e32 0x3c7fffff, v31
	s_xor_b32 s6, exec_lo, s6
; %bb.55:
	v_bfe_u32 v7, v26, 20, 1
	s_delay_alu instid0(VALU_DEP_1) | instskip(NEXT) | instid1(VALU_DEP_1)
	v_add3_u32 v7, v26, v7, 0x407ffff
	v_lshrrev_b32_e32 v7, 20, v7
; %bb.56:
	s_and_not1_saveexec_b32 s6, s6
; %bb.57:
	v_add_f32_e64 v7, 0x46800000, |v26|
; %bb.58:
	s_or_b32 exec_lo, exec_lo, s6
.LBB49_59:
	s_delay_alu instid0(SALU_CYCLE_1) | instskip(SKIP_2) | instid1(VALU_DEP_1)
	s_or_b32 exec_lo, exec_lo, s3
	v_dual_mov_b32 v31, 0x7f :: v_dual_lshlrev_b32 v0, 16, v0
	s_mov_b32 s3, exec_lo
	v_mul_f32_e32 v0, v20, v0
	s_delay_alu instid0(VALU_DEP_1) | instskip(SKIP_1) | instid1(VALU_DEP_2)
	v_maxmin_f32 v32, v0, v21, v22
	v_mov_b32_e32 v0, 0x7f
	v_and_b32_e32 v33, 0x7fffffff, v32
	s_delay_alu instid0(VALU_DEP_1)
	v_cmpx_gt_u32_e32 0x43f00000, v33
	s_cbranch_execz .LBB49_65
; %bb.60:
	s_mov_b32 s6, exec_lo
                                        ; implicit-def: $vgpr31
	v_cmpx_lt_u32_e32 0x3c7fffff, v33
	s_xor_b32 s6, exec_lo, s6
; %bb.61:
	v_bfe_u32 v31, v32, 20, 1
	s_delay_alu instid0(VALU_DEP_1) | instskip(NEXT) | instid1(VALU_DEP_1)
	v_add3_u32 v31, v32, v31, 0x407ffff
	v_lshrrev_b32_e32 v31, 20, v31
; %bb.62:
	s_and_not1_saveexec_b32 s6, s6
; %bb.63:
	v_add_f32_e64 v31, 0x46800000, |v32|
; %bb.64:
	s_or_b32 exec_lo, exec_lo, s6
.LBB49_65:
	s_delay_alu instid0(SALU_CYCLE_1) | instskip(SKIP_2) | instid1(VALU_DEP_1)
	s_or_b32 exec_lo, exec_lo, s3
	v_lshlrev_b32_e32 v23, 16, v23
	s_mov_b32 s3, exec_lo
	v_mul_f32_e32 v23, v20, v23
	s_delay_alu instid0(VALU_DEP_1) | instskip(NEXT) | instid1(VALU_DEP_1)
	v_maxmin_f32 v23, v23, v21, v22
	v_and_b32_e32 v33, 0x7fffffff, v23
	s_delay_alu instid0(VALU_DEP_1)
	v_cmpx_gt_u32_e32 0x43f00000, v33
	s_cbranch_execz .LBB49_71
; %bb.66:
	s_mov_b32 s6, exec_lo
                                        ; implicit-def: $vgpr0
	v_cmpx_lt_u32_e32 0x3c7fffff, v33
	s_xor_b32 s6, exec_lo, s6
; %bb.67:
	v_bfe_u32 v0, v23, 20, 1
	s_delay_alu instid0(VALU_DEP_1) | instskip(NEXT) | instid1(VALU_DEP_1)
	v_add3_u32 v0, v23, v0, 0x407ffff
	v_lshrrev_b32_e32 v0, 20, v0
; %bb.68:
	s_and_not1_saveexec_b32 s6, s6
; %bb.69:
	v_add_f32_e64 v0, 0x46800000, |v23|
; %bb.70:
	s_or_b32 exec_lo, exec_lo, s6
.LBB49_71:
	s_delay_alu instid0(SALU_CYCLE_1) | instskip(SKIP_3) | instid1(VALU_DEP_2)
	s_or_b32 exec_lo, exec_lo, s3
	v_lshlrev_b32_e32 v1, 16, v1
	v_mov_b32_e32 v33, 0x7f
	s_mov_b32 s3, exec_lo
	v_mul_f32_e32 v1, v20, v1
	s_delay_alu instid0(VALU_DEP_1) | instskip(SKIP_1) | instid1(VALU_DEP_2)
	v_maxmin_f32 v34, v1, v21, v22
	v_mov_b32_e32 v1, 0x7f
	v_and_b32_e32 v35, 0x7fffffff, v34
	s_delay_alu instid0(VALU_DEP_1)
	v_cmpx_gt_u32_e32 0x43f00000, v35
	s_cbranch_execz .LBB49_77
; %bb.72:
	s_mov_b32 s6, exec_lo
                                        ; implicit-def: $vgpr33
	v_cmpx_lt_u32_e32 0x3c7fffff, v35
	s_xor_b32 s6, exec_lo, s6
; %bb.73:
	v_bfe_u32 v33, v34, 20, 1
	s_delay_alu instid0(VALU_DEP_1) | instskip(NEXT) | instid1(VALU_DEP_1)
	v_add3_u32 v33, v34, v33, 0x407ffff
	v_lshrrev_b32_e32 v33, 20, v33
; %bb.74:
	s_and_not1_saveexec_b32 s6, s6
; %bb.75:
	v_add_f32_e64 v33, 0x46800000, |v34|
; %bb.76:
	s_or_b32 exec_lo, exec_lo, s6
.LBB49_77:
	s_delay_alu instid0(SALU_CYCLE_1) | instskip(SKIP_2) | instid1(VALU_DEP_1)
	s_or_b32 exec_lo, exec_lo, s3
	v_lshlrev_b32_e32 v18, 16, v18
	s_mov_b32 s3, exec_lo
	v_mul_f32_e32 v18, v20, v18
	s_delay_alu instid0(VALU_DEP_1) | instskip(NEXT) | instid1(VALU_DEP_1)
	v_maxmin_f32 v18, v18, v21, v22
	v_and_b32_e32 v35, 0x7fffffff, v18
	s_delay_alu instid0(VALU_DEP_1)
	v_cmpx_gt_u32_e32 0x43f00000, v35
	s_cbranch_execz .LBB49_83
; %bb.78:
	s_mov_b32 s6, exec_lo
                                        ; implicit-def: $vgpr1
	v_cmpx_lt_u32_e32 0x3c7fffff, v35
	s_xor_b32 s6, exec_lo, s6
; %bb.79:
	v_bfe_u32 v1, v18, 20, 1
	s_delay_alu instid0(VALU_DEP_1) | instskip(NEXT) | instid1(VALU_DEP_1)
	v_add3_u32 v1, v18, v1, 0x407ffff
	v_lshrrev_b32_e32 v1, 20, v1
; %bb.80:
	s_and_not1_saveexec_b32 s6, s6
; %bb.81:
	v_add_f32_e64 v1, 0x46800000, |v18|
; %bb.82:
	s_or_b32 exec_lo, exec_lo, s6
.LBB49_83:
	s_delay_alu instid0(SALU_CYCLE_1) | instskip(SKIP_2) | instid1(VALU_DEP_1)
	s_or_b32 exec_lo, exec_lo, s3
	v_dual_mov_b32 v35, 0x7f :: v_dual_lshlrev_b32 v2, 16, v2
	s_mov_b32 s3, exec_lo
	v_mul_f32_e32 v2, v20, v2
	s_delay_alu instid0(VALU_DEP_1) | instskip(SKIP_1) | instid1(VALU_DEP_2)
	v_maxmin_f32 v36, v2, v21, v22
	v_mov_b32_e32 v2, 0x7f
	v_and_b32_e32 v37, 0x7fffffff, v36
	s_delay_alu instid0(VALU_DEP_1)
	v_cmpx_gt_u32_e32 0x43f00000, v37
	s_cbranch_execz .LBB49_89
; %bb.84:
	s_mov_b32 s6, exec_lo
                                        ; implicit-def: $vgpr35
	v_cmpx_lt_u32_e32 0x3c7fffff, v37
	s_xor_b32 s6, exec_lo, s6
; %bb.85:
	v_bfe_u32 v35, v36, 20, 1
	s_delay_alu instid0(VALU_DEP_1) | instskip(NEXT) | instid1(VALU_DEP_1)
	v_add3_u32 v35, v36, v35, 0x407ffff
	v_lshrrev_b32_e32 v35, 20, v35
; %bb.86:
	s_and_not1_saveexec_b32 s6, s6
; %bb.87:
	v_add_f32_e64 v35, 0x46800000, |v36|
; %bb.88:
	s_or_b32 exec_lo, exec_lo, s6
.LBB49_89:
	s_delay_alu instid0(SALU_CYCLE_1) | instskip(SKIP_2) | instid1(VALU_DEP_1)
	s_or_b32 exec_lo, exec_lo, s3
	v_lshlrev_b32_e32 v17, 16, v17
	s_mov_b32 s3, exec_lo
	v_mul_f32_e32 v17, v20, v17
	s_delay_alu instid0(VALU_DEP_1) | instskip(NEXT) | instid1(VALU_DEP_1)
	v_maxmin_f32 v17, v17, v21, v22
	v_and_b32_e32 v37, 0x7fffffff, v17
	s_delay_alu instid0(VALU_DEP_1)
	v_cmpx_gt_u32_e32 0x43f00000, v37
	s_cbranch_execz .LBB49_95
; %bb.90:
	s_mov_b32 s6, exec_lo
                                        ; implicit-def: $vgpr2
	v_cmpx_lt_u32_e32 0x3c7fffff, v37
	s_xor_b32 s6, exec_lo, s6
; %bb.91:
	v_bfe_u32 v2, v17, 20, 1
	s_delay_alu instid0(VALU_DEP_1) | instskip(NEXT) | instid1(VALU_DEP_1)
	v_add3_u32 v2, v17, v2, 0x407ffff
	v_lshrrev_b32_e32 v2, 20, v2
; %bb.92:
	s_and_not1_saveexec_b32 s6, s6
; %bb.93:
	v_add_f32_e64 v2, 0x46800000, |v17|
; %bb.94:
	s_or_b32 exec_lo, exec_lo, s6
.LBB49_95:
	s_delay_alu instid0(SALU_CYCLE_1) | instskip(SKIP_3) | instid1(VALU_DEP_2)
	s_or_b32 exec_lo, exec_lo, s3
	v_lshlrev_b32_e32 v3, 16, v3
	v_mov_b32_e32 v37, 0x7f
	s_mov_b32 s3, exec_lo
	v_mul_f32_e32 v3, v20, v3
	s_delay_alu instid0(VALU_DEP_1) | instskip(SKIP_1) | instid1(VALU_DEP_2)
	v_maxmin_f32 v38, v3, v21, v22
	v_mov_b32_e32 v3, 0x7f
	v_and_b32_e32 v39, 0x7fffffff, v38
	s_delay_alu instid0(VALU_DEP_1)
	v_cmpx_gt_u32_e32 0x43f00000, v39
	s_cbranch_execz .LBB49_101
; %bb.96:
	s_mov_b32 s6, exec_lo
                                        ; implicit-def: $vgpr37
	v_cmpx_lt_u32_e32 0x3c7fffff, v39
	s_xor_b32 s6, exec_lo, s6
; %bb.97:
	v_bfe_u32 v37, v38, 20, 1
	s_delay_alu instid0(VALU_DEP_1) | instskip(NEXT) | instid1(VALU_DEP_1)
	v_add3_u32 v37, v38, v37, 0x407ffff
	v_lshrrev_b32_e32 v37, 20, v37
; %bb.98:
	s_and_not1_saveexec_b32 s6, s6
; %bb.99:
	v_add_f32_e64 v37, 0x46800000, |v38|
; %bb.100:
	s_or_b32 exec_lo, exec_lo, s6
.LBB49_101:
	s_delay_alu instid0(SALU_CYCLE_1) | instskip(SKIP_2) | instid1(VALU_DEP_1)
	s_or_b32 exec_lo, exec_lo, s3
	v_lshlrev_b32_e32 v14, 16, v14
	s_mov_b32 s3, exec_lo
	v_mul_f32_e32 v14, v20, v14
	s_delay_alu instid0(VALU_DEP_1) | instskip(NEXT) | instid1(VALU_DEP_1)
	v_maxmin_f32 v14, v14, v21, v22
	v_and_b32_e32 v20, 0x7fffffff, v14
	s_delay_alu instid0(VALU_DEP_1)
	v_cmpx_gt_u32_e32 0x43f00000, v20
	s_cbranch_execz .LBB49_107
; %bb.102:
	s_mov_b32 s6, exec_lo
                                        ; implicit-def: $vgpr3
	v_cmpx_lt_u32_e32 0x3c7fffff, v20
	s_xor_b32 s6, exec_lo, s6
; %bb.103:
	v_bfe_u32 v3, v14, 20, 1
	s_delay_alu instid0(VALU_DEP_1) | instskip(NEXT) | instid1(VALU_DEP_1)
	v_add3_u32 v3, v14, v3, 0x407ffff
	v_lshrrev_b32_e32 v3, 20, v3
; %bb.104:
	s_and_not1_saveexec_b32 s6, s6
; %bb.105:
	v_add_f32_e64 v3, 0x46800000, |v14|
; %bb.106:
	s_or_b32 exec_lo, exec_lo, s6
.LBB49_107:
	s_delay_alu instid0(SALU_CYCLE_1)
	s_or_b32 exec_lo, exec_lo, s3
	v_lshrrev_b32_e32 v20, 24, v36
	v_lshrrev_b32_e32 v17, 24, v17
	;; [unrolled: 1-line block ×5, first 2 shown]
	v_and_b32_e32 v20, 0x80, v20
	v_and_b32_e32 v17, 0x80, v17
	v_lshrrev_b32_e32 v32, 24, v34
	v_and_b32_e32 v22, 0x80, v22
	v_and_b32_e32 v23, 0x80, v23
	v_and_or_b32 v20, 0xff, v35, v20
	v_and_or_b32 v2, 0xff, v2, v17
	v_and_b32_e32 v17, 0x80, v21
	v_and_or_b32 v21, 0xff, v31, v22
	v_and_or_b32 v0, 0xff, v0, v23
	v_and_b32_e32 v22, 0x80, v32
	v_lshl_or_b32 v2, v2, 8, v20
	v_and_or_b32 v17, 0xff, v37, v17
	v_lshrrev_b32_e32 v20, 24, v27
	v_lshl_or_b32 v0, v0, 8, v21
	v_and_or_b32 v21, 0xff, v33, v22
	v_lshrrev_b32_e32 v9, 24, v9
	v_lshl_or_b32 v2, v17, 16, v2
	v_and_b32_e32 v17, 0x80, v20
	v_lshrrev_b32_e32 v20, 24, v28
	v_lshrrev_b32_e32 v10, 24, v10
	v_lshl_or_b32 v0, v21, 16, v0
	v_lshrrev_b32_e32 v21, 24, v30
	v_and_b32_e32 v9, 0x80, v9
	v_and_b32_e32 v20, 0x80, v20
	v_and_b32_e32 v10, 0x80, v10
	v_lshrrev_b32_e32 v11, 24, v11
	v_and_or_b32 v17, 0xff, v25, v17
	v_and_or_b32 v8, 0xff, v8, v9
	;; [unrolled: 1-line block ×3, first 2 shown]
	v_and_b32_e32 v20, 0x80, v21
	v_and_or_b32 v4, 0xff, v4, v10
	v_and_b32_e32 v9, 0x80, v11
	v_lshlrev_b32_e32 v1, 24, v1
	v_lshl_or_b32 v6, v6, 8, v17
	v_and_or_b32 v10, 0xff, v29, v20
	v_lshl_or_b32 v4, v4, 8, v8
	v_and_or_b32 v8, 0xff, v19, v9
	v_and_b32_e32 v9, 0x80000000, v18
	v_lshlrev_b32_e32 v7, 24, v7
	v_lshl_or_b32 v6, v10, 16, v6
	v_and_b32_e32 v11, 0x80000000, v26
	v_lshl_or_b32 v4, v8, 16, v4
	v_lshlrev_b32_e32 v5, 24, v5
	v_and_b32_e32 v8, 0x80000000, v24
	v_and_b32_e32 v14, 0x80000000, v14
	v_lshlrev_b32_e32 v3, 24, v3
	v_or3_b32 v10, v9, v1, v0
	v_or3_b32 v9, v11, v7, v6
	;; [unrolled: 1-line block ×3, first 2 shown]
	s_or_b32 s5, s5, exec_lo
	v_or3_b32 v11, v14, v3, v2
.LBB49_108:
	s_or_b32 exec_lo, exec_lo, s2
	s_delay_alu instid0(SALU_CYCLE_1)
	s_and_b32 exec_lo, exec_lo, s5
	s_cbranch_execz .LBB49_110
; %bb.109:
	s_load_b64 s[0:1], s[0:1], 0x8
	v_lshlrev_b32_e32 v2, 7, v12
	v_alignbit_b32 v0, v16, v12, 25
	s_ashr_i32 s2, s4, 31
	s_delay_alu instid0(VALU_DEP_2) | instid1(SALU_CYCLE_1)
	v_mul_lo_u32 v3, v2, s2
	s_delay_alu instid0(VALU_DEP_2) | instskip(SKIP_3) | instid1(VALU_DEP_2)
	v_mul_lo_u32 v4, v0, s4
	s_waitcnt lgkmcnt(0)
	v_mad_u64_u32 v[0:1], null, v2, s4, s[0:1]
	v_ashrrev_i32_e32 v2, 31, v13
	v_add3_u32 v1, v4, v1, v3
	v_lshlrev_b32_e32 v3, 4, v15
	s_delay_alu instid0(VALU_DEP_4) | instskip(NEXT) | instid1(VALU_DEP_3)
	v_add_co_u32 v0, vcc_lo, v0, v13
	v_add_co_ci_u32_e32 v1, vcc_lo, v1, v2, vcc_lo
	s_delay_alu instid0(VALU_DEP_2) | instskip(NEXT) | instid1(VALU_DEP_2)
	v_add_co_u32 v0, vcc_lo, v0, v3
	v_add_co_ci_u32_e32 v1, vcc_lo, 0, v1, vcc_lo
	global_store_b128 v[0:1], v[8:11], off
.LBB49_110:
	s_nop 0
	s_sendmsg sendmsg(MSG_DEALLOC_VGPRS)
	s_endpgm
	.section	.rodata,"a",@progbits
	.p2align	6, 0x0
	.amdhsa_kernel _Z49per_token_group_quant_8bit_packed_register_kernelIN3c108BFloat16ENS0_13Float8_e4m3fnELi128ELi8ELi2EEvPKT_PvPjiiiiilfff
		.amdhsa_group_segment_fixed_size 0
		.amdhsa_private_segment_fixed_size 0
		.amdhsa_kernarg_size 68
		.amdhsa_user_sgpr_count 14
		.amdhsa_user_sgpr_dispatch_ptr 0
		.amdhsa_user_sgpr_queue_ptr 0
		.amdhsa_user_sgpr_kernarg_segment_ptr 1
		.amdhsa_user_sgpr_dispatch_id 0
		.amdhsa_user_sgpr_private_segment_size 0
		.amdhsa_wavefront_size32 1
		.amdhsa_uses_dynamic_stack 0
		.amdhsa_enable_private_segment 0
		.amdhsa_system_sgpr_workgroup_id_x 1
		.amdhsa_system_sgpr_workgroup_id_y 1
		.amdhsa_system_sgpr_workgroup_id_z 0
		.amdhsa_system_sgpr_workgroup_info 0
		.amdhsa_system_vgpr_workitem_id 0
		.amdhsa_next_free_vgpr 40
		.amdhsa_next_free_sgpr 16
		.amdhsa_reserve_vcc 1
		.amdhsa_float_round_mode_32 0
		.amdhsa_float_round_mode_16_64 0
		.amdhsa_float_denorm_mode_32 3
		.amdhsa_float_denorm_mode_16_64 3
		.amdhsa_dx10_clamp 1
		.amdhsa_ieee_mode 1
		.amdhsa_fp16_overflow 0
		.amdhsa_workgroup_processor_mode 1
		.amdhsa_memory_ordered 1
		.amdhsa_forward_progress 0
		.amdhsa_shared_vgpr_count 0
		.amdhsa_exception_fp_ieee_invalid_op 0
		.amdhsa_exception_fp_denorm_src 0
		.amdhsa_exception_fp_ieee_div_zero 0
		.amdhsa_exception_fp_ieee_overflow 0
		.amdhsa_exception_fp_ieee_underflow 0
		.amdhsa_exception_fp_ieee_inexact 0
		.amdhsa_exception_int_div_zero 0
	.end_amdhsa_kernel
	.section	.text._Z49per_token_group_quant_8bit_packed_register_kernelIN3c108BFloat16ENS0_13Float8_e4m3fnELi128ELi8ELi2EEvPKT_PvPjiiiiilfff,"axG",@progbits,_Z49per_token_group_quant_8bit_packed_register_kernelIN3c108BFloat16ENS0_13Float8_e4m3fnELi128ELi8ELi2EEvPKT_PvPjiiiiilfff,comdat
.Lfunc_end49:
	.size	_Z49per_token_group_quant_8bit_packed_register_kernelIN3c108BFloat16ENS0_13Float8_e4m3fnELi128ELi8ELi2EEvPKT_PvPjiiiiilfff, .Lfunc_end49-_Z49per_token_group_quant_8bit_packed_register_kernelIN3c108BFloat16ENS0_13Float8_e4m3fnELi128ELi8ELi2EEvPKT_PvPjiiiiilfff
                                        ; -- End function
	.section	.AMDGPU.csdata,"",@progbits
; Kernel info:
; codeLenInByte = 3760
; NumSgprs: 18
; NumVgprs: 40
; ScratchSize: 0
; MemoryBound: 0
; FloatMode: 240
; IeeeMode: 1
; LDSByteSize: 0 bytes/workgroup (compile time only)
; SGPRBlocks: 2
; VGPRBlocks: 4
; NumSGPRsForWavesPerEU: 18
; NumVGPRsForWavesPerEU: 40
; Occupancy: 16
; WaveLimiterHint : 0
; COMPUTE_PGM_RSRC2:SCRATCH_EN: 0
; COMPUTE_PGM_RSRC2:USER_SGPR: 14
; COMPUTE_PGM_RSRC2:TRAP_HANDLER: 0
; COMPUTE_PGM_RSRC2:TGID_X_EN: 1
; COMPUTE_PGM_RSRC2:TGID_Y_EN: 1
; COMPUTE_PGM_RSRC2:TGID_Z_EN: 0
; COMPUTE_PGM_RSRC2:TIDIG_COMP_CNT: 0
	.section	.text._Z49per_token_group_quant_8bit_packed_register_kernelIN3c108BFloat16ENS0_13Float8_e4m3fnELi128ELi4ELi4EEvPKT_PvPjiiiiilfff,"axG",@progbits,_Z49per_token_group_quant_8bit_packed_register_kernelIN3c108BFloat16ENS0_13Float8_e4m3fnELi128ELi4ELi4EEvPKT_PvPjiiiiilfff,comdat
	.protected	_Z49per_token_group_quant_8bit_packed_register_kernelIN3c108BFloat16ENS0_13Float8_e4m3fnELi128ELi4ELi4EEvPKT_PvPjiiiiilfff ; -- Begin function _Z49per_token_group_quant_8bit_packed_register_kernelIN3c108BFloat16ENS0_13Float8_e4m3fnELi128ELi4ELi4EEvPKT_PvPjiiiiilfff
	.globl	_Z49per_token_group_quant_8bit_packed_register_kernelIN3c108BFloat16ENS0_13Float8_e4m3fnELi128ELi4ELi4EEvPKT_PvPjiiiiilfff
	.p2align	8
	.type	_Z49per_token_group_quant_8bit_packed_register_kernelIN3c108BFloat16ENS0_13Float8_e4m3fnELi128ELi4ELi4EEvPKT_PvPjiiiiilfff,@function
_Z49per_token_group_quant_8bit_packed_register_kernelIN3c108BFloat16ENS0_13Float8_e4m3fnELi128ELi4ELi4EEvPKT_PvPjiiiiilfff: ; @_Z49per_token_group_quant_8bit_packed_register_kernelIN3c108BFloat16ENS0_13Float8_e4m3fnELi128ELi4ELi4EEvPKT_PvPjiiiiilfff
; %bb.0:
	s_load_b128 s[4:7], s[0:1], 0x1c
	v_lshrrev_b32_e32 v1, 5, v0
	s_mov_b32 s2, exec_lo
	s_delay_alu instid0(VALU_DEP_1) | instskip(SKIP_1) | instid1(VALU_DEP_1)
	v_lshl_add_u32 v12, s15, 2, v1
	s_waitcnt lgkmcnt(0)
	v_cmpx_gt_i32_e64 s7, v12
	s_cbranch_execz .LBB50_110
; %bb.1:
	s_load_b128 s[8:11], s[0:1], 0x38
	v_lshrrev_b32_e32 v1, 3, v0
	s_lshl_b32 s2, s14, 2
	v_and_b32_e32 v15, 7, v0
	v_ashrrev_i32_e32 v16, 31, v12
                                        ; implicit-def: $vgpr14
                                        ; implicit-def: $vgpr3
                                        ; implicit-def: $vgpr17
                                        ; implicit-def: $vgpr18
                                        ; implicit-def: $vgpr23
                                        ; implicit-def: $vgpr26
                                        ; implicit-def: $vgpr7
                                        ; implicit-def: $vgpr28
                                        ; implicit-def: $vgpr24
                                        ; implicit-def: $vgpr19
	s_delay_alu instid0(VALU_DEP_3) | instskip(SKIP_1) | instid1(VALU_DEP_2)
	v_and_or_b32 v10, v1, 3, s2
	v_cmp_gt_i32_e64 s2, s5, v12
	v_cmp_gt_i32_e64 s3, s4, v10
	v_lshlrev_b32_e32 v13, 7, v10
	s_waitcnt lgkmcnt(0)
	s_delay_alu instid0(VALU_DEP_2)
	s_and_b32 s11, s2, s3
	v_mov_b32_e32 v8, s8
	s_and_saveexec_b32 s5, s11
	s_cbranch_execz .LBB50_3
; %bb.2:
	s_load_b64 s[12:13], s[0:1], 0x0
	v_lshlrev_b32_e32 v2, 8, v12
	v_alignbit_b32 v0, v16, v12, 24
	s_ashr_i32 s14, s4, 31
	v_ashrrev_i32_e32 v14, 31, v13
	s_delay_alu instid0(VALU_DEP_3) | instskip(NEXT) | instid1(VALU_DEP_3)
	v_mul_lo_u32 v4, v2, s14
	v_mul_lo_u32 v5, v0, s4
	s_waitcnt lgkmcnt(0)
	v_mad_u64_u32 v[0:1], null, v2, s4, s[12:13]
	v_lshlrev_b64 v[2:3], 1, v[13:14]
	s_delay_alu instid0(VALU_DEP_2) | instskip(SKIP_1) | instid1(VALU_DEP_3)
	v_add3_u32 v1, v5, v1, v4
	v_lshlrev_b32_e32 v4, 5, v15
	v_add_co_u32 v0, vcc_lo, v0, v2
	s_delay_alu instid0(VALU_DEP_3) | instskip(NEXT) | instid1(VALU_DEP_2)
	v_add_co_ci_u32_e32 v1, vcc_lo, v1, v3, vcc_lo
	v_add_co_u32 v0, vcc_lo, v0, v4
	s_delay_alu instid0(VALU_DEP_2)
	v_add_co_ci_u32_e32 v1, vcc_lo, 0, v1, vcc_lo
	s_clause 0x1
	global_load_b128 v[4:7], v[0:1], off
	global_load_b128 v[0:3], v[0:1], off offset:16
	s_waitcnt vmcnt(1)
	v_lshlrev_b32_e32 v8, 16, v4
	v_and_b32_e32 v9, 0xffff0000, v4
	v_lshlrev_b32_e32 v11, 16, v5
	v_and_b32_e32 v14, 0xffff0000, v5
	v_and_b32_e32 v17, 0xffff0000, v6
	v_lshrrev_b32_e32 v19, 16, v4
	v_max3_f32 v8, s8, |v8|, |v9|
	v_lshlrev_b32_e32 v9, 16, v6
	v_lshrrev_b32_e32 v24, 16, v5
	v_lshrrev_b32_e32 v28, 16, v6
	;; [unrolled: 1-line block ×3, first 2 shown]
	v_max3_f32 v8, v8, |v11|, |v14|
	v_lshlrev_b32_e32 v11, 16, v7
	v_and_b32_e32 v14, 0xffff0000, v7
	s_waitcnt vmcnt(0)
	v_lshrrev_b32_e32 v23, 16, v0
	v_lshrrev_b32_e32 v18, 16, v1
	v_max3_f32 v8, v8, |v9|, |v17|
	v_lshlrev_b32_e32 v9, 16, v0
	v_and_b32_e32 v17, 0xffff0000, v0
	s_delay_alu instid0(VALU_DEP_3) | instskip(SKIP_2) | instid1(VALU_DEP_3)
	v_max3_f32 v8, v8, |v11|, |v14|
	v_lshlrev_b32_e32 v11, 16, v1
	v_and_b32_e32 v14, 0xffff0000, v1
	v_max3_f32 v8, v8, |v9|, |v17|
	v_lshlrev_b32_e32 v9, 16, v2
	v_and_b32_e32 v17, 0xffff0000, v2
	s_delay_alu instid0(VALU_DEP_3) | instskip(SKIP_2) | instid1(VALU_DEP_3)
	v_max3_f32 v8, v8, |v11|, |v14|
	v_lshlrev_b32_e32 v11, 16, v3
	v_lshrrev_b32_e32 v14, 16, v3
	v_max3_f32 v8, v8, |v9|, |v17|
	v_and_b32_e32 v9, 0xffff0000, v3
	v_lshrrev_b32_e32 v17, 16, v2
	s_delay_alu instid0(VALU_DEP_2)
	v_max3_f32 v8, v8, |v11|, |v9|
.LBB50_3:
	s_or_b32 exec_lo, exec_lo, s5
	v_mbcnt_lo_u32_b32 v9, -1, 0
	s_xor_b32 s8, s11, -1
	s_mov_b32 s5, 0
	s_mov_b32 s12, exec_lo
	s_delay_alu instid0(VALU_DEP_1) | instskip(SKIP_2) | instid1(VALU_DEP_2)
	v_xor_b32_e32 v20, 4, v9
	v_and_b32_e32 v11, 24, v9
	v_xor_b32_e32 v21, 2, v9
	v_add_nc_u32_e32 v11, 8, v11
	s_delay_alu instid0(VALU_DEP_1) | instskip(SKIP_1) | instid1(VALU_DEP_1)
	v_cmp_lt_i32_e32 vcc_lo, v20, v11
	v_cndmask_b32_e32 v20, v9, v20, vcc_lo
	v_lshlrev_b32_e32 v20, 2, v20
	ds_bpermute_b32 v20, v20, v8
	v_max_f32_e32 v8, v8, v8
	v_cmp_lt_i32_e32 vcc_lo, v21, v11
	v_cndmask_b32_e32 v21, v9, v21, vcc_lo
	s_waitcnt lgkmcnt(0)
	s_delay_alu instid0(VALU_DEP_1) | instskip(NEXT) | instid1(VALU_DEP_1)
	v_dual_max_f32 v20, v20, v20 :: v_dual_lshlrev_b32 v21, 2, v21
	v_max_f32_e32 v8, v8, v20
	ds_bpermute_b32 v20, v21, v8
	v_xor_b32_e32 v21, 1, v9
	s_delay_alu instid0(VALU_DEP_1) | instskip(SKIP_3) | instid1(VALU_DEP_1)
	v_cmp_lt_i32_e32 vcc_lo, v21, v11
	v_cndmask_b32_e32 v9, v9, v21, vcc_lo
	s_waitcnt lgkmcnt(0)
	v_max_f32_e32 v11, v20, v20
	v_dual_max_f32 v8, v8, v11 :: v_dual_lshlrev_b32 v9, 2, v9
	ds_bpermute_b32 v9, v9, v8
	s_waitcnt lgkmcnt(0)
	v_max_f32_e32 v9, v9, v9
	s_delay_alu instid0(VALU_DEP_1) | instskip(NEXT) | instid1(VALU_DEP_1)
	v_max_f32_e32 v8, v8, v9
	v_div_scale_f32 v9, null, s10, s10, v8
	v_div_scale_f32 v21, vcc_lo, v8, s10, v8
	s_delay_alu instid0(VALU_DEP_2) | instskip(SKIP_2) | instid1(VALU_DEP_1)
	v_rcp_f32_e32 v11, v9
	s_waitcnt_depctr 0xfff
	v_fma_f32 v20, -v9, v11, 1.0
	v_fmac_f32_e32 v11, v20, v11
	s_delay_alu instid0(VALU_DEP_1) | instskip(NEXT) | instid1(VALU_DEP_1)
	v_mul_f32_e32 v20, v21, v11
	v_fma_f32 v22, -v9, v20, v21
	s_delay_alu instid0(VALU_DEP_1) | instskip(NEXT) | instid1(VALU_DEP_1)
	v_fmac_f32_e32 v20, v22, v11
	v_fma_f32 v9, -v9, v20, v21
	s_delay_alu instid0(VALU_DEP_1) | instskip(NEXT) | instid1(VALU_DEP_1)
	v_div_fmas_f32 v9, v9, v11, v20
	v_div_fixup_f32 v8, v9, s10, v8
	s_delay_alu instid0(VALU_DEP_1) | instskip(NEXT) | instid1(VALU_DEP_1)
	v_max_f32_e32 v8, 0x2edbe6ff, v8
	v_and_b32_e32 v9, 0x7fffff, v8
	v_lshrrev_b32_e32 v8, 23, v8
	s_delay_alu instid0(VALU_DEP_2) | instskip(NEXT) | instid1(VALU_DEP_2)
	v_cmp_ne_u32_e32 vcc_lo, 0, v9
	v_add_co_ci_u32_e32 v20, vcc_lo, 0, v8, vcc_lo
	v_cmpx_eq_u32_e32 0, v15
	s_cbranch_execz .LBB50_8
; %bb.4:
	v_ashrrev_i32_e32 v8, 31, v10
	s_delay_alu instid0(VALU_DEP_1) | instskip(NEXT) | instid1(VALU_DEP_1)
	v_lshrrev_b32_e32 v8, 30, v8
	v_add_nc_u32_e32 v8, v10, v8
	s_delay_alu instid0(VALU_DEP_1) | instskip(NEXT) | instid1(VALU_DEP_1)
	v_ashrrev_i32_e32 v11, 2, v8
	v_mad_u64_u32 v[8:9], null, v11, s7, v[12:13]
	v_mov_b32_e32 v9, v20
	s_and_saveexec_b32 s7, s8
	s_cbranch_execz .LBB50_6
; %bb.5:
	s_load_b64 s[14:15], s[0:1], 0x30
	s_delay_alu instid0(VALU_DEP_2) | instskip(SKIP_2) | instid1(VALU_DEP_1)
	v_ashrrev_i32_e32 v9, 31, v8
	s_and_not1_b32 s11, s11, exec_lo
	s_waitcnt lgkmcnt(0)
	v_cmp_gt_i64_e32 vcc_lo, s[14:15], v[8:9]
	v_mov_b32_e32 v9, 0
	s_and_b32 s13, vcc_lo, exec_lo
	s_delay_alu instid0(SALU_CYCLE_1)
	s_or_b32 s11, s11, s13
.LBB50_6:
	s_or_b32 exec_lo, exec_lo, s7
	s_delay_alu instid0(SALU_CYCLE_1)
	s_and_b32 exec_lo, exec_lo, s11
	s_cbranch_execz .LBB50_8
; %bb.7:
	s_load_b64 s[14:15], s[0:1], 0x10
	v_lshlrev_b32_e32 v11, 2, v11
	s_delay_alu instid0(VALU_DEP_1) | instskip(NEXT) | instid1(VALU_DEP_1)
	v_sub_nc_u32_e32 v10, v10, v11
	v_lshl_add_u32 v8, v8, 2, v10
	s_delay_alu instid0(VALU_DEP_1) | instskip(SKIP_2) | instid1(VALU_DEP_2)
	v_ashrrev_i32_e32 v11, 31, v8
	s_waitcnt lgkmcnt(0)
	v_add_co_u32 v10, vcc_lo, s14, v8
	v_add_co_ci_u32_e32 v11, vcc_lo, s15, v11, vcc_lo
	global_store_b8 v[10:11], v9, off
.LBB50_8:
	s_or_b32 exec_lo, exec_lo, s12
                                        ; implicit-def: $sgpr7
	s_and_saveexec_b32 s11, s8
	s_delay_alu instid0(SALU_CYCLE_1)
	s_xor_b32 s8, exec_lo, s11
; %bb.9:
	v_cmp_gt_i32_e32 vcc_lo, s6, v12
	s_xor_b32 s2, s2, -1
	s_mov_b32 s7, 0
                                        ; implicit-def: $vgpr14
                                        ; implicit-def: $vgpr3
                                        ; implicit-def: $vgpr17
                                        ; implicit-def: $vgpr18
                                        ; implicit-def: $vgpr23
                                        ; implicit-def: $vgpr26
                                        ; implicit-def: $vgpr7
                                        ; implicit-def: $vgpr28
                                        ; implicit-def: $vgpr24
                                        ; implicit-def: $vgpr19
                                        ; implicit-def: $vgpr20
	s_and_b32 s2, vcc_lo, s2
	s_delay_alu instid0(SALU_CYCLE_1) | instskip(NEXT) | instid1(SALU_CYCLE_1)
	s_and_b32 s2, s3, s2
	s_and_b32 s5, s2, exec_lo
; %bb.10:
	s_or_saveexec_b32 s2, s8
	v_dual_mov_b32 v11, s7 :: v_dual_mov_b32 v10, s7
	v_dual_mov_b32 v9, s7 :: v_dual_mov_b32 v8, s7
	s_xor_b32 exec_lo, exec_lo, s2
	s_cbranch_execz .LBB50_108
; %bb.11:
	v_lshlrev_b32_e32 v8, 23, v20
	v_lshlrev_b32_e32 v4, 16, v4
	v_max_f32_e64 v22, s10, s10
	s_mov_b32 s3, exec_lo
	s_delay_alu instid0(VALU_DEP_3) | instskip(NEXT) | instid1(VALU_DEP_1)
	v_and_b32_e32 v8, 0x7f800000, v8
	v_div_scale_f32 v9, null, v8, v8, 1.0
	v_div_scale_f32 v20, vcc_lo, 1.0, v8, 1.0
	s_delay_alu instid0(VALU_DEP_2) | instskip(SKIP_2) | instid1(VALU_DEP_1)
	v_rcp_f32_e32 v10, v9
	s_waitcnt_depctr 0xfff
	v_fma_f32 v11, -v9, v10, 1.0
	v_fmac_f32_e32 v10, v11, v10
	s_delay_alu instid0(VALU_DEP_1) | instskip(NEXT) | instid1(VALU_DEP_1)
	v_mul_f32_e32 v11, v20, v10
	v_fma_f32 v21, -v9, v11, v20
	s_delay_alu instid0(VALU_DEP_1) | instskip(SKIP_1) | instid1(VALU_DEP_2)
	v_fmac_f32_e32 v11, v21, v10
	v_max_f32_e64 v21, s9, s9
	v_fma_f32 v9, -v9, v11, v20
	s_delay_alu instid0(VALU_DEP_1) | instskip(NEXT) | instid1(VALU_DEP_1)
	v_div_fmas_f32 v9, v9, v10, v11
	v_div_fixup_f32 v20, v9, v8, 1.0
	v_mov_b32_e32 v8, 0x7f
	s_delay_alu instid0(VALU_DEP_2) | instskip(NEXT) | instid1(VALU_DEP_1)
	v_mul_f32_e32 v4, v20, v4
	v_maxmin_f32 v9, v4, v21, v22
	v_mov_b32_e32 v4, 0x7f
	s_delay_alu instid0(VALU_DEP_2) | instskip(NEXT) | instid1(VALU_DEP_1)
	v_and_b32_e32 v10, 0x7fffffff, v9
	v_cmpx_gt_u32_e32 0x43f00000, v10
	s_cbranch_execz .LBB50_17
; %bb.12:
	s_mov_b32 s6, exec_lo
                                        ; implicit-def: $vgpr8
	v_cmpx_lt_u32_e32 0x3c7fffff, v10
	s_xor_b32 s6, exec_lo, s6
; %bb.13:
	v_bfe_u32 v8, v9, 20, 1
	s_delay_alu instid0(VALU_DEP_1) | instskip(NEXT) | instid1(VALU_DEP_1)
	v_add3_u32 v8, v9, v8, 0x407ffff
	v_lshrrev_b32_e32 v8, 20, v8
; %bb.14:
	s_and_not1_saveexec_b32 s6, s6
; %bb.15:
	v_add_f32_e64 v8, 0x46800000, |v9|
; %bb.16:
	s_or_b32 exec_lo, exec_lo, s6
.LBB50_17:
	s_delay_alu instid0(SALU_CYCLE_1) | instskip(SKIP_2) | instid1(VALU_DEP_1)
	s_or_b32 exec_lo, exec_lo, s3
	v_lshlrev_b32_e32 v10, 16, v19
	s_mov_b32 s3, exec_lo
	v_mul_f32_e32 v10, v20, v10
	s_delay_alu instid0(VALU_DEP_1) | instskip(NEXT) | instid1(VALU_DEP_1)
	v_maxmin_f32 v10, v10, v21, v22
	v_and_b32_e32 v11, 0x7fffffff, v10
	s_delay_alu instid0(VALU_DEP_1)
	v_cmpx_gt_u32_e32 0x43f00000, v11
	s_cbranch_execz .LBB50_23
; %bb.18:
	s_mov_b32 s6, exec_lo
                                        ; implicit-def: $vgpr4
	v_cmpx_lt_u32_e32 0x3c7fffff, v11
	s_xor_b32 s6, exec_lo, s6
; %bb.19:
	v_bfe_u32 v4, v10, 20, 1
	s_delay_alu instid0(VALU_DEP_1) | instskip(NEXT) | instid1(VALU_DEP_1)
	v_add3_u32 v4, v10, v4, 0x407ffff
	v_lshrrev_b32_e32 v4, 20, v4
; %bb.20:
	s_and_not1_saveexec_b32 s6, s6
; %bb.21:
	v_add_f32_e64 v4, 0x46800000, |v10|
; %bb.22:
	s_or_b32 exec_lo, exec_lo, s6
.LBB50_23:
	s_delay_alu instid0(SALU_CYCLE_1) | instskip(SKIP_3) | instid1(VALU_DEP_2)
	s_or_b32 exec_lo, exec_lo, s3
	v_lshlrev_b32_e32 v5, 16, v5
	v_mov_b32_e32 v19, 0x7f
	s_mov_b32 s3, exec_lo
	v_mul_f32_e32 v5, v20, v5
	s_delay_alu instid0(VALU_DEP_1) | instskip(SKIP_1) | instid1(VALU_DEP_2)
	v_maxmin_f32 v11, v5, v21, v22
	v_mov_b32_e32 v5, 0x7f
	v_and_b32_e32 v25, 0x7fffffff, v11
	s_delay_alu instid0(VALU_DEP_1)
	v_cmpx_gt_u32_e32 0x43f00000, v25
	s_cbranch_execz .LBB50_29
; %bb.24:
	s_mov_b32 s6, exec_lo
                                        ; implicit-def: $vgpr19
	v_cmpx_lt_u32_e32 0x3c7fffff, v25
	s_xor_b32 s6, exec_lo, s6
; %bb.25:
	v_bfe_u32 v19, v11, 20, 1
	s_delay_alu instid0(VALU_DEP_1) | instskip(NEXT) | instid1(VALU_DEP_1)
	v_add3_u32 v19, v11, v19, 0x407ffff
	v_lshrrev_b32_e32 v19, 20, v19
; %bb.26:
	s_and_not1_saveexec_b32 s6, s6
; %bb.27:
	v_add_f32_e64 v19, 0x46800000, |v11|
; %bb.28:
	s_or_b32 exec_lo, exec_lo, s6
.LBB50_29:
	s_delay_alu instid0(SALU_CYCLE_1) | instskip(SKIP_2) | instid1(VALU_DEP_1)
	s_or_b32 exec_lo, exec_lo, s3
	v_lshlrev_b32_e32 v24, 16, v24
	s_mov_b32 s3, exec_lo
	v_mul_f32_e32 v24, v20, v24
	s_delay_alu instid0(VALU_DEP_1) | instskip(NEXT) | instid1(VALU_DEP_1)
	v_maxmin_f32 v24, v24, v21, v22
	v_and_b32_e32 v25, 0x7fffffff, v24
	s_delay_alu instid0(VALU_DEP_1)
	v_cmpx_gt_u32_e32 0x43f00000, v25
	s_cbranch_execz .LBB50_35
; %bb.30:
	s_mov_b32 s6, exec_lo
                                        ; implicit-def: $vgpr5
	v_cmpx_lt_u32_e32 0x3c7fffff, v25
	s_xor_b32 s6, exec_lo, s6
; %bb.31:
	v_bfe_u32 v5, v24, 20, 1
	s_delay_alu instid0(VALU_DEP_1) | instskip(NEXT) | instid1(VALU_DEP_1)
	v_add3_u32 v5, v24, v5, 0x407ffff
	v_lshrrev_b32_e32 v5, 20, v5
; %bb.32:
	s_and_not1_saveexec_b32 s6, s6
; %bb.33:
	v_add_f32_e64 v5, 0x46800000, |v24|
; %bb.34:
	s_or_b32 exec_lo, exec_lo, s6
.LBB50_35:
	s_delay_alu instid0(SALU_CYCLE_1) | instskip(SKIP_2) | instid1(VALU_DEP_1)
	s_or_b32 exec_lo, exec_lo, s3
	v_dual_mov_b32 v25, 0x7f :: v_dual_lshlrev_b32 v6, 16, v6
	s_mov_b32 s3, exec_lo
	v_mul_f32_e32 v6, v20, v6
	s_delay_alu instid0(VALU_DEP_1) | instskip(SKIP_1) | instid1(VALU_DEP_2)
	v_maxmin_f32 v27, v6, v21, v22
	v_mov_b32_e32 v6, 0x7f
	v_and_b32_e32 v29, 0x7fffffff, v27
	s_delay_alu instid0(VALU_DEP_1)
	v_cmpx_gt_u32_e32 0x43f00000, v29
	s_cbranch_execz .LBB50_41
; %bb.36:
	s_mov_b32 s6, exec_lo
                                        ; implicit-def: $vgpr25
	v_cmpx_lt_u32_e32 0x3c7fffff, v29
	s_xor_b32 s6, exec_lo, s6
; %bb.37:
	v_bfe_u32 v25, v27, 20, 1
	s_delay_alu instid0(VALU_DEP_1) | instskip(NEXT) | instid1(VALU_DEP_1)
	v_add3_u32 v25, v27, v25, 0x407ffff
	v_lshrrev_b32_e32 v25, 20, v25
; %bb.38:
	s_and_not1_saveexec_b32 s6, s6
; %bb.39:
	v_add_f32_e64 v25, 0x46800000, |v27|
; %bb.40:
	s_or_b32 exec_lo, exec_lo, s6
.LBB50_41:
	s_delay_alu instid0(SALU_CYCLE_1) | instskip(SKIP_2) | instid1(VALU_DEP_1)
	s_or_b32 exec_lo, exec_lo, s3
	v_lshlrev_b32_e32 v28, 16, v28
	s_mov_b32 s3, exec_lo
	v_mul_f32_e32 v28, v20, v28
	s_delay_alu instid0(VALU_DEP_1) | instskip(NEXT) | instid1(VALU_DEP_1)
	v_maxmin_f32 v28, v28, v21, v22
	v_and_b32_e32 v29, 0x7fffffff, v28
	s_delay_alu instid0(VALU_DEP_1)
	v_cmpx_gt_u32_e32 0x43f00000, v29
	s_cbranch_execz .LBB50_47
; %bb.42:
	s_mov_b32 s6, exec_lo
                                        ; implicit-def: $vgpr6
	v_cmpx_lt_u32_e32 0x3c7fffff, v29
	s_xor_b32 s6, exec_lo, s6
; %bb.43:
	v_bfe_u32 v6, v28, 20, 1
	s_delay_alu instid0(VALU_DEP_1) | instskip(NEXT) | instid1(VALU_DEP_1)
	v_add3_u32 v6, v28, v6, 0x407ffff
	v_lshrrev_b32_e32 v6, 20, v6
; %bb.44:
	s_and_not1_saveexec_b32 s6, s6
; %bb.45:
	v_add_f32_e64 v6, 0x46800000, |v28|
; %bb.46:
	s_or_b32 exec_lo, exec_lo, s6
.LBB50_47:
	s_delay_alu instid0(SALU_CYCLE_1) | instskip(SKIP_3) | instid1(VALU_DEP_2)
	s_or_b32 exec_lo, exec_lo, s3
	v_lshlrev_b32_e32 v7, 16, v7
	v_mov_b32_e32 v29, 0x7f
	s_mov_b32 s3, exec_lo
	v_mul_f32_e32 v7, v20, v7
	s_delay_alu instid0(VALU_DEP_1) | instskip(SKIP_1) | instid1(VALU_DEP_2)
	v_maxmin_f32 v30, v7, v21, v22
	v_mov_b32_e32 v7, 0x7f
	v_and_b32_e32 v31, 0x7fffffff, v30
	s_delay_alu instid0(VALU_DEP_1)
	v_cmpx_gt_u32_e32 0x43f00000, v31
	s_cbranch_execz .LBB50_53
; %bb.48:
	s_mov_b32 s6, exec_lo
                                        ; implicit-def: $vgpr29
	v_cmpx_lt_u32_e32 0x3c7fffff, v31
	s_xor_b32 s6, exec_lo, s6
; %bb.49:
	v_bfe_u32 v29, v30, 20, 1
	s_delay_alu instid0(VALU_DEP_1) | instskip(NEXT) | instid1(VALU_DEP_1)
	v_add3_u32 v29, v30, v29, 0x407ffff
	v_lshrrev_b32_e32 v29, 20, v29
; %bb.50:
	s_and_not1_saveexec_b32 s6, s6
; %bb.51:
	v_add_f32_e64 v29, 0x46800000, |v30|
; %bb.52:
	s_or_b32 exec_lo, exec_lo, s6
.LBB50_53:
	s_delay_alu instid0(SALU_CYCLE_1) | instskip(SKIP_2) | instid1(VALU_DEP_1)
	s_or_b32 exec_lo, exec_lo, s3
	v_lshlrev_b32_e32 v26, 16, v26
	s_mov_b32 s3, exec_lo
	v_mul_f32_e32 v26, v20, v26
	s_delay_alu instid0(VALU_DEP_1) | instskip(NEXT) | instid1(VALU_DEP_1)
	v_maxmin_f32 v26, v26, v21, v22
	v_and_b32_e32 v31, 0x7fffffff, v26
	s_delay_alu instid0(VALU_DEP_1)
	v_cmpx_gt_u32_e32 0x43f00000, v31
	s_cbranch_execz .LBB50_59
; %bb.54:
	s_mov_b32 s6, exec_lo
                                        ; implicit-def: $vgpr7
	v_cmpx_lt_u32_e32 0x3c7fffff, v31
	s_xor_b32 s6, exec_lo, s6
; %bb.55:
	v_bfe_u32 v7, v26, 20, 1
	s_delay_alu instid0(VALU_DEP_1) | instskip(NEXT) | instid1(VALU_DEP_1)
	v_add3_u32 v7, v26, v7, 0x407ffff
	v_lshrrev_b32_e32 v7, 20, v7
; %bb.56:
	s_and_not1_saveexec_b32 s6, s6
; %bb.57:
	v_add_f32_e64 v7, 0x46800000, |v26|
; %bb.58:
	s_or_b32 exec_lo, exec_lo, s6
.LBB50_59:
	s_delay_alu instid0(SALU_CYCLE_1) | instskip(SKIP_2) | instid1(VALU_DEP_1)
	s_or_b32 exec_lo, exec_lo, s3
	v_dual_mov_b32 v31, 0x7f :: v_dual_lshlrev_b32 v0, 16, v0
	s_mov_b32 s3, exec_lo
	v_mul_f32_e32 v0, v20, v0
	s_delay_alu instid0(VALU_DEP_1) | instskip(SKIP_1) | instid1(VALU_DEP_2)
	v_maxmin_f32 v32, v0, v21, v22
	v_mov_b32_e32 v0, 0x7f
	v_and_b32_e32 v33, 0x7fffffff, v32
	s_delay_alu instid0(VALU_DEP_1)
	v_cmpx_gt_u32_e32 0x43f00000, v33
	s_cbranch_execz .LBB50_65
; %bb.60:
	s_mov_b32 s6, exec_lo
                                        ; implicit-def: $vgpr31
	v_cmpx_lt_u32_e32 0x3c7fffff, v33
	s_xor_b32 s6, exec_lo, s6
; %bb.61:
	v_bfe_u32 v31, v32, 20, 1
	s_delay_alu instid0(VALU_DEP_1) | instskip(NEXT) | instid1(VALU_DEP_1)
	v_add3_u32 v31, v32, v31, 0x407ffff
	v_lshrrev_b32_e32 v31, 20, v31
; %bb.62:
	s_and_not1_saveexec_b32 s6, s6
; %bb.63:
	v_add_f32_e64 v31, 0x46800000, |v32|
; %bb.64:
	s_or_b32 exec_lo, exec_lo, s6
.LBB50_65:
	s_delay_alu instid0(SALU_CYCLE_1) | instskip(SKIP_2) | instid1(VALU_DEP_1)
	s_or_b32 exec_lo, exec_lo, s3
	v_lshlrev_b32_e32 v23, 16, v23
	s_mov_b32 s3, exec_lo
	v_mul_f32_e32 v23, v20, v23
	s_delay_alu instid0(VALU_DEP_1) | instskip(NEXT) | instid1(VALU_DEP_1)
	v_maxmin_f32 v23, v23, v21, v22
	v_and_b32_e32 v33, 0x7fffffff, v23
	s_delay_alu instid0(VALU_DEP_1)
	v_cmpx_gt_u32_e32 0x43f00000, v33
	s_cbranch_execz .LBB50_71
; %bb.66:
	s_mov_b32 s6, exec_lo
                                        ; implicit-def: $vgpr0
	v_cmpx_lt_u32_e32 0x3c7fffff, v33
	s_xor_b32 s6, exec_lo, s6
; %bb.67:
	v_bfe_u32 v0, v23, 20, 1
	s_delay_alu instid0(VALU_DEP_1) | instskip(NEXT) | instid1(VALU_DEP_1)
	v_add3_u32 v0, v23, v0, 0x407ffff
	v_lshrrev_b32_e32 v0, 20, v0
; %bb.68:
	s_and_not1_saveexec_b32 s6, s6
; %bb.69:
	v_add_f32_e64 v0, 0x46800000, |v23|
; %bb.70:
	s_or_b32 exec_lo, exec_lo, s6
.LBB50_71:
	s_delay_alu instid0(SALU_CYCLE_1) | instskip(SKIP_3) | instid1(VALU_DEP_2)
	s_or_b32 exec_lo, exec_lo, s3
	v_lshlrev_b32_e32 v1, 16, v1
	v_mov_b32_e32 v33, 0x7f
	s_mov_b32 s3, exec_lo
	v_mul_f32_e32 v1, v20, v1
	s_delay_alu instid0(VALU_DEP_1) | instskip(SKIP_1) | instid1(VALU_DEP_2)
	v_maxmin_f32 v34, v1, v21, v22
	v_mov_b32_e32 v1, 0x7f
	v_and_b32_e32 v35, 0x7fffffff, v34
	s_delay_alu instid0(VALU_DEP_1)
	v_cmpx_gt_u32_e32 0x43f00000, v35
	s_cbranch_execz .LBB50_77
; %bb.72:
	s_mov_b32 s6, exec_lo
                                        ; implicit-def: $vgpr33
	v_cmpx_lt_u32_e32 0x3c7fffff, v35
	s_xor_b32 s6, exec_lo, s6
; %bb.73:
	v_bfe_u32 v33, v34, 20, 1
	s_delay_alu instid0(VALU_DEP_1) | instskip(NEXT) | instid1(VALU_DEP_1)
	v_add3_u32 v33, v34, v33, 0x407ffff
	v_lshrrev_b32_e32 v33, 20, v33
; %bb.74:
	s_and_not1_saveexec_b32 s6, s6
; %bb.75:
	v_add_f32_e64 v33, 0x46800000, |v34|
; %bb.76:
	s_or_b32 exec_lo, exec_lo, s6
.LBB50_77:
	s_delay_alu instid0(SALU_CYCLE_1) | instskip(SKIP_2) | instid1(VALU_DEP_1)
	s_or_b32 exec_lo, exec_lo, s3
	v_lshlrev_b32_e32 v18, 16, v18
	s_mov_b32 s3, exec_lo
	v_mul_f32_e32 v18, v20, v18
	s_delay_alu instid0(VALU_DEP_1) | instskip(NEXT) | instid1(VALU_DEP_1)
	v_maxmin_f32 v18, v18, v21, v22
	v_and_b32_e32 v35, 0x7fffffff, v18
	s_delay_alu instid0(VALU_DEP_1)
	v_cmpx_gt_u32_e32 0x43f00000, v35
	s_cbranch_execz .LBB50_83
; %bb.78:
	s_mov_b32 s6, exec_lo
                                        ; implicit-def: $vgpr1
	v_cmpx_lt_u32_e32 0x3c7fffff, v35
	s_xor_b32 s6, exec_lo, s6
; %bb.79:
	v_bfe_u32 v1, v18, 20, 1
	s_delay_alu instid0(VALU_DEP_1) | instskip(NEXT) | instid1(VALU_DEP_1)
	v_add3_u32 v1, v18, v1, 0x407ffff
	v_lshrrev_b32_e32 v1, 20, v1
; %bb.80:
	s_and_not1_saveexec_b32 s6, s6
; %bb.81:
	v_add_f32_e64 v1, 0x46800000, |v18|
; %bb.82:
	s_or_b32 exec_lo, exec_lo, s6
.LBB50_83:
	s_delay_alu instid0(SALU_CYCLE_1) | instskip(SKIP_2) | instid1(VALU_DEP_1)
	s_or_b32 exec_lo, exec_lo, s3
	v_dual_mov_b32 v35, 0x7f :: v_dual_lshlrev_b32 v2, 16, v2
	s_mov_b32 s3, exec_lo
	v_mul_f32_e32 v2, v20, v2
	s_delay_alu instid0(VALU_DEP_1) | instskip(SKIP_1) | instid1(VALU_DEP_2)
	v_maxmin_f32 v36, v2, v21, v22
	v_mov_b32_e32 v2, 0x7f
	v_and_b32_e32 v37, 0x7fffffff, v36
	s_delay_alu instid0(VALU_DEP_1)
	v_cmpx_gt_u32_e32 0x43f00000, v37
	s_cbranch_execz .LBB50_89
; %bb.84:
	s_mov_b32 s6, exec_lo
                                        ; implicit-def: $vgpr35
	v_cmpx_lt_u32_e32 0x3c7fffff, v37
	s_xor_b32 s6, exec_lo, s6
; %bb.85:
	v_bfe_u32 v35, v36, 20, 1
	s_delay_alu instid0(VALU_DEP_1) | instskip(NEXT) | instid1(VALU_DEP_1)
	v_add3_u32 v35, v36, v35, 0x407ffff
	v_lshrrev_b32_e32 v35, 20, v35
; %bb.86:
	s_and_not1_saveexec_b32 s6, s6
; %bb.87:
	v_add_f32_e64 v35, 0x46800000, |v36|
; %bb.88:
	s_or_b32 exec_lo, exec_lo, s6
.LBB50_89:
	s_delay_alu instid0(SALU_CYCLE_1) | instskip(SKIP_2) | instid1(VALU_DEP_1)
	s_or_b32 exec_lo, exec_lo, s3
	v_lshlrev_b32_e32 v17, 16, v17
	s_mov_b32 s3, exec_lo
	v_mul_f32_e32 v17, v20, v17
	s_delay_alu instid0(VALU_DEP_1) | instskip(NEXT) | instid1(VALU_DEP_1)
	v_maxmin_f32 v17, v17, v21, v22
	v_and_b32_e32 v37, 0x7fffffff, v17
	s_delay_alu instid0(VALU_DEP_1)
	v_cmpx_gt_u32_e32 0x43f00000, v37
	s_cbranch_execz .LBB50_95
; %bb.90:
	s_mov_b32 s6, exec_lo
                                        ; implicit-def: $vgpr2
	v_cmpx_lt_u32_e32 0x3c7fffff, v37
	s_xor_b32 s6, exec_lo, s6
; %bb.91:
	v_bfe_u32 v2, v17, 20, 1
	s_delay_alu instid0(VALU_DEP_1) | instskip(NEXT) | instid1(VALU_DEP_1)
	v_add3_u32 v2, v17, v2, 0x407ffff
	v_lshrrev_b32_e32 v2, 20, v2
; %bb.92:
	s_and_not1_saveexec_b32 s6, s6
; %bb.93:
	v_add_f32_e64 v2, 0x46800000, |v17|
; %bb.94:
	s_or_b32 exec_lo, exec_lo, s6
.LBB50_95:
	s_delay_alu instid0(SALU_CYCLE_1) | instskip(SKIP_3) | instid1(VALU_DEP_2)
	s_or_b32 exec_lo, exec_lo, s3
	v_lshlrev_b32_e32 v3, 16, v3
	v_mov_b32_e32 v37, 0x7f
	s_mov_b32 s3, exec_lo
	v_mul_f32_e32 v3, v20, v3
	s_delay_alu instid0(VALU_DEP_1) | instskip(SKIP_1) | instid1(VALU_DEP_2)
	v_maxmin_f32 v38, v3, v21, v22
	v_mov_b32_e32 v3, 0x7f
	v_and_b32_e32 v39, 0x7fffffff, v38
	s_delay_alu instid0(VALU_DEP_1)
	v_cmpx_gt_u32_e32 0x43f00000, v39
	s_cbranch_execz .LBB50_101
; %bb.96:
	s_mov_b32 s6, exec_lo
                                        ; implicit-def: $vgpr37
	v_cmpx_lt_u32_e32 0x3c7fffff, v39
	s_xor_b32 s6, exec_lo, s6
; %bb.97:
	v_bfe_u32 v37, v38, 20, 1
	s_delay_alu instid0(VALU_DEP_1) | instskip(NEXT) | instid1(VALU_DEP_1)
	v_add3_u32 v37, v38, v37, 0x407ffff
	v_lshrrev_b32_e32 v37, 20, v37
; %bb.98:
	s_and_not1_saveexec_b32 s6, s6
; %bb.99:
	v_add_f32_e64 v37, 0x46800000, |v38|
; %bb.100:
	s_or_b32 exec_lo, exec_lo, s6
.LBB50_101:
	s_delay_alu instid0(SALU_CYCLE_1) | instskip(SKIP_2) | instid1(VALU_DEP_1)
	s_or_b32 exec_lo, exec_lo, s3
	v_lshlrev_b32_e32 v14, 16, v14
	s_mov_b32 s3, exec_lo
	v_mul_f32_e32 v14, v20, v14
	s_delay_alu instid0(VALU_DEP_1) | instskip(NEXT) | instid1(VALU_DEP_1)
	v_maxmin_f32 v14, v14, v21, v22
	v_and_b32_e32 v20, 0x7fffffff, v14
	s_delay_alu instid0(VALU_DEP_1)
	v_cmpx_gt_u32_e32 0x43f00000, v20
	s_cbranch_execz .LBB50_107
; %bb.102:
	s_mov_b32 s6, exec_lo
                                        ; implicit-def: $vgpr3
	v_cmpx_lt_u32_e32 0x3c7fffff, v20
	s_xor_b32 s6, exec_lo, s6
; %bb.103:
	v_bfe_u32 v3, v14, 20, 1
	s_delay_alu instid0(VALU_DEP_1) | instskip(NEXT) | instid1(VALU_DEP_1)
	v_add3_u32 v3, v14, v3, 0x407ffff
	v_lshrrev_b32_e32 v3, 20, v3
; %bb.104:
	s_and_not1_saveexec_b32 s6, s6
; %bb.105:
	v_add_f32_e64 v3, 0x46800000, |v14|
; %bb.106:
	s_or_b32 exec_lo, exec_lo, s6
.LBB50_107:
	s_delay_alu instid0(SALU_CYCLE_1)
	s_or_b32 exec_lo, exec_lo, s3
	v_lshrrev_b32_e32 v20, 24, v36
	v_lshrrev_b32_e32 v17, 24, v17
	;; [unrolled: 1-line block ×5, first 2 shown]
	v_and_b32_e32 v20, 0x80, v20
	v_and_b32_e32 v17, 0x80, v17
	v_lshrrev_b32_e32 v32, 24, v34
	v_and_b32_e32 v22, 0x80, v22
	v_and_b32_e32 v23, 0x80, v23
	v_and_or_b32 v20, 0xff, v35, v20
	v_and_or_b32 v2, 0xff, v2, v17
	v_and_b32_e32 v17, 0x80, v21
	v_and_or_b32 v21, 0xff, v31, v22
	v_and_or_b32 v0, 0xff, v0, v23
	v_and_b32_e32 v22, 0x80, v32
	v_lshl_or_b32 v2, v2, 8, v20
	v_and_or_b32 v17, 0xff, v37, v17
	v_lshrrev_b32_e32 v20, 24, v27
	v_lshl_or_b32 v0, v0, 8, v21
	v_and_or_b32 v21, 0xff, v33, v22
	v_lshrrev_b32_e32 v9, 24, v9
	v_lshl_or_b32 v2, v17, 16, v2
	v_and_b32_e32 v17, 0x80, v20
	v_lshrrev_b32_e32 v20, 24, v28
	v_lshrrev_b32_e32 v10, 24, v10
	v_lshl_or_b32 v0, v21, 16, v0
	v_lshrrev_b32_e32 v21, 24, v30
	v_and_b32_e32 v9, 0x80, v9
	v_and_b32_e32 v20, 0x80, v20
	;; [unrolled: 1-line block ×3, first 2 shown]
	v_lshrrev_b32_e32 v11, 24, v11
	v_and_or_b32 v17, 0xff, v25, v17
	v_and_or_b32 v8, 0xff, v8, v9
	;; [unrolled: 1-line block ×3, first 2 shown]
	v_and_b32_e32 v20, 0x80, v21
	v_and_or_b32 v4, 0xff, v4, v10
	v_and_b32_e32 v9, 0x80, v11
	v_lshlrev_b32_e32 v1, 24, v1
	v_lshl_or_b32 v6, v6, 8, v17
	v_and_or_b32 v10, 0xff, v29, v20
	v_lshl_or_b32 v4, v4, 8, v8
	v_and_or_b32 v8, 0xff, v19, v9
	v_and_b32_e32 v9, 0x80000000, v18
	v_lshlrev_b32_e32 v7, 24, v7
	v_lshl_or_b32 v6, v10, 16, v6
	v_and_b32_e32 v11, 0x80000000, v26
	v_lshl_or_b32 v4, v8, 16, v4
	v_lshlrev_b32_e32 v5, 24, v5
	v_and_b32_e32 v8, 0x80000000, v24
	v_and_b32_e32 v14, 0x80000000, v14
	v_lshlrev_b32_e32 v3, 24, v3
	v_or3_b32 v10, v9, v1, v0
	v_or3_b32 v9, v11, v7, v6
	;; [unrolled: 1-line block ×3, first 2 shown]
	s_or_b32 s5, s5, exec_lo
	v_or3_b32 v11, v14, v3, v2
.LBB50_108:
	s_or_b32 exec_lo, exec_lo, s2
	s_delay_alu instid0(SALU_CYCLE_1)
	s_and_b32 exec_lo, exec_lo, s5
	s_cbranch_execz .LBB50_110
; %bb.109:
	s_load_b64 s[0:1], s[0:1], 0x8
	v_lshlrev_b32_e32 v2, 7, v12
	v_alignbit_b32 v0, v16, v12, 25
	s_ashr_i32 s2, s4, 31
	s_delay_alu instid0(VALU_DEP_2) | instid1(SALU_CYCLE_1)
	v_mul_lo_u32 v3, v2, s2
	s_delay_alu instid0(VALU_DEP_2) | instskip(SKIP_3) | instid1(VALU_DEP_2)
	v_mul_lo_u32 v4, v0, s4
	s_waitcnt lgkmcnt(0)
	v_mad_u64_u32 v[0:1], null, v2, s4, s[0:1]
	v_ashrrev_i32_e32 v2, 31, v13
	v_add3_u32 v1, v4, v1, v3
	v_lshlrev_b32_e32 v3, 4, v15
	s_delay_alu instid0(VALU_DEP_4) | instskip(NEXT) | instid1(VALU_DEP_3)
	v_add_co_u32 v0, vcc_lo, v0, v13
	v_add_co_ci_u32_e32 v1, vcc_lo, v1, v2, vcc_lo
	s_delay_alu instid0(VALU_DEP_2) | instskip(NEXT) | instid1(VALU_DEP_2)
	v_add_co_u32 v0, vcc_lo, v0, v3
	v_add_co_ci_u32_e32 v1, vcc_lo, 0, v1, vcc_lo
	global_store_b128 v[0:1], v[8:11], off
.LBB50_110:
	s_nop 0
	s_sendmsg sendmsg(MSG_DEALLOC_VGPRS)
	s_endpgm
	.section	.rodata,"a",@progbits
	.p2align	6, 0x0
	.amdhsa_kernel _Z49per_token_group_quant_8bit_packed_register_kernelIN3c108BFloat16ENS0_13Float8_e4m3fnELi128ELi4ELi4EEvPKT_PvPjiiiiilfff
		.amdhsa_group_segment_fixed_size 0
		.amdhsa_private_segment_fixed_size 0
		.amdhsa_kernarg_size 68
		.amdhsa_user_sgpr_count 14
		.amdhsa_user_sgpr_dispatch_ptr 0
		.amdhsa_user_sgpr_queue_ptr 0
		.amdhsa_user_sgpr_kernarg_segment_ptr 1
		.amdhsa_user_sgpr_dispatch_id 0
		.amdhsa_user_sgpr_private_segment_size 0
		.amdhsa_wavefront_size32 1
		.amdhsa_uses_dynamic_stack 0
		.amdhsa_enable_private_segment 0
		.amdhsa_system_sgpr_workgroup_id_x 1
		.amdhsa_system_sgpr_workgroup_id_y 1
		.amdhsa_system_sgpr_workgroup_id_z 0
		.amdhsa_system_sgpr_workgroup_info 0
		.amdhsa_system_vgpr_workitem_id 0
		.amdhsa_next_free_vgpr 40
		.amdhsa_next_free_sgpr 16
		.amdhsa_reserve_vcc 1
		.amdhsa_float_round_mode_32 0
		.amdhsa_float_round_mode_16_64 0
		.amdhsa_float_denorm_mode_32 3
		.amdhsa_float_denorm_mode_16_64 3
		.amdhsa_dx10_clamp 1
		.amdhsa_ieee_mode 1
		.amdhsa_fp16_overflow 0
		.amdhsa_workgroup_processor_mode 1
		.amdhsa_memory_ordered 1
		.amdhsa_forward_progress 0
		.amdhsa_shared_vgpr_count 0
		.amdhsa_exception_fp_ieee_invalid_op 0
		.amdhsa_exception_fp_denorm_src 0
		.amdhsa_exception_fp_ieee_div_zero 0
		.amdhsa_exception_fp_ieee_overflow 0
		.amdhsa_exception_fp_ieee_underflow 0
		.amdhsa_exception_fp_ieee_inexact 0
		.amdhsa_exception_int_div_zero 0
	.end_amdhsa_kernel
	.section	.text._Z49per_token_group_quant_8bit_packed_register_kernelIN3c108BFloat16ENS0_13Float8_e4m3fnELi128ELi4ELi4EEvPKT_PvPjiiiiilfff,"axG",@progbits,_Z49per_token_group_quant_8bit_packed_register_kernelIN3c108BFloat16ENS0_13Float8_e4m3fnELi128ELi4ELi4EEvPKT_PvPjiiiiilfff,comdat
.Lfunc_end50:
	.size	_Z49per_token_group_quant_8bit_packed_register_kernelIN3c108BFloat16ENS0_13Float8_e4m3fnELi128ELi4ELi4EEvPKT_PvPjiiiiilfff, .Lfunc_end50-_Z49per_token_group_quant_8bit_packed_register_kernelIN3c108BFloat16ENS0_13Float8_e4m3fnELi128ELi4ELi4EEvPKT_PvPjiiiiilfff
                                        ; -- End function
	.section	.AMDGPU.csdata,"",@progbits
; Kernel info:
; codeLenInByte = 3760
; NumSgprs: 18
; NumVgprs: 40
; ScratchSize: 0
; MemoryBound: 0
; FloatMode: 240
; IeeeMode: 1
; LDSByteSize: 0 bytes/workgroup (compile time only)
; SGPRBlocks: 2
; VGPRBlocks: 4
; NumSGPRsForWavesPerEU: 18
; NumVGPRsForWavesPerEU: 40
; Occupancy: 16
; WaveLimiterHint : 0
; COMPUTE_PGM_RSRC2:SCRATCH_EN: 0
; COMPUTE_PGM_RSRC2:USER_SGPR: 14
; COMPUTE_PGM_RSRC2:TRAP_HANDLER: 0
; COMPUTE_PGM_RSRC2:TGID_X_EN: 1
; COMPUTE_PGM_RSRC2:TGID_Y_EN: 1
; COMPUTE_PGM_RSRC2:TGID_Z_EN: 0
; COMPUTE_PGM_RSRC2:TIDIG_COMP_CNT: 0
	.section	.text._Z49per_token_group_quant_8bit_packed_register_kernelIN3c108BFloat16ENS0_15Float8_e4m3fnuzELi128ELi16ELi1EEvPKT_PvPjiiiiilfff,"axG",@progbits,_Z49per_token_group_quant_8bit_packed_register_kernelIN3c108BFloat16ENS0_15Float8_e4m3fnuzELi128ELi16ELi1EEvPKT_PvPjiiiiilfff,comdat
	.protected	_Z49per_token_group_quant_8bit_packed_register_kernelIN3c108BFloat16ENS0_15Float8_e4m3fnuzELi128ELi16ELi1EEvPKT_PvPjiiiiilfff ; -- Begin function _Z49per_token_group_quant_8bit_packed_register_kernelIN3c108BFloat16ENS0_15Float8_e4m3fnuzELi128ELi16ELi1EEvPKT_PvPjiiiiilfff
	.globl	_Z49per_token_group_quant_8bit_packed_register_kernelIN3c108BFloat16ENS0_15Float8_e4m3fnuzELi128ELi16ELi1EEvPKT_PvPjiiiiilfff
	.p2align	8
	.type	_Z49per_token_group_quant_8bit_packed_register_kernelIN3c108BFloat16ENS0_15Float8_e4m3fnuzELi128ELi16ELi1EEvPKT_PvPjiiiiilfff,@function
_Z49per_token_group_quant_8bit_packed_register_kernelIN3c108BFloat16ENS0_15Float8_e4m3fnuzELi128ELi16ELi1EEvPKT_PvPjiiiiilfff: ; @_Z49per_token_group_quant_8bit_packed_register_kernelIN3c108BFloat16ENS0_15Float8_e4m3fnuzELi128ELi16ELi1EEvPKT_PvPjiiiiilfff
; %bb.0:
	s_load_b128 s[4:7], s[0:1], 0x1c
	v_lshrrev_b32_e32 v1, 7, v0
	s_mov_b32 s2, exec_lo
	s_delay_alu instid0(VALU_DEP_1) | instskip(SKIP_1) | instid1(VALU_DEP_1)
	v_add_nc_u32_e32 v12, s15, v1
	s_waitcnt lgkmcnt(0)
	v_cmpx_gt_i32_e64 s7, v12
	s_cbranch_execz .LBB51_110
; %bb.1:
	s_load_b128 s[8:11], s[0:1], 0x38
	v_lshrrev_b32_e32 v1, 3, v0
	s_lshl_b32 s2, s14, 4
	v_and_b32_e32 v15, 7, v0
	v_ashrrev_i32_e32 v16, 31, v12
                                        ; implicit-def: $vgpr14
                                        ; implicit-def: $vgpr3
                                        ; implicit-def: $vgpr17
                                        ; implicit-def: $vgpr18
                                        ; implicit-def: $vgpr20
                                        ; implicit-def: $vgpr22
                                        ; implicit-def: $vgpr7
                                        ; implicit-def: $vgpr23
                                        ; implicit-def: $vgpr21
                                        ; implicit-def: $vgpr19
	s_delay_alu instid0(VALU_DEP_3) | instskip(SKIP_1) | instid1(VALU_DEP_2)
	v_and_or_b32 v10, v1, 15, s2
	v_cmp_gt_i32_e64 s2, s5, v12
	v_cmp_gt_i32_e64 s3, s4, v10
	v_lshlrev_b32_e32 v13, 7, v10
	s_waitcnt lgkmcnt(0)
	s_delay_alu instid0(VALU_DEP_2)
	s_and_b32 s11, s2, s3
	v_mov_b32_e32 v8, s8
	s_and_saveexec_b32 s5, s11
	s_cbranch_execz .LBB51_3
; %bb.2:
	s_load_b64 s[12:13], s[0:1], 0x0
	v_lshlrev_b32_e32 v2, 8, v12
	v_alignbit_b32 v0, v16, v12, 24
	s_ashr_i32 s14, s4, 31
	v_ashrrev_i32_e32 v14, 31, v13
	s_delay_alu instid0(VALU_DEP_3) | instskip(NEXT) | instid1(VALU_DEP_3)
	v_mul_lo_u32 v4, v2, s14
	v_mul_lo_u32 v5, v0, s4
	s_waitcnt lgkmcnt(0)
	v_mad_u64_u32 v[0:1], null, v2, s4, s[12:13]
	v_lshlrev_b64 v[2:3], 1, v[13:14]
	s_delay_alu instid0(VALU_DEP_2) | instskip(SKIP_1) | instid1(VALU_DEP_3)
	v_add3_u32 v1, v5, v1, v4
	v_lshlrev_b32_e32 v4, 5, v15
	v_add_co_u32 v0, vcc_lo, v0, v2
	s_delay_alu instid0(VALU_DEP_3) | instskip(NEXT) | instid1(VALU_DEP_2)
	v_add_co_ci_u32_e32 v1, vcc_lo, v1, v3, vcc_lo
	v_add_co_u32 v0, vcc_lo, v0, v4
	s_delay_alu instid0(VALU_DEP_2)
	v_add_co_ci_u32_e32 v1, vcc_lo, 0, v1, vcc_lo
	s_clause 0x1
	global_load_b128 v[4:7], v[0:1], off
	global_load_b128 v[0:3], v[0:1], off offset:16
	s_waitcnt vmcnt(1)
	v_lshlrev_b32_e32 v8, 16, v4
	v_and_b32_e32 v9, 0xffff0000, v4
	v_lshlrev_b32_e32 v11, 16, v5
	v_and_b32_e32 v14, 0xffff0000, v5
	v_and_b32_e32 v17, 0xffff0000, v6
	v_lshrrev_b32_e32 v19, 16, v4
	v_max3_f32 v8, s8, |v8|, |v9|
	v_lshlrev_b32_e32 v9, 16, v6
	v_lshrrev_b32_e32 v21, 16, v5
	v_lshrrev_b32_e32 v23, 16, v6
	;; [unrolled: 1-line block ×3, first 2 shown]
	v_max3_f32 v8, v8, |v11|, |v14|
	v_lshlrev_b32_e32 v11, 16, v7
	v_and_b32_e32 v14, 0xffff0000, v7
	s_waitcnt vmcnt(0)
	v_lshrrev_b32_e32 v20, 16, v0
	v_lshrrev_b32_e32 v18, 16, v1
	v_max3_f32 v8, v8, |v9|, |v17|
	v_lshlrev_b32_e32 v9, 16, v0
	v_and_b32_e32 v17, 0xffff0000, v0
	s_delay_alu instid0(VALU_DEP_3) | instskip(SKIP_2) | instid1(VALU_DEP_3)
	v_max3_f32 v8, v8, |v11|, |v14|
	v_lshlrev_b32_e32 v11, 16, v1
	v_and_b32_e32 v14, 0xffff0000, v1
	v_max3_f32 v8, v8, |v9|, |v17|
	v_lshlrev_b32_e32 v9, 16, v2
	v_and_b32_e32 v17, 0xffff0000, v2
	s_delay_alu instid0(VALU_DEP_3) | instskip(SKIP_2) | instid1(VALU_DEP_3)
	v_max3_f32 v8, v8, |v11|, |v14|
	v_lshlrev_b32_e32 v11, 16, v3
	v_lshrrev_b32_e32 v14, 16, v3
	v_max3_f32 v8, v8, |v9|, |v17|
	v_and_b32_e32 v9, 0xffff0000, v3
	v_lshrrev_b32_e32 v17, 16, v2
	s_delay_alu instid0(VALU_DEP_2)
	v_max3_f32 v8, v8, |v11|, |v9|
.LBB51_3:
	s_or_b32 exec_lo, exec_lo, s5
	v_mbcnt_lo_u32_b32 v9, -1, 0
	s_xor_b32 s8, s11, -1
	s_mov_b32 s5, 0
	s_mov_b32 s12, exec_lo
	s_delay_alu instid0(VALU_DEP_1) | instskip(SKIP_2) | instid1(VALU_DEP_2)
	v_xor_b32_e32 v24, 4, v9
	v_and_b32_e32 v11, 24, v9
	v_xor_b32_e32 v25, 2, v9
	v_add_nc_u32_e32 v11, 8, v11
	s_delay_alu instid0(VALU_DEP_1) | instskip(SKIP_1) | instid1(VALU_DEP_1)
	v_cmp_lt_i32_e32 vcc_lo, v24, v11
	v_cndmask_b32_e32 v24, v9, v24, vcc_lo
	v_lshlrev_b32_e32 v24, 2, v24
	ds_bpermute_b32 v24, v24, v8
	v_max_f32_e32 v8, v8, v8
	v_cmp_lt_i32_e32 vcc_lo, v25, v11
	v_cndmask_b32_e32 v25, v9, v25, vcc_lo
	s_waitcnt lgkmcnt(0)
	s_delay_alu instid0(VALU_DEP_1) | instskip(NEXT) | instid1(VALU_DEP_1)
	v_dual_max_f32 v24, v24, v24 :: v_dual_lshlrev_b32 v25, 2, v25
	v_max_f32_e32 v8, v8, v24
	ds_bpermute_b32 v24, v25, v8
	v_xor_b32_e32 v25, 1, v9
	s_delay_alu instid0(VALU_DEP_1) | instskip(SKIP_3) | instid1(VALU_DEP_1)
	v_cmp_lt_i32_e32 vcc_lo, v25, v11
	v_cndmask_b32_e32 v9, v9, v25, vcc_lo
	s_waitcnt lgkmcnt(0)
	v_max_f32_e32 v11, v24, v24
	v_dual_max_f32 v8, v8, v11 :: v_dual_lshlrev_b32 v9, 2, v9
	ds_bpermute_b32 v9, v9, v8
	s_waitcnt lgkmcnt(0)
	v_max_f32_e32 v9, v9, v9
	s_delay_alu instid0(VALU_DEP_1) | instskip(NEXT) | instid1(VALU_DEP_1)
	v_max_f32_e32 v8, v8, v9
	v_div_scale_f32 v9, null, s10, s10, v8
	v_div_scale_f32 v25, vcc_lo, v8, s10, v8
	s_delay_alu instid0(VALU_DEP_2) | instskip(SKIP_2) | instid1(VALU_DEP_1)
	v_rcp_f32_e32 v11, v9
	s_waitcnt_depctr 0xfff
	v_fma_f32 v24, -v9, v11, 1.0
	v_fmac_f32_e32 v11, v24, v11
	s_delay_alu instid0(VALU_DEP_1) | instskip(NEXT) | instid1(VALU_DEP_1)
	v_mul_f32_e32 v24, v25, v11
	v_fma_f32 v26, -v9, v24, v25
	s_delay_alu instid0(VALU_DEP_1) | instskip(NEXT) | instid1(VALU_DEP_1)
	v_fmac_f32_e32 v24, v26, v11
	v_fma_f32 v9, -v9, v24, v25
	s_delay_alu instid0(VALU_DEP_1) | instskip(NEXT) | instid1(VALU_DEP_1)
	v_div_fmas_f32 v9, v9, v11, v24
	v_div_fixup_f32 v8, v9, s10, v8
	s_delay_alu instid0(VALU_DEP_1) | instskip(NEXT) | instid1(VALU_DEP_1)
	v_max_f32_e32 v8, 0x2edbe6ff, v8
	v_and_b32_e32 v9, 0x7fffff, v8
	v_lshrrev_b32_e32 v8, 23, v8
	s_delay_alu instid0(VALU_DEP_2) | instskip(NEXT) | instid1(VALU_DEP_2)
	v_cmp_ne_u32_e32 vcc_lo, 0, v9
	v_add_co_ci_u32_e32 v24, vcc_lo, 0, v8, vcc_lo
	v_cmpx_eq_u32_e32 0, v15
	s_cbranch_execz .LBB51_8
; %bb.4:
	v_ashrrev_i32_e32 v8, 31, v10
	s_delay_alu instid0(VALU_DEP_1) | instskip(NEXT) | instid1(VALU_DEP_1)
	v_lshrrev_b32_e32 v8, 30, v8
	v_add_nc_u32_e32 v8, v10, v8
	s_delay_alu instid0(VALU_DEP_1) | instskip(NEXT) | instid1(VALU_DEP_1)
	v_ashrrev_i32_e32 v11, 2, v8
	v_mad_u64_u32 v[8:9], null, v11, s7, v[12:13]
	v_mov_b32_e32 v9, v24
	s_and_saveexec_b32 s7, s8
	s_cbranch_execz .LBB51_6
; %bb.5:
	s_load_b64 s[14:15], s[0:1], 0x30
	s_delay_alu instid0(VALU_DEP_2) | instskip(SKIP_2) | instid1(VALU_DEP_1)
	v_ashrrev_i32_e32 v9, 31, v8
	s_and_not1_b32 s11, s11, exec_lo
	s_waitcnt lgkmcnt(0)
	v_cmp_gt_i64_e32 vcc_lo, s[14:15], v[8:9]
	v_mov_b32_e32 v9, 0
	s_and_b32 s13, vcc_lo, exec_lo
	s_delay_alu instid0(SALU_CYCLE_1)
	s_or_b32 s11, s11, s13
.LBB51_6:
	s_or_b32 exec_lo, exec_lo, s7
	s_delay_alu instid0(SALU_CYCLE_1)
	s_and_b32 exec_lo, exec_lo, s11
	s_cbranch_execz .LBB51_8
; %bb.7:
	s_load_b64 s[14:15], s[0:1], 0x10
	v_lshlrev_b32_e32 v11, 2, v11
	s_delay_alu instid0(VALU_DEP_1) | instskip(NEXT) | instid1(VALU_DEP_1)
	v_sub_nc_u32_e32 v10, v10, v11
	v_lshl_add_u32 v8, v8, 2, v10
	s_delay_alu instid0(VALU_DEP_1) | instskip(SKIP_2) | instid1(VALU_DEP_2)
	v_ashrrev_i32_e32 v11, 31, v8
	s_waitcnt lgkmcnt(0)
	v_add_co_u32 v10, vcc_lo, s14, v8
	v_add_co_ci_u32_e32 v11, vcc_lo, s15, v11, vcc_lo
	global_store_b8 v[10:11], v9, off
.LBB51_8:
	s_or_b32 exec_lo, exec_lo, s12
                                        ; implicit-def: $sgpr7
	s_and_saveexec_b32 s11, s8
	s_delay_alu instid0(SALU_CYCLE_1)
	s_xor_b32 s8, exec_lo, s11
; %bb.9:
	v_cmp_gt_i32_e32 vcc_lo, s6, v12
	s_xor_b32 s2, s2, -1
	s_mov_b32 s7, 0
                                        ; implicit-def: $vgpr14
                                        ; implicit-def: $vgpr3
                                        ; implicit-def: $vgpr17
                                        ; implicit-def: $vgpr18
                                        ; implicit-def: $vgpr20
                                        ; implicit-def: $vgpr22
                                        ; implicit-def: $vgpr7
                                        ; implicit-def: $vgpr23
                                        ; implicit-def: $vgpr21
                                        ; implicit-def: $vgpr19
                                        ; implicit-def: $vgpr24
	s_and_b32 s2, vcc_lo, s2
	s_delay_alu instid0(SALU_CYCLE_1) | instskip(NEXT) | instid1(SALU_CYCLE_1)
	s_and_b32 s2, s3, s2
	s_and_b32 s5, s2, exec_lo
; %bb.10:
	s_or_saveexec_b32 s2, s8
	v_dual_mov_b32 v11, s7 :: v_dual_mov_b32 v10, s7
	v_dual_mov_b32 v9, s7 :: v_dual_mov_b32 v8, s7
	s_xor_b32 exec_lo, exec_lo, s2
	s_cbranch_execz .LBB51_108
; %bb.11:
	v_lshlrev_b32_e32 v8, 23, v24
	v_lshlrev_b32_e32 v4, 16, v4
	s_mov_b32 s3, exec_lo
	s_delay_alu instid0(VALU_DEP_2) | instskip(NEXT) | instid1(VALU_DEP_1)
	v_and_b32_e32 v8, 0x7f800000, v8
	v_div_scale_f32 v9, null, v8, v8, 1.0
	v_div_scale_f32 v24, vcc_lo, 1.0, v8, 1.0
	s_delay_alu instid0(VALU_DEP_2) | instskip(SKIP_2) | instid1(VALU_DEP_1)
	v_rcp_f32_e32 v10, v9
	s_waitcnt_depctr 0xfff
	v_fma_f32 v11, -v9, v10, 1.0
	v_fmac_f32_e32 v10, v11, v10
	s_delay_alu instid0(VALU_DEP_1) | instskip(NEXT) | instid1(VALU_DEP_1)
	v_mul_f32_e32 v11, v24, v10
	v_fma_f32 v25, -v9, v11, v24
	s_delay_alu instid0(VALU_DEP_1) | instskip(NEXT) | instid1(VALU_DEP_1)
	v_fmac_f32_e32 v11, v25, v10
	v_fma_f32 v9, -v9, v11, v24
	s_delay_alu instid0(VALU_DEP_1) | instskip(SKIP_2) | instid1(VALU_DEP_3)
	v_div_fmas_f32 v9, v9, v10, v11
	v_max_f32_e64 v10, s9, s9
	v_max_f32_e64 v11, s10, s10
	v_div_fixup_f32 v9, v9, v8, 1.0
	v_mov_b32_e32 v8, 0x80
	s_delay_alu instid0(VALU_DEP_2) | instskip(NEXT) | instid1(VALU_DEP_1)
	v_mul_f32_e32 v4, v9, v4
	v_maxmin_f32 v24, v4, v10, v11
	v_mov_b32_e32 v4, 0x80
	s_delay_alu instid0(VALU_DEP_2) | instskip(NEXT) | instid1(VALU_DEP_1)
	v_and_b32_e32 v25, 0x7fffffff, v24
	v_cmpx_gt_u32_e32 0x43800000, v25
	s_cbranch_execz .LBB51_17
; %bb.12:
	v_cmp_lt_u32_e32 vcc_lo, 0x3bffffff, v25
	s_mov_b32 s6, 0
                                        ; implicit-def: $vgpr25
	s_and_saveexec_b32 s7, vcc_lo
	s_delay_alu instid0(SALU_CYCLE_1)
	s_xor_b32 s7, exec_lo, s7
	s_cbranch_execnz .LBB51_111
; %bb.13:
	s_or_saveexec_b32 s7, s7
                                        ; implicit-def: $sgpr8
	s_delay_alu instid0(SALU_CYCLE_1)
	s_xor_b32 exec_lo, exec_lo, s7
	s_cbranch_execnz .LBB51_112
.LBB51_14:
	s_or_b32 exec_lo, exec_lo, s7
	v_mov_b32_e32 v4, s8
	s_and_saveexec_b32 s7, s6
.LBB51_15:
	v_lshrrev_b32_e32 v4, 24, v24
	s_delay_alu instid0(VALU_DEP_1)
	v_and_or_b32 v4, 0x80, v4, v25
.LBB51_16:
	s_or_b32 exec_lo, exec_lo, s7
.LBB51_17:
	s_delay_alu instid0(SALU_CYCLE_1) | instskip(SKIP_2) | instid1(VALU_DEP_1)
	s_or_b32 exec_lo, exec_lo, s3
	v_lshlrev_b32_e32 v19, 16, v19
	s_mov_b32 s3, exec_lo
	v_mul_f32_e32 v19, v9, v19
	s_delay_alu instid0(VALU_DEP_1) | instskip(NEXT) | instid1(VALU_DEP_1)
	v_maxmin_f32 v19, v19, v10, v11
	v_and_b32_e32 v24, 0x7fffffff, v19
	s_delay_alu instid0(VALU_DEP_1)
	v_cmpx_gt_u32_e32 0x43800000, v24
	s_cbranch_execz .LBB51_23
; %bb.18:
	v_cmp_lt_u32_e32 vcc_lo, 0x3bffffff, v24
	s_mov_b32 s6, 0
                                        ; implicit-def: $vgpr24
	s_and_saveexec_b32 s7, vcc_lo
	s_delay_alu instid0(SALU_CYCLE_1)
	s_xor_b32 s7, exec_lo, s7
	s_cbranch_execnz .LBB51_113
; %bb.19:
	s_or_saveexec_b32 s7, s7
                                        ; implicit-def: $sgpr8
	s_delay_alu instid0(SALU_CYCLE_1)
	s_xor_b32 exec_lo, exec_lo, s7
	s_cbranch_execnz .LBB51_114
.LBB51_20:
	s_or_b32 exec_lo, exec_lo, s7
	v_mov_b32_e32 v8, s8
	s_and_saveexec_b32 s7, s6
.LBB51_21:
	v_lshrrev_b32_e32 v8, 24, v19
	s_delay_alu instid0(VALU_DEP_1)
	v_and_or_b32 v8, 0x80, v8, v24
.LBB51_22:
	s_or_b32 exec_lo, exec_lo, s7
.LBB51_23:
	s_delay_alu instid0(SALU_CYCLE_1) | instskip(SKIP_3) | instid1(VALU_DEP_2)
	s_or_b32 exec_lo, exec_lo, s3
	v_lshlrev_b32_e32 v5, 16, v5
	v_mov_b32_e32 v19, 0x80
	s_mov_b32 s3, exec_lo
	v_mul_f32_e32 v5, v9, v5
	s_delay_alu instid0(VALU_DEP_1) | instskip(SKIP_1) | instid1(VALU_DEP_2)
	v_maxmin_f32 v24, v5, v10, v11
	v_mov_b32_e32 v5, 0x80
	v_and_b32_e32 v25, 0x7fffffff, v24
	s_delay_alu instid0(VALU_DEP_1)
	v_cmpx_gt_u32_e32 0x43800000, v25
	s_cbranch_execz .LBB51_29
; %bb.24:
	v_cmp_lt_u32_e32 vcc_lo, 0x3bffffff, v25
	s_mov_b32 s6, 0
                                        ; implicit-def: $vgpr25
	s_and_saveexec_b32 s7, vcc_lo
	s_delay_alu instid0(SALU_CYCLE_1)
	s_xor_b32 s7, exec_lo, s7
	s_cbranch_execnz .LBB51_115
; %bb.25:
	s_or_saveexec_b32 s7, s7
                                        ; implicit-def: $sgpr8
	s_delay_alu instid0(SALU_CYCLE_1)
	s_xor_b32 exec_lo, exec_lo, s7
	s_cbranch_execnz .LBB51_116
.LBB51_26:
	s_or_b32 exec_lo, exec_lo, s7
	v_mov_b32_e32 v19, s8
	s_and_saveexec_b32 s7, s6
.LBB51_27:
	v_lshrrev_b32_e32 v19, 24, v24
	s_delay_alu instid0(VALU_DEP_1)
	v_and_or_b32 v19, 0x80, v19, v25
.LBB51_28:
	s_or_b32 exec_lo, exec_lo, s7
.LBB51_29:
	s_delay_alu instid0(SALU_CYCLE_1) | instskip(SKIP_2) | instid1(VALU_DEP_1)
	s_or_b32 exec_lo, exec_lo, s3
	v_lshlrev_b32_e32 v21, 16, v21
	s_mov_b32 s3, exec_lo
	v_mul_f32_e32 v21, v9, v21
	s_delay_alu instid0(VALU_DEP_1) | instskip(NEXT) | instid1(VALU_DEP_1)
	v_maxmin_f32 v21, v21, v10, v11
	v_and_b32_e32 v24, 0x7fffffff, v21
	s_delay_alu instid0(VALU_DEP_1)
	v_cmpx_gt_u32_e32 0x43800000, v24
	s_cbranch_execz .LBB51_35
; %bb.30:
	v_cmp_lt_u32_e32 vcc_lo, 0x3bffffff, v24
	s_mov_b32 s6, 0
                                        ; implicit-def: $vgpr24
	s_and_saveexec_b32 s7, vcc_lo
	s_delay_alu instid0(SALU_CYCLE_1)
	s_xor_b32 s7, exec_lo, s7
	s_cbranch_execnz .LBB51_117
; %bb.31:
	s_or_saveexec_b32 s7, s7
                                        ; implicit-def: $sgpr8
	s_delay_alu instid0(SALU_CYCLE_1)
	s_xor_b32 exec_lo, exec_lo, s7
	s_cbranch_execnz .LBB51_118
.LBB51_32:
	s_or_b32 exec_lo, exec_lo, s7
	v_mov_b32_e32 v5, s8
	s_and_saveexec_b32 s7, s6
.LBB51_33:
	v_lshrrev_b32_e32 v5, 24, v21
	s_delay_alu instid0(VALU_DEP_1)
	v_and_or_b32 v5, 0x80, v5, v24
.LBB51_34:
	s_or_b32 exec_lo, exec_lo, s7
.LBB51_35:
	s_delay_alu instid0(SALU_CYCLE_1) | instskip(SKIP_2) | instid1(VALU_DEP_1)
	s_or_b32 exec_lo, exec_lo, s3
	v_dual_mov_b32 v21, 0x80 :: v_dual_lshlrev_b32 v6, 16, v6
	s_mov_b32 s3, exec_lo
	v_mul_f32_e32 v6, v9, v6
	s_delay_alu instid0(VALU_DEP_1) | instskip(SKIP_1) | instid1(VALU_DEP_2)
	v_maxmin_f32 v24, v6, v10, v11
	v_mov_b32_e32 v6, 0x80
	v_and_b32_e32 v25, 0x7fffffff, v24
	s_delay_alu instid0(VALU_DEP_1)
	v_cmpx_gt_u32_e32 0x43800000, v25
	s_cbranch_execz .LBB51_41
; %bb.36:
	v_cmp_lt_u32_e32 vcc_lo, 0x3bffffff, v25
	s_mov_b32 s6, 0
                                        ; implicit-def: $vgpr25
	s_and_saveexec_b32 s7, vcc_lo
	s_delay_alu instid0(SALU_CYCLE_1)
	s_xor_b32 s7, exec_lo, s7
	s_cbranch_execnz .LBB51_119
; %bb.37:
	s_or_saveexec_b32 s7, s7
                                        ; implicit-def: $sgpr8
	s_delay_alu instid0(SALU_CYCLE_1)
	s_xor_b32 exec_lo, exec_lo, s7
	s_cbranch_execnz .LBB51_120
.LBB51_38:
	s_or_b32 exec_lo, exec_lo, s7
	v_mov_b32_e32 v6, s8
	s_and_saveexec_b32 s7, s6
.LBB51_39:
	v_lshrrev_b32_e32 v6, 24, v24
	s_delay_alu instid0(VALU_DEP_1)
	v_and_or_b32 v6, 0x80, v6, v25
.LBB51_40:
	s_or_b32 exec_lo, exec_lo, s7
.LBB51_41:
	s_delay_alu instid0(SALU_CYCLE_1) | instskip(SKIP_2) | instid1(VALU_DEP_1)
	s_or_b32 exec_lo, exec_lo, s3
	v_lshlrev_b32_e32 v23, 16, v23
	s_mov_b32 s3, exec_lo
	v_mul_f32_e32 v23, v9, v23
	s_delay_alu instid0(VALU_DEP_1) | instskip(NEXT) | instid1(VALU_DEP_1)
	v_maxmin_f32 v23, v23, v10, v11
	v_and_b32_e32 v24, 0x7fffffff, v23
	s_delay_alu instid0(VALU_DEP_1)
	v_cmpx_gt_u32_e32 0x43800000, v24
	s_cbranch_execz .LBB51_47
; %bb.42:
	v_cmp_lt_u32_e32 vcc_lo, 0x3bffffff, v24
	s_mov_b32 s6, 0
                                        ; implicit-def: $vgpr24
	s_and_saveexec_b32 s7, vcc_lo
	s_delay_alu instid0(SALU_CYCLE_1)
	s_xor_b32 s7, exec_lo, s7
	s_cbranch_execnz .LBB51_121
; %bb.43:
	s_or_saveexec_b32 s7, s7
                                        ; implicit-def: $sgpr8
	s_delay_alu instid0(SALU_CYCLE_1)
	s_xor_b32 exec_lo, exec_lo, s7
	s_cbranch_execnz .LBB51_122
.LBB51_44:
	s_or_b32 exec_lo, exec_lo, s7
	v_mov_b32_e32 v21, s8
	s_and_saveexec_b32 s7, s6
.LBB51_45:
	v_lshrrev_b32_e32 v21, 24, v23
	s_delay_alu instid0(VALU_DEP_1)
	v_and_or_b32 v21, 0x80, v21, v24
.LBB51_46:
	s_or_b32 exec_lo, exec_lo, s7
.LBB51_47:
	s_delay_alu instid0(SALU_CYCLE_1) | instskip(SKIP_3) | instid1(VALU_DEP_2)
	s_or_b32 exec_lo, exec_lo, s3
	v_lshlrev_b32_e32 v7, 16, v7
	v_mov_b32_e32 v23, 0x80
	s_mov_b32 s3, exec_lo
	v_mul_f32_e32 v7, v9, v7
	s_delay_alu instid0(VALU_DEP_1) | instskip(SKIP_1) | instid1(VALU_DEP_2)
	v_maxmin_f32 v24, v7, v10, v11
	v_mov_b32_e32 v7, 0x80
	v_and_b32_e32 v25, 0x7fffffff, v24
	s_delay_alu instid0(VALU_DEP_1)
	v_cmpx_gt_u32_e32 0x43800000, v25
	s_cbranch_execz .LBB51_53
; %bb.48:
	v_cmp_lt_u32_e32 vcc_lo, 0x3bffffff, v25
	s_mov_b32 s6, 0
                                        ; implicit-def: $vgpr25
	s_and_saveexec_b32 s7, vcc_lo
	s_delay_alu instid0(SALU_CYCLE_1)
	s_xor_b32 s7, exec_lo, s7
	s_cbranch_execnz .LBB51_123
; %bb.49:
	s_or_saveexec_b32 s7, s7
                                        ; implicit-def: $sgpr8
	s_delay_alu instid0(SALU_CYCLE_1)
	s_xor_b32 exec_lo, exec_lo, s7
	s_cbranch_execnz .LBB51_124
.LBB51_50:
	s_or_b32 exec_lo, exec_lo, s7
	v_mov_b32_e32 v23, s8
	s_and_saveexec_b32 s7, s6
.LBB51_51:
	v_lshrrev_b32_e32 v23, 24, v24
	s_delay_alu instid0(VALU_DEP_1)
	v_and_or_b32 v23, 0x80, v23, v25
.LBB51_52:
	s_or_b32 exec_lo, exec_lo, s7
.LBB51_53:
	s_delay_alu instid0(SALU_CYCLE_1) | instskip(SKIP_2) | instid1(VALU_DEP_1)
	s_or_b32 exec_lo, exec_lo, s3
	v_lshlrev_b32_e32 v22, 16, v22
	s_mov_b32 s3, exec_lo
	v_mul_f32_e32 v22, v9, v22
	s_delay_alu instid0(VALU_DEP_1) | instskip(NEXT) | instid1(VALU_DEP_1)
	v_maxmin_f32 v22, v22, v10, v11
	v_and_b32_e32 v24, 0x7fffffff, v22
	s_delay_alu instid0(VALU_DEP_1)
	v_cmpx_gt_u32_e32 0x43800000, v24
	s_cbranch_execz .LBB51_59
; %bb.54:
	v_cmp_lt_u32_e32 vcc_lo, 0x3bffffff, v24
	s_mov_b32 s6, 0
                                        ; implicit-def: $vgpr24
	s_and_saveexec_b32 s7, vcc_lo
	s_delay_alu instid0(SALU_CYCLE_1)
	s_xor_b32 s7, exec_lo, s7
	s_cbranch_execnz .LBB51_125
; %bb.55:
	s_or_saveexec_b32 s7, s7
                                        ; implicit-def: $sgpr8
	s_delay_alu instid0(SALU_CYCLE_1)
	s_xor_b32 exec_lo, exec_lo, s7
	s_cbranch_execnz .LBB51_126
.LBB51_56:
	s_or_b32 exec_lo, exec_lo, s7
	v_mov_b32_e32 v7, s8
	s_and_saveexec_b32 s7, s6
.LBB51_57:
	v_lshrrev_b32_e32 v7, 24, v22
	s_delay_alu instid0(VALU_DEP_1)
	v_and_or_b32 v7, 0x80, v7, v24
.LBB51_58:
	s_or_b32 exec_lo, exec_lo, s7
.LBB51_59:
	s_delay_alu instid0(SALU_CYCLE_1) | instskip(SKIP_3) | instid1(VALU_DEP_2)
	s_or_b32 exec_lo, exec_lo, s3
	v_lshlrev_b32_e32 v0, 16, v0
	v_mov_b32_e32 v22, 0x80
	s_mov_b32 s3, exec_lo
	v_mul_f32_e32 v0, v9, v0
	s_delay_alu instid0(VALU_DEP_1) | instskip(SKIP_1) | instid1(VALU_DEP_2)
	v_maxmin_f32 v24, v0, v10, v11
	v_mov_b32_e32 v0, 0x80
	v_and_b32_e32 v25, 0x7fffffff, v24
	s_delay_alu instid0(VALU_DEP_1)
	v_cmpx_gt_u32_e32 0x43800000, v25
	s_cbranch_execz .LBB51_65
; %bb.60:
	v_cmp_lt_u32_e32 vcc_lo, 0x3bffffff, v25
	s_mov_b32 s6, 0
                                        ; implicit-def: $vgpr25
	s_and_saveexec_b32 s7, vcc_lo
	s_delay_alu instid0(SALU_CYCLE_1)
	s_xor_b32 s7, exec_lo, s7
	s_cbranch_execnz .LBB51_127
; %bb.61:
	s_or_saveexec_b32 s7, s7
                                        ; implicit-def: $sgpr8
	s_delay_alu instid0(SALU_CYCLE_1)
	s_xor_b32 exec_lo, exec_lo, s7
	s_cbranch_execnz .LBB51_128
.LBB51_62:
	s_or_b32 exec_lo, exec_lo, s7
	v_mov_b32_e32 v0, s8
	s_and_saveexec_b32 s7, s6
.LBB51_63:
	v_lshrrev_b32_e32 v0, 24, v24
	s_delay_alu instid0(VALU_DEP_1)
	v_and_or_b32 v0, 0x80, v0, v25
.LBB51_64:
	s_or_b32 exec_lo, exec_lo, s7
.LBB51_65:
	s_delay_alu instid0(SALU_CYCLE_1) | instskip(SKIP_2) | instid1(VALU_DEP_1)
	s_or_b32 exec_lo, exec_lo, s3
	v_lshlrev_b32_e32 v20, 16, v20
	s_mov_b32 s3, exec_lo
	v_mul_f32_e32 v20, v9, v20
	s_delay_alu instid0(VALU_DEP_1) | instskip(NEXT) | instid1(VALU_DEP_1)
	v_maxmin_f32 v20, v20, v10, v11
	v_and_b32_e32 v24, 0x7fffffff, v20
	s_delay_alu instid0(VALU_DEP_1)
	v_cmpx_gt_u32_e32 0x43800000, v24
	s_cbranch_execz .LBB51_71
; %bb.66:
	v_cmp_lt_u32_e32 vcc_lo, 0x3bffffff, v24
	s_mov_b32 s6, 0
                                        ; implicit-def: $vgpr24
	s_and_saveexec_b32 s7, vcc_lo
	s_delay_alu instid0(SALU_CYCLE_1)
	s_xor_b32 s7, exec_lo, s7
	s_cbranch_execnz .LBB51_129
; %bb.67:
	s_or_saveexec_b32 s7, s7
                                        ; implicit-def: $sgpr8
	s_delay_alu instid0(SALU_CYCLE_1)
	s_xor_b32 exec_lo, exec_lo, s7
	s_cbranch_execnz .LBB51_130
.LBB51_68:
	s_or_b32 exec_lo, exec_lo, s7
	v_mov_b32_e32 v22, s8
	s_and_saveexec_b32 s7, s6
.LBB51_69:
	v_lshrrev_b32_e32 v20, 24, v20
	s_delay_alu instid0(VALU_DEP_1)
	v_and_or_b32 v22, 0x80, v20, v24
.LBB51_70:
	s_or_b32 exec_lo, exec_lo, s7
.LBB51_71:
	s_delay_alu instid0(SALU_CYCLE_1) | instskip(SKIP_2) | instid1(VALU_DEP_1)
	s_or_b32 exec_lo, exec_lo, s3
	v_lshlrev_b32_e32 v1, 16, v1
	s_mov_b32 s3, exec_lo
	v_mul_f32_e32 v1, v9, v1
	s_delay_alu instid0(VALU_DEP_1) | instskip(SKIP_1) | instid1(VALU_DEP_2)
	v_maxmin_f32 v20, v1, v10, v11
	v_mov_b32_e32 v1, 0x800000
	v_and_b32_e32 v24, 0x7fffffff, v20
	s_delay_alu instid0(VALU_DEP_1)
	v_cmpx_gt_u32_e32 0x43800000, v24
	s_cbranch_execz .LBB51_77
; %bb.72:
	v_cmp_lt_u32_e32 vcc_lo, 0x3bffffff, v24
	s_mov_b32 s6, 0
                                        ; implicit-def: $vgpr24
	s_and_saveexec_b32 s7, vcc_lo
	s_delay_alu instid0(SALU_CYCLE_1)
	s_xor_b32 s7, exec_lo, s7
	s_cbranch_execnz .LBB51_131
; %bb.73:
	s_or_saveexec_b32 s7, s7
                                        ; implicit-def: $sgpr8
	s_delay_alu instid0(SALU_CYCLE_1)
	s_xor_b32 exec_lo, exec_lo, s7
	s_cbranch_execnz .LBB51_132
.LBB51_74:
	s_or_b32 exec_lo, exec_lo, s7
	v_mov_b32_e32 v1, s8
	s_and_saveexec_b32 s7, s6
.LBB51_75:
	v_lshrrev_b32_e32 v1, 24, v20
	s_delay_alu instid0(VALU_DEP_1) | instskip(NEXT) | instid1(VALU_DEP_1)
	v_and_or_b32 v1, 0x80, v1, v24
	v_lshlrev_b32_e32 v1, 16, v1
	s_delay_alu instid0(VALU_DEP_1)
	v_and_b32_e32 v1, 0xff0000, v1
.LBB51_76:
	s_or_b32 exec_lo, exec_lo, s7
.LBB51_77:
	s_delay_alu instid0(SALU_CYCLE_1) | instskip(SKIP_2) | instid1(VALU_DEP_1)
	s_or_b32 exec_lo, exec_lo, s3
	v_lshlrev_b32_e32 v18, 16, v18
	s_mov_b32 s3, exec_lo
	v_mul_f32_e32 v18, v9, v18
	s_delay_alu instid0(VALU_DEP_1) | instskip(SKIP_1) | instid1(VALU_DEP_2)
	v_maxmin_f32 v20, v18, v10, v11
	v_bfrev_b32_e32 v18, 1
	v_and_b32_e32 v24, 0x7fffffff, v20
	s_delay_alu instid0(VALU_DEP_1)
	v_cmpx_gt_u32_e32 0x43800000, v24
	s_cbranch_execz .LBB51_83
; %bb.78:
	v_cmp_lt_u32_e32 vcc_lo, 0x3bffffff, v24
	s_mov_b32 s6, 0
                                        ; implicit-def: $vgpr24
	s_and_saveexec_b32 s7, vcc_lo
	s_delay_alu instid0(SALU_CYCLE_1)
	s_xor_b32 s7, exec_lo, s7
	s_cbranch_execnz .LBB51_133
; %bb.79:
	s_or_saveexec_b32 s7, s7
                                        ; implicit-def: $sgpr8
	s_delay_alu instid0(SALU_CYCLE_1)
	s_xor_b32 exec_lo, exec_lo, s7
	s_cbranch_execnz .LBB51_134
.LBB51_80:
	s_or_b32 exec_lo, exec_lo, s7
	v_mov_b32_e32 v18, s8
	s_and_saveexec_b32 s7, s6
.LBB51_81:
	v_lshlrev_b32_e32 v18, 24, v24
	s_delay_alu instid0(VALU_DEP_1)
	v_and_or_b32 v18, 0x80000000, v20, v18
.LBB51_82:
	s_or_b32 exec_lo, exec_lo, s7
.LBB51_83:
	s_delay_alu instid0(SALU_CYCLE_1) | instskip(SKIP_2) | instid1(VALU_DEP_1)
	s_or_b32 exec_lo, exec_lo, s3
	v_lshlrev_b32_e32 v2, 16, v2
	s_mov_b32 s3, exec_lo
	v_mul_f32_e32 v2, v9, v2
	s_delay_alu instid0(VALU_DEP_1) | instskip(SKIP_1) | instid1(VALU_DEP_2)
	v_maxmin_f32 v20, v2, v10, v11
	v_mov_b32_e32 v2, 0x80
	v_and_b32_e32 v24, 0x7fffffff, v20
	s_delay_alu instid0(VALU_DEP_1)
	v_cmpx_gt_u32_e32 0x43800000, v24
	s_cbranch_execz .LBB51_89
; %bb.84:
	v_cmp_lt_u32_e32 vcc_lo, 0x3bffffff, v24
	s_mov_b32 s6, 0
                                        ; implicit-def: $vgpr24
	s_and_saveexec_b32 s7, vcc_lo
	s_delay_alu instid0(SALU_CYCLE_1)
	s_xor_b32 s7, exec_lo, s7
	s_cbranch_execnz .LBB51_135
; %bb.85:
	s_or_saveexec_b32 s7, s7
                                        ; implicit-def: $sgpr8
	s_delay_alu instid0(SALU_CYCLE_1)
	s_xor_b32 exec_lo, exec_lo, s7
	s_cbranch_execnz .LBB51_136
.LBB51_86:
	s_or_b32 exec_lo, exec_lo, s7
	v_mov_b32_e32 v2, s8
	s_and_saveexec_b32 s7, s6
.LBB51_87:
	v_lshrrev_b32_e32 v2, 24, v20
	s_delay_alu instid0(VALU_DEP_1)
	v_and_or_b32 v2, 0x80, v2, v24
.LBB51_88:
	s_or_b32 exec_lo, exec_lo, s7
.LBB51_89:
	s_delay_alu instid0(SALU_CYCLE_1) | instskip(SKIP_2) | instid1(VALU_DEP_1)
	s_or_b32 exec_lo, exec_lo, s3
	v_lshlrev_b32_e32 v17, 16, v17
	s_mov_b32 s3, exec_lo
	v_mul_f32_e32 v17, v9, v17
	s_delay_alu instid0(VALU_DEP_1) | instskip(SKIP_1) | instid1(VALU_DEP_2)
	v_maxmin_f32 v20, v17, v10, v11
	v_mov_b32_e32 v17, 0x8000
	v_and_b32_e32 v24, 0x7fffffff, v20
	s_delay_alu instid0(VALU_DEP_1)
	v_cmpx_gt_u32_e32 0x43800000, v24
	s_cbranch_execz .LBB51_95
; %bb.90:
	v_cmp_lt_u32_e32 vcc_lo, 0x3bffffff, v24
	s_mov_b32 s6, 0
                                        ; implicit-def: $vgpr24
	s_and_saveexec_b32 s7, vcc_lo
	s_delay_alu instid0(SALU_CYCLE_1)
	s_xor_b32 s7, exec_lo, s7
	s_cbranch_execnz .LBB51_137
; %bb.91:
	s_or_saveexec_b32 s7, s7
                                        ; implicit-def: $sgpr8
	s_delay_alu instid0(SALU_CYCLE_1)
	s_xor_b32 exec_lo, exec_lo, s7
	s_cbranch_execnz .LBB51_138
.LBB51_92:
	s_or_b32 exec_lo, exec_lo, s7
	v_mov_b32_e32 v17, s8
	s_and_saveexec_b32 s7, s6
.LBB51_93:
	v_lshrrev_b32_e32 v17, 24, v20
	s_delay_alu instid0(VALU_DEP_1) | instskip(NEXT) | instid1(VALU_DEP_1)
	v_and_or_b32 v17, 0x80, v17, v24
	v_lshlrev_b32_e32 v17, 8, v17
.LBB51_94:
	s_or_b32 exec_lo, exec_lo, s7
.LBB51_95:
	s_delay_alu instid0(SALU_CYCLE_1) | instskip(SKIP_2) | instid1(VALU_DEP_1)
	s_or_b32 exec_lo, exec_lo, s3
	v_lshlrev_b32_e32 v3, 16, v3
	s_mov_b32 s3, exec_lo
	v_mul_f32_e32 v3, v9, v3
	s_delay_alu instid0(VALU_DEP_1) | instskip(SKIP_1) | instid1(VALU_DEP_2)
	v_maxmin_f32 v20, v3, v10, v11
	v_mov_b32_e32 v3, 0x800000
	v_and_b32_e32 v24, 0x7fffffff, v20
	s_delay_alu instid0(VALU_DEP_1)
	v_cmpx_gt_u32_e32 0x43800000, v24
	s_cbranch_execz .LBB51_101
; %bb.96:
	v_cmp_lt_u32_e32 vcc_lo, 0x3bffffff, v24
	s_mov_b32 s6, 0
                                        ; implicit-def: $vgpr24
	s_and_saveexec_b32 s7, vcc_lo
	s_delay_alu instid0(SALU_CYCLE_1)
	s_xor_b32 s7, exec_lo, s7
	s_cbranch_execnz .LBB51_139
; %bb.97:
	s_or_saveexec_b32 s7, s7
                                        ; implicit-def: $sgpr8
	s_delay_alu instid0(SALU_CYCLE_1)
	s_xor_b32 exec_lo, exec_lo, s7
	s_cbranch_execnz .LBB51_140
.LBB51_98:
	s_or_b32 exec_lo, exec_lo, s7
	v_mov_b32_e32 v3, s8
	s_and_saveexec_b32 s7, s6
.LBB51_99:
	v_lshrrev_b32_e32 v3, 24, v20
	s_delay_alu instid0(VALU_DEP_1) | instskip(NEXT) | instid1(VALU_DEP_1)
	v_and_or_b32 v3, 0x80, v3, v24
	v_lshlrev_b32_e32 v3, 16, v3
.LBB51_100:
	s_or_b32 exec_lo, exec_lo, s7
.LBB51_101:
	s_delay_alu instid0(SALU_CYCLE_1) | instskip(SKIP_2) | instid1(VALU_DEP_1)
	s_or_b32 exec_lo, exec_lo, s3
	v_lshlrev_b32_e32 v14, 16, v14
	s_mov_b32 s3, exec_lo
	v_mul_f32_e32 v9, v9, v14
	s_delay_alu instid0(VALU_DEP_1) | instskip(SKIP_1) | instid1(VALU_DEP_2)
	v_maxmin_f32 v9, v9, v10, v11
	v_bfrev_b32_e32 v11, 1
	v_and_b32_e32 v10, 0x7fffffff, v9
	s_delay_alu instid0(VALU_DEP_1)
	v_cmpx_gt_u32_e32 0x43800000, v10
	s_cbranch_execz .LBB51_107
; %bb.102:
	v_cmp_lt_u32_e32 vcc_lo, 0x3bffffff, v10
	s_mov_b32 s6, 0
                                        ; implicit-def: $vgpr10
	s_and_saveexec_b32 s7, vcc_lo
	s_delay_alu instid0(SALU_CYCLE_1)
	s_xor_b32 s7, exec_lo, s7
	s_cbranch_execnz .LBB51_141
; %bb.103:
	s_or_saveexec_b32 s7, s7
                                        ; implicit-def: $sgpr8
	s_delay_alu instid0(SALU_CYCLE_1)
	s_xor_b32 exec_lo, exec_lo, s7
	s_cbranch_execnz .LBB51_142
.LBB51_104:
	s_or_b32 exec_lo, exec_lo, s7
	v_mov_b32_e32 v11, s8
	s_and_saveexec_b32 s7, s6
.LBB51_105:
	v_lshlrev_b32_e32 v10, 24, v10
	s_delay_alu instid0(VALU_DEP_1)
	v_and_or_b32 v11, 0x80000000, v9, v10
.LBB51_106:
	s_or_b32 exec_lo, exec_lo, s7
.LBB51_107:
	s_delay_alu instid0(SALU_CYCLE_1)
	s_or_b32 exec_lo, exec_lo, s3
	v_lshlrev_b32_e32 v9, 8, v21
	v_lshlrev_b32_e32 v8, 8, v8
	;; [unrolled: 1-line block ×5, first 2 shown]
	v_perm_b32 v6, v9, v6, 0xc0c0500
	v_perm_b32 v4, v8, v4, 0xc0c0500
	;; [unrolled: 1-line block ×3, first 2 shown]
	v_or_b32_e32 v2, v17, v2
	s_or_b32 s5, s5, exec_lo
	v_and_or_b32 v6, 0xff0000, v14, v6
	v_and_or_b32 v4, 0xff0000, v19, v4
	v_or3_b32 v10, v1, v0, v18
	v_or3_b32 v11, v3, v2, v11
	s_delay_alu instid0(VALU_DEP_4) | instskip(NEXT) | instid1(VALU_DEP_4)
	v_lshl_or_b32 v9, v7, 24, v6
	v_lshl_or_b32 v8, v5, 24, v4
.LBB51_108:
	s_or_b32 exec_lo, exec_lo, s2
	s_delay_alu instid0(SALU_CYCLE_1)
	s_and_b32 exec_lo, exec_lo, s5
	s_cbranch_execz .LBB51_110
; %bb.109:
	s_load_b64 s[0:1], s[0:1], 0x8
	v_lshlrev_b32_e32 v2, 7, v12
	v_alignbit_b32 v0, v16, v12, 25
	s_ashr_i32 s2, s4, 31
	s_delay_alu instid0(VALU_DEP_2) | instid1(SALU_CYCLE_1)
	v_mul_lo_u32 v3, v2, s2
	s_delay_alu instid0(VALU_DEP_2) | instskip(SKIP_3) | instid1(VALU_DEP_2)
	v_mul_lo_u32 v4, v0, s4
	s_waitcnt lgkmcnt(0)
	v_mad_u64_u32 v[0:1], null, v2, s4, s[0:1]
	v_ashrrev_i32_e32 v2, 31, v13
	v_add3_u32 v1, v4, v1, v3
	v_lshlrev_b32_e32 v3, 4, v15
	s_delay_alu instid0(VALU_DEP_4) | instskip(NEXT) | instid1(VALU_DEP_3)
	v_add_co_u32 v0, vcc_lo, v0, v13
	v_add_co_ci_u32_e32 v1, vcc_lo, v1, v2, vcc_lo
	s_delay_alu instid0(VALU_DEP_2) | instskip(NEXT) | instid1(VALU_DEP_2)
	v_add_co_u32 v0, vcc_lo, v0, v3
	v_add_co_ci_u32_e32 v1, vcc_lo, 0, v1, vcc_lo
	global_store_b128 v[0:1], v[8:11], off
.LBB51_110:
	s_nop 0
	s_sendmsg sendmsg(MSG_DEALLOC_VGPRS)
	s_endpgm
.LBB51_111:
	v_bfe_u32 v4, v24, 20, 1
	s_mov_b32 s6, exec_lo
	s_delay_alu instid0(VALU_DEP_1) | instskip(NEXT) | instid1(VALU_DEP_1)
	v_add3_u32 v4, v24, v4, 0x487ffff
	v_lshrrev_b32_e32 v25, 20, v4
	s_or_saveexec_b32 s7, s7
                                        ; implicit-def: $sgpr8
	s_delay_alu instid0(SALU_CYCLE_1)
	s_xor_b32 exec_lo, exec_lo, s7
	s_cbranch_execz .LBB51_14
.LBB51_112:
	v_add_f32_e64 v4, 0x46000000, |v24|
	s_and_not1_b32 s6, s6, exec_lo
	s_mov_b32 s8, 0
	s_delay_alu instid0(VALU_DEP_1) | instskip(NEXT) | instid1(VALU_DEP_1)
	v_and_b32_e32 v25, 0xff, v4
	v_cmp_ne_u32_e32 vcc_lo, 0, v25
	s_and_b32 s9, vcc_lo, exec_lo
	s_delay_alu instid0(SALU_CYCLE_1)
	s_or_b32 s6, s6, s9
	s_or_b32 exec_lo, exec_lo, s7
	v_mov_b32_e32 v4, s8
	s_and_saveexec_b32 s7, s6
	s_cbranch_execnz .LBB51_15
	s_branch .LBB51_16
.LBB51_113:
	v_bfe_u32 v8, v19, 20, 1
	s_mov_b32 s6, exec_lo
	s_delay_alu instid0(VALU_DEP_1) | instskip(NEXT) | instid1(VALU_DEP_1)
	v_add3_u32 v8, v19, v8, 0x487ffff
	v_lshrrev_b32_e32 v24, 20, v8
	s_or_saveexec_b32 s7, s7
                                        ; implicit-def: $sgpr8
	s_delay_alu instid0(SALU_CYCLE_1)
	s_xor_b32 exec_lo, exec_lo, s7
	s_cbranch_execz .LBB51_20
.LBB51_114:
	v_add_f32_e64 v8, 0x46000000, |v19|
	s_and_not1_b32 s6, s6, exec_lo
	s_mov_b32 s8, 0
	s_delay_alu instid0(VALU_DEP_1) | instskip(NEXT) | instid1(VALU_DEP_1)
	v_and_b32_e32 v24, 0xff, v8
	v_cmp_ne_u32_e32 vcc_lo, 0, v24
	s_and_b32 s9, vcc_lo, exec_lo
	s_delay_alu instid0(SALU_CYCLE_1)
	s_or_b32 s6, s6, s9
	s_or_b32 exec_lo, exec_lo, s7
	v_mov_b32_e32 v8, s8
	s_and_saveexec_b32 s7, s6
	s_cbranch_execnz .LBB51_21
	s_branch .LBB51_22
.LBB51_115:
	v_bfe_u32 v19, v24, 20, 1
	s_mov_b32 s6, exec_lo
	s_delay_alu instid0(VALU_DEP_1) | instskip(NEXT) | instid1(VALU_DEP_1)
	v_add3_u32 v19, v24, v19, 0x487ffff
	v_lshrrev_b32_e32 v25, 20, v19
	s_or_saveexec_b32 s7, s7
                                        ; implicit-def: $sgpr8
	s_delay_alu instid0(SALU_CYCLE_1)
	s_xor_b32 exec_lo, exec_lo, s7
	s_cbranch_execz .LBB51_26
.LBB51_116:
	v_add_f32_e64 v19, 0x46000000, |v24|
	s_and_not1_b32 s6, s6, exec_lo
	s_mov_b32 s8, 0
	s_delay_alu instid0(VALU_DEP_1) | instskip(NEXT) | instid1(VALU_DEP_1)
	v_and_b32_e32 v25, 0xff, v19
	v_cmp_ne_u32_e32 vcc_lo, 0, v25
	s_and_b32 s9, vcc_lo, exec_lo
	s_delay_alu instid0(SALU_CYCLE_1)
	s_or_b32 s6, s6, s9
	s_or_b32 exec_lo, exec_lo, s7
	v_mov_b32_e32 v19, s8
	s_and_saveexec_b32 s7, s6
	s_cbranch_execnz .LBB51_27
	s_branch .LBB51_28
.LBB51_117:
	v_bfe_u32 v5, v21, 20, 1
	s_mov_b32 s6, exec_lo
	s_delay_alu instid0(VALU_DEP_1) | instskip(NEXT) | instid1(VALU_DEP_1)
	v_add3_u32 v5, v21, v5, 0x487ffff
	v_lshrrev_b32_e32 v24, 20, v5
	s_or_saveexec_b32 s7, s7
                                        ; implicit-def: $sgpr8
	s_delay_alu instid0(SALU_CYCLE_1)
	s_xor_b32 exec_lo, exec_lo, s7
	s_cbranch_execz .LBB51_32
.LBB51_118:
	v_add_f32_e64 v5, 0x46000000, |v21|
	s_and_not1_b32 s6, s6, exec_lo
	s_mov_b32 s8, 0
	s_delay_alu instid0(VALU_DEP_1) | instskip(NEXT) | instid1(VALU_DEP_1)
	v_and_b32_e32 v24, 0xff, v5
	v_cmp_ne_u32_e32 vcc_lo, 0, v24
	s_and_b32 s9, vcc_lo, exec_lo
	s_delay_alu instid0(SALU_CYCLE_1)
	s_or_b32 s6, s6, s9
	s_or_b32 exec_lo, exec_lo, s7
	v_mov_b32_e32 v5, s8
	s_and_saveexec_b32 s7, s6
	s_cbranch_execnz .LBB51_33
	s_branch .LBB51_34
.LBB51_119:
	v_bfe_u32 v6, v24, 20, 1
	s_mov_b32 s6, exec_lo
	s_delay_alu instid0(VALU_DEP_1) | instskip(NEXT) | instid1(VALU_DEP_1)
	v_add3_u32 v6, v24, v6, 0x487ffff
	v_lshrrev_b32_e32 v25, 20, v6
	s_or_saveexec_b32 s7, s7
                                        ; implicit-def: $sgpr8
	s_delay_alu instid0(SALU_CYCLE_1)
	s_xor_b32 exec_lo, exec_lo, s7
	s_cbranch_execz .LBB51_38
.LBB51_120:
	v_add_f32_e64 v6, 0x46000000, |v24|
	s_and_not1_b32 s6, s6, exec_lo
	s_mov_b32 s8, 0
	s_delay_alu instid0(VALU_DEP_1) | instskip(NEXT) | instid1(VALU_DEP_1)
	v_and_b32_e32 v25, 0xff, v6
	v_cmp_ne_u32_e32 vcc_lo, 0, v25
	s_and_b32 s9, vcc_lo, exec_lo
	s_delay_alu instid0(SALU_CYCLE_1)
	s_or_b32 s6, s6, s9
	s_or_b32 exec_lo, exec_lo, s7
	v_mov_b32_e32 v6, s8
	s_and_saveexec_b32 s7, s6
	s_cbranch_execnz .LBB51_39
	s_branch .LBB51_40
.LBB51_121:
	v_bfe_u32 v21, v23, 20, 1
	s_mov_b32 s6, exec_lo
	s_delay_alu instid0(VALU_DEP_1) | instskip(NEXT) | instid1(VALU_DEP_1)
	v_add3_u32 v21, v23, v21, 0x487ffff
	v_lshrrev_b32_e32 v24, 20, v21
	s_or_saveexec_b32 s7, s7
                                        ; implicit-def: $sgpr8
	s_delay_alu instid0(SALU_CYCLE_1)
	s_xor_b32 exec_lo, exec_lo, s7
	s_cbranch_execz .LBB51_44
.LBB51_122:
	v_add_f32_e64 v21, 0x46000000, |v23|
	s_and_not1_b32 s6, s6, exec_lo
	s_mov_b32 s8, 0
	s_delay_alu instid0(VALU_DEP_1) | instskip(NEXT) | instid1(VALU_DEP_1)
	v_and_b32_e32 v24, 0xff, v21
	v_cmp_ne_u32_e32 vcc_lo, 0, v24
	s_and_b32 s9, vcc_lo, exec_lo
	s_delay_alu instid0(SALU_CYCLE_1)
	s_or_b32 s6, s6, s9
	s_or_b32 exec_lo, exec_lo, s7
	v_mov_b32_e32 v21, s8
	s_and_saveexec_b32 s7, s6
	s_cbranch_execnz .LBB51_45
	s_branch .LBB51_46
.LBB51_123:
	v_bfe_u32 v23, v24, 20, 1
	s_mov_b32 s6, exec_lo
	s_delay_alu instid0(VALU_DEP_1) | instskip(NEXT) | instid1(VALU_DEP_1)
	v_add3_u32 v23, v24, v23, 0x487ffff
	v_lshrrev_b32_e32 v25, 20, v23
	s_or_saveexec_b32 s7, s7
                                        ; implicit-def: $sgpr8
	s_delay_alu instid0(SALU_CYCLE_1)
	s_xor_b32 exec_lo, exec_lo, s7
	s_cbranch_execz .LBB51_50
.LBB51_124:
	v_add_f32_e64 v23, 0x46000000, |v24|
	s_and_not1_b32 s6, s6, exec_lo
	s_mov_b32 s8, 0
	s_delay_alu instid0(VALU_DEP_1) | instskip(NEXT) | instid1(VALU_DEP_1)
	v_and_b32_e32 v25, 0xff, v23
	v_cmp_ne_u32_e32 vcc_lo, 0, v25
	s_and_b32 s9, vcc_lo, exec_lo
	s_delay_alu instid0(SALU_CYCLE_1)
	s_or_b32 s6, s6, s9
	s_or_b32 exec_lo, exec_lo, s7
	v_mov_b32_e32 v23, s8
	s_and_saveexec_b32 s7, s6
	s_cbranch_execnz .LBB51_51
	s_branch .LBB51_52
.LBB51_125:
	v_bfe_u32 v7, v22, 20, 1
	s_mov_b32 s6, exec_lo
	s_delay_alu instid0(VALU_DEP_1) | instskip(NEXT) | instid1(VALU_DEP_1)
	v_add3_u32 v7, v22, v7, 0x487ffff
	v_lshrrev_b32_e32 v24, 20, v7
	s_or_saveexec_b32 s7, s7
                                        ; implicit-def: $sgpr8
	s_delay_alu instid0(SALU_CYCLE_1)
	s_xor_b32 exec_lo, exec_lo, s7
	s_cbranch_execz .LBB51_56
.LBB51_126:
	v_add_f32_e64 v7, 0x46000000, |v22|
	s_and_not1_b32 s6, s6, exec_lo
	s_mov_b32 s8, 0
	s_delay_alu instid0(VALU_DEP_1) | instskip(NEXT) | instid1(VALU_DEP_1)
	v_and_b32_e32 v24, 0xff, v7
	v_cmp_ne_u32_e32 vcc_lo, 0, v24
	s_and_b32 s9, vcc_lo, exec_lo
	s_delay_alu instid0(SALU_CYCLE_1)
	s_or_b32 s6, s6, s9
	s_or_b32 exec_lo, exec_lo, s7
	v_mov_b32_e32 v7, s8
	s_and_saveexec_b32 s7, s6
	s_cbranch_execnz .LBB51_57
	s_branch .LBB51_58
.LBB51_127:
	v_bfe_u32 v0, v24, 20, 1
	s_mov_b32 s6, exec_lo
	s_delay_alu instid0(VALU_DEP_1) | instskip(NEXT) | instid1(VALU_DEP_1)
	v_add3_u32 v0, v24, v0, 0x487ffff
	v_lshrrev_b32_e32 v25, 20, v0
	s_or_saveexec_b32 s7, s7
                                        ; implicit-def: $sgpr8
	s_delay_alu instid0(SALU_CYCLE_1)
	s_xor_b32 exec_lo, exec_lo, s7
	s_cbranch_execz .LBB51_62
.LBB51_128:
	v_add_f32_e64 v0, 0x46000000, |v24|
	s_and_not1_b32 s6, s6, exec_lo
	s_mov_b32 s8, 0
	s_delay_alu instid0(VALU_DEP_1) | instskip(NEXT) | instid1(VALU_DEP_1)
	v_and_b32_e32 v25, 0xff, v0
	v_cmp_ne_u32_e32 vcc_lo, 0, v25
	s_and_b32 s9, vcc_lo, exec_lo
	s_delay_alu instid0(SALU_CYCLE_1)
	s_or_b32 s6, s6, s9
	s_or_b32 exec_lo, exec_lo, s7
	v_mov_b32_e32 v0, s8
	s_and_saveexec_b32 s7, s6
	s_cbranch_execnz .LBB51_63
	s_branch .LBB51_64
.LBB51_129:
	v_bfe_u32 v22, v20, 20, 1
	s_mov_b32 s6, exec_lo
	s_delay_alu instid0(VALU_DEP_1) | instskip(NEXT) | instid1(VALU_DEP_1)
	v_add3_u32 v22, v20, v22, 0x487ffff
	v_lshrrev_b32_e32 v24, 20, v22
	s_or_saveexec_b32 s7, s7
                                        ; implicit-def: $sgpr8
	s_delay_alu instid0(SALU_CYCLE_1)
	s_xor_b32 exec_lo, exec_lo, s7
	s_cbranch_execz .LBB51_68
.LBB51_130:
	v_add_f32_e64 v22, 0x46000000, |v20|
	s_and_not1_b32 s6, s6, exec_lo
	s_mov_b32 s8, 0
	s_delay_alu instid0(VALU_DEP_1) | instskip(NEXT) | instid1(VALU_DEP_1)
	v_and_b32_e32 v24, 0xff, v22
	v_cmp_ne_u32_e32 vcc_lo, 0, v24
	s_and_b32 s9, vcc_lo, exec_lo
	s_delay_alu instid0(SALU_CYCLE_1)
	s_or_b32 s6, s6, s9
	s_or_b32 exec_lo, exec_lo, s7
	v_mov_b32_e32 v22, s8
	s_and_saveexec_b32 s7, s6
	s_cbranch_execnz .LBB51_69
	s_branch .LBB51_70
.LBB51_131:
	v_bfe_u32 v1, v20, 20, 1
	s_mov_b32 s6, exec_lo
	s_delay_alu instid0(VALU_DEP_1) | instskip(NEXT) | instid1(VALU_DEP_1)
	v_add3_u32 v1, v20, v1, 0x487ffff
	v_lshrrev_b32_e32 v24, 20, v1
	s_or_saveexec_b32 s7, s7
                                        ; implicit-def: $sgpr8
	s_delay_alu instid0(SALU_CYCLE_1)
	s_xor_b32 exec_lo, exec_lo, s7
	s_cbranch_execz .LBB51_74
.LBB51_132:
	v_add_f32_e64 v1, 0x46000000, |v20|
	s_and_not1_b32 s6, s6, exec_lo
	s_mov_b32 s8, 0
	s_delay_alu instid0(VALU_DEP_1) | instskip(NEXT) | instid1(VALU_DEP_1)
	v_and_b32_e32 v24, 0xff, v1
	v_cmp_ne_u32_e32 vcc_lo, 0, v24
	s_and_b32 s9, vcc_lo, exec_lo
	s_delay_alu instid0(SALU_CYCLE_1)
	s_or_b32 s6, s6, s9
	s_or_b32 exec_lo, exec_lo, s7
	v_mov_b32_e32 v1, s8
	s_and_saveexec_b32 s7, s6
	s_cbranch_execnz .LBB51_75
	s_branch .LBB51_76
.LBB51_133:
	v_bfe_u32 v18, v20, 20, 1
	s_mov_b32 s6, exec_lo
	s_delay_alu instid0(VALU_DEP_1) | instskip(NEXT) | instid1(VALU_DEP_1)
	v_add3_u32 v18, v20, v18, 0x487ffff
	v_lshrrev_b32_e32 v24, 20, v18
	s_or_saveexec_b32 s7, s7
                                        ; implicit-def: $sgpr8
	s_delay_alu instid0(SALU_CYCLE_1)
	s_xor_b32 exec_lo, exec_lo, s7
	s_cbranch_execz .LBB51_80
.LBB51_134:
	v_add_f32_e64 v18, 0x46000000, |v20|
	s_and_not1_b32 s6, s6, exec_lo
	s_mov_b32 s8, 0
	s_delay_alu instid0(VALU_DEP_1) | instskip(NEXT) | instid1(VALU_DEP_1)
	v_and_b32_e32 v24, 0xff, v18
	v_cmp_ne_u32_e32 vcc_lo, 0, v24
	s_and_b32 s9, vcc_lo, exec_lo
	s_delay_alu instid0(SALU_CYCLE_1)
	s_or_b32 s6, s6, s9
	s_or_b32 exec_lo, exec_lo, s7
	v_mov_b32_e32 v18, s8
	s_and_saveexec_b32 s7, s6
	s_cbranch_execnz .LBB51_81
	s_branch .LBB51_82
.LBB51_135:
	v_bfe_u32 v2, v20, 20, 1
	s_mov_b32 s6, exec_lo
	s_delay_alu instid0(VALU_DEP_1) | instskip(NEXT) | instid1(VALU_DEP_1)
	v_add3_u32 v2, v20, v2, 0x487ffff
	v_bfe_u32 v24, v2, 20, 8
	s_or_saveexec_b32 s7, s7
                                        ; implicit-def: $sgpr8
	s_delay_alu instid0(SALU_CYCLE_1)
	s_xor_b32 exec_lo, exec_lo, s7
	s_cbranch_execz .LBB51_86
.LBB51_136:
	v_add_f32_e64 v2, 0x46000000, |v20|
	s_and_not1_b32 s6, s6, exec_lo
	s_mov_b32 s8, 0
	s_delay_alu instid0(VALU_DEP_1) | instskip(NEXT) | instid1(VALU_DEP_1)
	v_and_b32_e32 v24, 0xff, v2
	v_cmp_ne_u32_e32 vcc_lo, 0, v24
	s_and_b32 s9, vcc_lo, exec_lo
	s_delay_alu instid0(SALU_CYCLE_1)
	s_or_b32 s6, s6, s9
	s_or_b32 exec_lo, exec_lo, s7
	v_mov_b32_e32 v2, s8
	s_and_saveexec_b32 s7, s6
	s_cbranch_execnz .LBB51_87
	s_branch .LBB51_88
.LBB51_137:
	v_bfe_u32 v17, v20, 20, 1
	s_mov_b32 s6, exec_lo
	s_delay_alu instid0(VALU_DEP_1) | instskip(NEXT) | instid1(VALU_DEP_1)
	v_add3_u32 v17, v20, v17, 0x487ffff
	v_bfe_u32 v24, v17, 20, 8
	s_or_saveexec_b32 s7, s7
                                        ; implicit-def: $sgpr8
	s_delay_alu instid0(SALU_CYCLE_1)
	s_xor_b32 exec_lo, exec_lo, s7
	s_cbranch_execz .LBB51_92
.LBB51_138:
	v_add_f32_e64 v17, 0x46000000, |v20|
	s_and_not1_b32 s6, s6, exec_lo
	s_mov_b32 s8, 0
	s_delay_alu instid0(VALU_DEP_1) | instskip(NEXT) | instid1(VALU_DEP_1)
	v_and_b32_e32 v24, 0xff, v17
	v_cmp_ne_u32_e32 vcc_lo, 0, v24
	s_and_b32 s9, vcc_lo, exec_lo
	s_delay_alu instid0(SALU_CYCLE_1)
	s_or_b32 s6, s6, s9
	s_or_b32 exec_lo, exec_lo, s7
	v_mov_b32_e32 v17, s8
	s_and_saveexec_b32 s7, s6
	s_cbranch_execnz .LBB51_93
	s_branch .LBB51_94
.LBB51_139:
	v_bfe_u32 v3, v20, 20, 1
	s_mov_b32 s6, exec_lo
	s_delay_alu instid0(VALU_DEP_1) | instskip(NEXT) | instid1(VALU_DEP_1)
	v_add3_u32 v3, v20, v3, 0x487ffff
	v_bfe_u32 v24, v3, 20, 8
	s_or_saveexec_b32 s7, s7
                                        ; implicit-def: $sgpr8
	s_delay_alu instid0(SALU_CYCLE_1)
	s_xor_b32 exec_lo, exec_lo, s7
	s_cbranch_execz .LBB51_98
.LBB51_140:
	v_add_f32_e64 v3, 0x46000000, |v20|
	s_and_not1_b32 s6, s6, exec_lo
	s_mov_b32 s8, 0
	s_delay_alu instid0(VALU_DEP_1) | instskip(NEXT) | instid1(VALU_DEP_1)
	v_and_b32_e32 v24, 0xff, v3
	v_cmp_ne_u32_e32 vcc_lo, 0, v24
	s_and_b32 s9, vcc_lo, exec_lo
	s_delay_alu instid0(SALU_CYCLE_1)
	s_or_b32 s6, s6, s9
	s_or_b32 exec_lo, exec_lo, s7
	v_mov_b32_e32 v3, s8
	s_and_saveexec_b32 s7, s6
	s_cbranch_execnz .LBB51_99
	s_branch .LBB51_100
.LBB51_141:
	v_bfe_u32 v10, v9, 20, 1
	s_mov_b32 s6, exec_lo
	s_delay_alu instid0(VALU_DEP_1) | instskip(NEXT) | instid1(VALU_DEP_1)
	v_add3_u32 v10, v9, v10, 0x487ffff
	v_bfe_u32 v10, v10, 20, 8
	s_or_saveexec_b32 s7, s7
                                        ; implicit-def: $sgpr8
	s_delay_alu instid0(SALU_CYCLE_1)
	s_xor_b32 exec_lo, exec_lo, s7
	s_cbranch_execz .LBB51_104
.LBB51_142:
	v_add_f32_e64 v10, 0x46000000, |v9|
	s_and_not1_b32 s6, s6, exec_lo
	s_mov_b32 s8, 0
	s_delay_alu instid0(VALU_DEP_1) | instskip(NEXT) | instid1(VALU_DEP_1)
	v_and_b32_e32 v10, 0xff, v10
	v_cmp_ne_u32_e32 vcc_lo, 0, v10
	s_and_b32 s9, vcc_lo, exec_lo
	s_delay_alu instid0(SALU_CYCLE_1)
	s_or_b32 s6, s6, s9
	s_or_b32 exec_lo, exec_lo, s7
	v_mov_b32_e32 v11, s8
	s_and_saveexec_b32 s7, s6
	s_cbranch_execnz .LBB51_105
	s_branch .LBB51_106
	.section	.rodata,"a",@progbits
	.p2align	6, 0x0
	.amdhsa_kernel _Z49per_token_group_quant_8bit_packed_register_kernelIN3c108BFloat16ENS0_15Float8_e4m3fnuzELi128ELi16ELi1EEvPKT_PvPjiiiiilfff
		.amdhsa_group_segment_fixed_size 0
		.amdhsa_private_segment_fixed_size 0
		.amdhsa_kernarg_size 68
		.amdhsa_user_sgpr_count 14
		.amdhsa_user_sgpr_dispatch_ptr 0
		.amdhsa_user_sgpr_queue_ptr 0
		.amdhsa_user_sgpr_kernarg_segment_ptr 1
		.amdhsa_user_sgpr_dispatch_id 0
		.amdhsa_user_sgpr_private_segment_size 0
		.amdhsa_wavefront_size32 1
		.amdhsa_uses_dynamic_stack 0
		.amdhsa_enable_private_segment 0
		.amdhsa_system_sgpr_workgroup_id_x 1
		.amdhsa_system_sgpr_workgroup_id_y 1
		.amdhsa_system_sgpr_workgroup_id_z 0
		.amdhsa_system_sgpr_workgroup_info 0
		.amdhsa_system_vgpr_workitem_id 0
		.amdhsa_next_free_vgpr 27
		.amdhsa_next_free_sgpr 16
		.amdhsa_reserve_vcc 1
		.amdhsa_float_round_mode_32 0
		.amdhsa_float_round_mode_16_64 0
		.amdhsa_float_denorm_mode_32 3
		.amdhsa_float_denorm_mode_16_64 3
		.amdhsa_dx10_clamp 1
		.amdhsa_ieee_mode 1
		.amdhsa_fp16_overflow 0
		.amdhsa_workgroup_processor_mode 1
		.amdhsa_memory_ordered 1
		.amdhsa_forward_progress 0
		.amdhsa_shared_vgpr_count 0
		.amdhsa_exception_fp_ieee_invalid_op 0
		.amdhsa_exception_fp_denorm_src 0
		.amdhsa_exception_fp_ieee_div_zero 0
		.amdhsa_exception_fp_ieee_overflow 0
		.amdhsa_exception_fp_ieee_underflow 0
		.amdhsa_exception_fp_ieee_inexact 0
		.amdhsa_exception_int_div_zero 0
	.end_amdhsa_kernel
	.section	.text._Z49per_token_group_quant_8bit_packed_register_kernelIN3c108BFloat16ENS0_15Float8_e4m3fnuzELi128ELi16ELi1EEvPKT_PvPjiiiiilfff,"axG",@progbits,_Z49per_token_group_quant_8bit_packed_register_kernelIN3c108BFloat16ENS0_15Float8_e4m3fnuzELi128ELi16ELi1EEvPKT_PvPjiiiiilfff,comdat
.Lfunc_end51:
	.size	_Z49per_token_group_quant_8bit_packed_register_kernelIN3c108BFloat16ENS0_15Float8_e4m3fnuzELi128ELi16ELi1EEvPKT_PvPjiiiiilfff, .Lfunc_end51-_Z49per_token_group_quant_8bit_packed_register_kernelIN3c108BFloat16ENS0_15Float8_e4m3fnuzELi128ELi16ELi1EEvPKT_PvPjiiiiilfff
                                        ; -- End function
	.section	.AMDGPU.csdata,"",@progbits
; Kernel info:
; codeLenInByte = 5588
; NumSgprs: 18
; NumVgprs: 27
; ScratchSize: 0
; MemoryBound: 0
; FloatMode: 240
; IeeeMode: 1
; LDSByteSize: 0 bytes/workgroup (compile time only)
; SGPRBlocks: 2
; VGPRBlocks: 3
; NumSGPRsForWavesPerEU: 18
; NumVGPRsForWavesPerEU: 27
; Occupancy: 16
; WaveLimiterHint : 0
; COMPUTE_PGM_RSRC2:SCRATCH_EN: 0
; COMPUTE_PGM_RSRC2:USER_SGPR: 14
; COMPUTE_PGM_RSRC2:TRAP_HANDLER: 0
; COMPUTE_PGM_RSRC2:TGID_X_EN: 1
; COMPUTE_PGM_RSRC2:TGID_Y_EN: 1
; COMPUTE_PGM_RSRC2:TGID_Z_EN: 0
; COMPUTE_PGM_RSRC2:TIDIG_COMP_CNT: 0
	.section	.text._Z49per_token_group_quant_8bit_packed_register_kernelIN3c108BFloat16ENS0_15Float8_e4m3fnuzELi128ELi8ELi2EEvPKT_PvPjiiiiilfff,"axG",@progbits,_Z49per_token_group_quant_8bit_packed_register_kernelIN3c108BFloat16ENS0_15Float8_e4m3fnuzELi128ELi8ELi2EEvPKT_PvPjiiiiilfff,comdat
	.protected	_Z49per_token_group_quant_8bit_packed_register_kernelIN3c108BFloat16ENS0_15Float8_e4m3fnuzELi128ELi8ELi2EEvPKT_PvPjiiiiilfff ; -- Begin function _Z49per_token_group_quant_8bit_packed_register_kernelIN3c108BFloat16ENS0_15Float8_e4m3fnuzELi128ELi8ELi2EEvPKT_PvPjiiiiilfff
	.globl	_Z49per_token_group_quant_8bit_packed_register_kernelIN3c108BFloat16ENS0_15Float8_e4m3fnuzELi128ELi8ELi2EEvPKT_PvPjiiiiilfff
	.p2align	8
	.type	_Z49per_token_group_quant_8bit_packed_register_kernelIN3c108BFloat16ENS0_15Float8_e4m3fnuzELi128ELi8ELi2EEvPKT_PvPjiiiiilfff,@function
_Z49per_token_group_quant_8bit_packed_register_kernelIN3c108BFloat16ENS0_15Float8_e4m3fnuzELi128ELi8ELi2EEvPKT_PvPjiiiiilfff: ; @_Z49per_token_group_quant_8bit_packed_register_kernelIN3c108BFloat16ENS0_15Float8_e4m3fnuzELi128ELi8ELi2EEvPKT_PvPjiiiiilfff
; %bb.0:
	s_load_b128 s[4:7], s[0:1], 0x1c
	v_lshrrev_b32_e32 v1, 6, v0
	s_mov_b32 s2, exec_lo
	s_delay_alu instid0(VALU_DEP_1) | instskip(SKIP_1) | instid1(VALU_DEP_1)
	v_lshl_add_u32 v12, s15, 1, v1
	s_waitcnt lgkmcnt(0)
	v_cmpx_gt_i32_e64 s7, v12
	s_cbranch_execz .LBB52_110
; %bb.1:
	s_load_b128 s[8:11], s[0:1], 0x38
	v_lshrrev_b32_e32 v1, 3, v0
	s_lshl_b32 s2, s14, 3
	v_and_b32_e32 v15, 7, v0
	v_ashrrev_i32_e32 v16, 31, v12
                                        ; implicit-def: $vgpr14
                                        ; implicit-def: $vgpr3
                                        ; implicit-def: $vgpr17
                                        ; implicit-def: $vgpr18
                                        ; implicit-def: $vgpr20
                                        ; implicit-def: $vgpr22
                                        ; implicit-def: $vgpr7
                                        ; implicit-def: $vgpr23
                                        ; implicit-def: $vgpr21
                                        ; implicit-def: $vgpr19
	s_delay_alu instid0(VALU_DEP_3) | instskip(SKIP_1) | instid1(VALU_DEP_2)
	v_and_or_b32 v10, v1, 7, s2
	v_cmp_gt_i32_e64 s2, s5, v12
	v_cmp_gt_i32_e64 s3, s4, v10
	v_lshlrev_b32_e32 v13, 7, v10
	s_waitcnt lgkmcnt(0)
	s_delay_alu instid0(VALU_DEP_2)
	s_and_b32 s11, s2, s3
	v_mov_b32_e32 v8, s8
	s_and_saveexec_b32 s5, s11
	s_cbranch_execz .LBB52_3
; %bb.2:
	s_load_b64 s[12:13], s[0:1], 0x0
	v_lshlrev_b32_e32 v2, 8, v12
	v_alignbit_b32 v0, v16, v12, 24
	s_ashr_i32 s14, s4, 31
	v_ashrrev_i32_e32 v14, 31, v13
	s_delay_alu instid0(VALU_DEP_3) | instskip(NEXT) | instid1(VALU_DEP_3)
	v_mul_lo_u32 v4, v2, s14
	v_mul_lo_u32 v5, v0, s4
	s_waitcnt lgkmcnt(0)
	v_mad_u64_u32 v[0:1], null, v2, s4, s[12:13]
	v_lshlrev_b64 v[2:3], 1, v[13:14]
	s_delay_alu instid0(VALU_DEP_2) | instskip(SKIP_1) | instid1(VALU_DEP_3)
	v_add3_u32 v1, v5, v1, v4
	v_lshlrev_b32_e32 v4, 5, v15
	v_add_co_u32 v0, vcc_lo, v0, v2
	s_delay_alu instid0(VALU_DEP_3) | instskip(NEXT) | instid1(VALU_DEP_2)
	v_add_co_ci_u32_e32 v1, vcc_lo, v1, v3, vcc_lo
	v_add_co_u32 v0, vcc_lo, v0, v4
	s_delay_alu instid0(VALU_DEP_2)
	v_add_co_ci_u32_e32 v1, vcc_lo, 0, v1, vcc_lo
	s_clause 0x1
	global_load_b128 v[4:7], v[0:1], off
	global_load_b128 v[0:3], v[0:1], off offset:16
	s_waitcnt vmcnt(1)
	v_lshlrev_b32_e32 v8, 16, v4
	v_and_b32_e32 v9, 0xffff0000, v4
	v_lshlrev_b32_e32 v11, 16, v5
	v_and_b32_e32 v14, 0xffff0000, v5
	v_and_b32_e32 v17, 0xffff0000, v6
	v_lshrrev_b32_e32 v19, 16, v4
	v_max3_f32 v8, s8, |v8|, |v9|
	v_lshlrev_b32_e32 v9, 16, v6
	v_lshrrev_b32_e32 v21, 16, v5
	v_lshrrev_b32_e32 v23, 16, v6
	;; [unrolled: 1-line block ×3, first 2 shown]
	v_max3_f32 v8, v8, |v11|, |v14|
	v_lshlrev_b32_e32 v11, 16, v7
	v_and_b32_e32 v14, 0xffff0000, v7
	s_waitcnt vmcnt(0)
	v_lshrrev_b32_e32 v20, 16, v0
	v_lshrrev_b32_e32 v18, 16, v1
	v_max3_f32 v8, v8, |v9|, |v17|
	v_lshlrev_b32_e32 v9, 16, v0
	v_and_b32_e32 v17, 0xffff0000, v0
	s_delay_alu instid0(VALU_DEP_3) | instskip(SKIP_2) | instid1(VALU_DEP_3)
	v_max3_f32 v8, v8, |v11|, |v14|
	v_lshlrev_b32_e32 v11, 16, v1
	v_and_b32_e32 v14, 0xffff0000, v1
	v_max3_f32 v8, v8, |v9|, |v17|
	v_lshlrev_b32_e32 v9, 16, v2
	v_and_b32_e32 v17, 0xffff0000, v2
	s_delay_alu instid0(VALU_DEP_3) | instskip(SKIP_2) | instid1(VALU_DEP_3)
	v_max3_f32 v8, v8, |v11|, |v14|
	v_lshlrev_b32_e32 v11, 16, v3
	v_lshrrev_b32_e32 v14, 16, v3
	v_max3_f32 v8, v8, |v9|, |v17|
	v_and_b32_e32 v9, 0xffff0000, v3
	v_lshrrev_b32_e32 v17, 16, v2
	s_delay_alu instid0(VALU_DEP_2)
	v_max3_f32 v8, v8, |v11|, |v9|
.LBB52_3:
	s_or_b32 exec_lo, exec_lo, s5
	v_mbcnt_lo_u32_b32 v9, -1, 0
	s_xor_b32 s8, s11, -1
	s_mov_b32 s5, 0
	s_mov_b32 s12, exec_lo
	s_delay_alu instid0(VALU_DEP_1) | instskip(SKIP_2) | instid1(VALU_DEP_2)
	v_xor_b32_e32 v24, 4, v9
	v_and_b32_e32 v11, 24, v9
	v_xor_b32_e32 v25, 2, v9
	v_add_nc_u32_e32 v11, 8, v11
	s_delay_alu instid0(VALU_DEP_1) | instskip(SKIP_1) | instid1(VALU_DEP_1)
	v_cmp_lt_i32_e32 vcc_lo, v24, v11
	v_cndmask_b32_e32 v24, v9, v24, vcc_lo
	v_lshlrev_b32_e32 v24, 2, v24
	ds_bpermute_b32 v24, v24, v8
	v_max_f32_e32 v8, v8, v8
	v_cmp_lt_i32_e32 vcc_lo, v25, v11
	v_cndmask_b32_e32 v25, v9, v25, vcc_lo
	s_waitcnt lgkmcnt(0)
	s_delay_alu instid0(VALU_DEP_1) | instskip(NEXT) | instid1(VALU_DEP_1)
	v_dual_max_f32 v24, v24, v24 :: v_dual_lshlrev_b32 v25, 2, v25
	v_max_f32_e32 v8, v8, v24
	ds_bpermute_b32 v24, v25, v8
	v_xor_b32_e32 v25, 1, v9
	s_delay_alu instid0(VALU_DEP_1) | instskip(SKIP_3) | instid1(VALU_DEP_1)
	v_cmp_lt_i32_e32 vcc_lo, v25, v11
	v_cndmask_b32_e32 v9, v9, v25, vcc_lo
	s_waitcnt lgkmcnt(0)
	v_max_f32_e32 v11, v24, v24
	v_dual_max_f32 v8, v8, v11 :: v_dual_lshlrev_b32 v9, 2, v9
	ds_bpermute_b32 v9, v9, v8
	s_waitcnt lgkmcnt(0)
	v_max_f32_e32 v9, v9, v9
	s_delay_alu instid0(VALU_DEP_1) | instskip(NEXT) | instid1(VALU_DEP_1)
	v_max_f32_e32 v8, v8, v9
	v_div_scale_f32 v9, null, s10, s10, v8
	v_div_scale_f32 v25, vcc_lo, v8, s10, v8
	s_delay_alu instid0(VALU_DEP_2) | instskip(SKIP_2) | instid1(VALU_DEP_1)
	v_rcp_f32_e32 v11, v9
	s_waitcnt_depctr 0xfff
	v_fma_f32 v24, -v9, v11, 1.0
	v_fmac_f32_e32 v11, v24, v11
	s_delay_alu instid0(VALU_DEP_1) | instskip(NEXT) | instid1(VALU_DEP_1)
	v_mul_f32_e32 v24, v25, v11
	v_fma_f32 v26, -v9, v24, v25
	s_delay_alu instid0(VALU_DEP_1) | instskip(NEXT) | instid1(VALU_DEP_1)
	v_fmac_f32_e32 v24, v26, v11
	v_fma_f32 v9, -v9, v24, v25
	s_delay_alu instid0(VALU_DEP_1) | instskip(NEXT) | instid1(VALU_DEP_1)
	v_div_fmas_f32 v9, v9, v11, v24
	v_div_fixup_f32 v8, v9, s10, v8
	s_delay_alu instid0(VALU_DEP_1) | instskip(NEXT) | instid1(VALU_DEP_1)
	v_max_f32_e32 v8, 0x2edbe6ff, v8
	v_and_b32_e32 v9, 0x7fffff, v8
	v_lshrrev_b32_e32 v8, 23, v8
	s_delay_alu instid0(VALU_DEP_2) | instskip(NEXT) | instid1(VALU_DEP_2)
	v_cmp_ne_u32_e32 vcc_lo, 0, v9
	v_add_co_ci_u32_e32 v24, vcc_lo, 0, v8, vcc_lo
	v_cmpx_eq_u32_e32 0, v15
	s_cbranch_execz .LBB52_8
; %bb.4:
	v_ashrrev_i32_e32 v8, 31, v10
	s_delay_alu instid0(VALU_DEP_1) | instskip(NEXT) | instid1(VALU_DEP_1)
	v_lshrrev_b32_e32 v8, 30, v8
	v_add_nc_u32_e32 v8, v10, v8
	s_delay_alu instid0(VALU_DEP_1) | instskip(NEXT) | instid1(VALU_DEP_1)
	v_ashrrev_i32_e32 v11, 2, v8
	v_mad_u64_u32 v[8:9], null, v11, s7, v[12:13]
	v_mov_b32_e32 v9, v24
	s_and_saveexec_b32 s7, s8
	s_cbranch_execz .LBB52_6
; %bb.5:
	s_load_b64 s[14:15], s[0:1], 0x30
	s_delay_alu instid0(VALU_DEP_2) | instskip(SKIP_2) | instid1(VALU_DEP_1)
	v_ashrrev_i32_e32 v9, 31, v8
	s_and_not1_b32 s11, s11, exec_lo
	s_waitcnt lgkmcnt(0)
	v_cmp_gt_i64_e32 vcc_lo, s[14:15], v[8:9]
	v_mov_b32_e32 v9, 0
	s_and_b32 s13, vcc_lo, exec_lo
	s_delay_alu instid0(SALU_CYCLE_1)
	s_or_b32 s11, s11, s13
.LBB52_6:
	s_or_b32 exec_lo, exec_lo, s7
	s_delay_alu instid0(SALU_CYCLE_1)
	s_and_b32 exec_lo, exec_lo, s11
	s_cbranch_execz .LBB52_8
; %bb.7:
	s_load_b64 s[14:15], s[0:1], 0x10
	v_lshlrev_b32_e32 v11, 2, v11
	s_delay_alu instid0(VALU_DEP_1) | instskip(NEXT) | instid1(VALU_DEP_1)
	v_sub_nc_u32_e32 v10, v10, v11
	v_lshl_add_u32 v8, v8, 2, v10
	s_delay_alu instid0(VALU_DEP_1) | instskip(SKIP_2) | instid1(VALU_DEP_2)
	v_ashrrev_i32_e32 v11, 31, v8
	s_waitcnt lgkmcnt(0)
	v_add_co_u32 v10, vcc_lo, s14, v8
	v_add_co_ci_u32_e32 v11, vcc_lo, s15, v11, vcc_lo
	global_store_b8 v[10:11], v9, off
.LBB52_8:
	s_or_b32 exec_lo, exec_lo, s12
                                        ; implicit-def: $sgpr7
	s_and_saveexec_b32 s11, s8
	s_delay_alu instid0(SALU_CYCLE_1)
	s_xor_b32 s8, exec_lo, s11
; %bb.9:
	v_cmp_gt_i32_e32 vcc_lo, s6, v12
	s_xor_b32 s2, s2, -1
	s_mov_b32 s7, 0
                                        ; implicit-def: $vgpr14
                                        ; implicit-def: $vgpr3
                                        ; implicit-def: $vgpr17
                                        ; implicit-def: $vgpr18
                                        ; implicit-def: $vgpr20
                                        ; implicit-def: $vgpr22
                                        ; implicit-def: $vgpr7
                                        ; implicit-def: $vgpr23
                                        ; implicit-def: $vgpr21
                                        ; implicit-def: $vgpr19
                                        ; implicit-def: $vgpr24
	s_and_b32 s2, vcc_lo, s2
	s_delay_alu instid0(SALU_CYCLE_1) | instskip(NEXT) | instid1(SALU_CYCLE_1)
	s_and_b32 s2, s3, s2
	s_and_b32 s5, s2, exec_lo
; %bb.10:
	s_or_saveexec_b32 s2, s8
	v_dual_mov_b32 v11, s7 :: v_dual_mov_b32 v10, s7
	v_dual_mov_b32 v9, s7 :: v_dual_mov_b32 v8, s7
	s_xor_b32 exec_lo, exec_lo, s2
	s_cbranch_execz .LBB52_108
; %bb.11:
	v_lshlrev_b32_e32 v8, 23, v24
	v_lshlrev_b32_e32 v4, 16, v4
	s_mov_b32 s3, exec_lo
	s_delay_alu instid0(VALU_DEP_2) | instskip(NEXT) | instid1(VALU_DEP_1)
	v_and_b32_e32 v8, 0x7f800000, v8
	v_div_scale_f32 v9, null, v8, v8, 1.0
	v_div_scale_f32 v24, vcc_lo, 1.0, v8, 1.0
	s_delay_alu instid0(VALU_DEP_2) | instskip(SKIP_2) | instid1(VALU_DEP_1)
	v_rcp_f32_e32 v10, v9
	s_waitcnt_depctr 0xfff
	v_fma_f32 v11, -v9, v10, 1.0
	v_fmac_f32_e32 v10, v11, v10
	s_delay_alu instid0(VALU_DEP_1) | instskip(NEXT) | instid1(VALU_DEP_1)
	v_mul_f32_e32 v11, v24, v10
	v_fma_f32 v25, -v9, v11, v24
	s_delay_alu instid0(VALU_DEP_1) | instskip(NEXT) | instid1(VALU_DEP_1)
	v_fmac_f32_e32 v11, v25, v10
	v_fma_f32 v9, -v9, v11, v24
	s_delay_alu instid0(VALU_DEP_1) | instskip(SKIP_2) | instid1(VALU_DEP_3)
	v_div_fmas_f32 v9, v9, v10, v11
	v_max_f32_e64 v10, s9, s9
	v_max_f32_e64 v11, s10, s10
	v_div_fixup_f32 v9, v9, v8, 1.0
	v_mov_b32_e32 v8, 0x80
	s_delay_alu instid0(VALU_DEP_2) | instskip(NEXT) | instid1(VALU_DEP_1)
	v_mul_f32_e32 v4, v9, v4
	v_maxmin_f32 v24, v4, v10, v11
	v_mov_b32_e32 v4, 0x80
	s_delay_alu instid0(VALU_DEP_2) | instskip(NEXT) | instid1(VALU_DEP_1)
	v_and_b32_e32 v25, 0x7fffffff, v24
	v_cmpx_gt_u32_e32 0x43800000, v25
	s_cbranch_execz .LBB52_17
; %bb.12:
	v_cmp_lt_u32_e32 vcc_lo, 0x3bffffff, v25
	s_mov_b32 s6, 0
                                        ; implicit-def: $vgpr25
	s_and_saveexec_b32 s7, vcc_lo
	s_delay_alu instid0(SALU_CYCLE_1)
	s_xor_b32 s7, exec_lo, s7
	s_cbranch_execnz .LBB52_111
; %bb.13:
	s_or_saveexec_b32 s7, s7
                                        ; implicit-def: $sgpr8
	s_delay_alu instid0(SALU_CYCLE_1)
	s_xor_b32 exec_lo, exec_lo, s7
	s_cbranch_execnz .LBB52_112
.LBB52_14:
	s_or_b32 exec_lo, exec_lo, s7
	v_mov_b32_e32 v4, s8
	s_and_saveexec_b32 s7, s6
.LBB52_15:
	v_lshrrev_b32_e32 v4, 24, v24
	s_delay_alu instid0(VALU_DEP_1)
	v_and_or_b32 v4, 0x80, v4, v25
.LBB52_16:
	s_or_b32 exec_lo, exec_lo, s7
.LBB52_17:
	s_delay_alu instid0(SALU_CYCLE_1) | instskip(SKIP_2) | instid1(VALU_DEP_1)
	s_or_b32 exec_lo, exec_lo, s3
	v_lshlrev_b32_e32 v19, 16, v19
	s_mov_b32 s3, exec_lo
	v_mul_f32_e32 v19, v9, v19
	s_delay_alu instid0(VALU_DEP_1) | instskip(NEXT) | instid1(VALU_DEP_1)
	v_maxmin_f32 v19, v19, v10, v11
	v_and_b32_e32 v24, 0x7fffffff, v19
	s_delay_alu instid0(VALU_DEP_1)
	v_cmpx_gt_u32_e32 0x43800000, v24
	s_cbranch_execz .LBB52_23
; %bb.18:
	v_cmp_lt_u32_e32 vcc_lo, 0x3bffffff, v24
	s_mov_b32 s6, 0
                                        ; implicit-def: $vgpr24
	s_and_saveexec_b32 s7, vcc_lo
	s_delay_alu instid0(SALU_CYCLE_1)
	s_xor_b32 s7, exec_lo, s7
	s_cbranch_execnz .LBB52_113
; %bb.19:
	s_or_saveexec_b32 s7, s7
                                        ; implicit-def: $sgpr8
	s_delay_alu instid0(SALU_CYCLE_1)
	s_xor_b32 exec_lo, exec_lo, s7
	s_cbranch_execnz .LBB52_114
.LBB52_20:
	s_or_b32 exec_lo, exec_lo, s7
	v_mov_b32_e32 v8, s8
	s_and_saveexec_b32 s7, s6
.LBB52_21:
	v_lshrrev_b32_e32 v8, 24, v19
	s_delay_alu instid0(VALU_DEP_1)
	v_and_or_b32 v8, 0x80, v8, v24
.LBB52_22:
	s_or_b32 exec_lo, exec_lo, s7
.LBB52_23:
	s_delay_alu instid0(SALU_CYCLE_1) | instskip(SKIP_3) | instid1(VALU_DEP_2)
	s_or_b32 exec_lo, exec_lo, s3
	v_lshlrev_b32_e32 v5, 16, v5
	v_mov_b32_e32 v19, 0x80
	s_mov_b32 s3, exec_lo
	v_mul_f32_e32 v5, v9, v5
	s_delay_alu instid0(VALU_DEP_1) | instskip(SKIP_1) | instid1(VALU_DEP_2)
	v_maxmin_f32 v24, v5, v10, v11
	v_mov_b32_e32 v5, 0x80
	v_and_b32_e32 v25, 0x7fffffff, v24
	s_delay_alu instid0(VALU_DEP_1)
	v_cmpx_gt_u32_e32 0x43800000, v25
	s_cbranch_execz .LBB52_29
; %bb.24:
	v_cmp_lt_u32_e32 vcc_lo, 0x3bffffff, v25
	s_mov_b32 s6, 0
                                        ; implicit-def: $vgpr25
	s_and_saveexec_b32 s7, vcc_lo
	s_delay_alu instid0(SALU_CYCLE_1)
	s_xor_b32 s7, exec_lo, s7
	s_cbranch_execnz .LBB52_115
; %bb.25:
	s_or_saveexec_b32 s7, s7
                                        ; implicit-def: $sgpr8
	s_delay_alu instid0(SALU_CYCLE_1)
	s_xor_b32 exec_lo, exec_lo, s7
	s_cbranch_execnz .LBB52_116
.LBB52_26:
	s_or_b32 exec_lo, exec_lo, s7
	v_mov_b32_e32 v19, s8
	s_and_saveexec_b32 s7, s6
.LBB52_27:
	v_lshrrev_b32_e32 v19, 24, v24
	s_delay_alu instid0(VALU_DEP_1)
	v_and_or_b32 v19, 0x80, v19, v25
.LBB52_28:
	s_or_b32 exec_lo, exec_lo, s7
.LBB52_29:
	s_delay_alu instid0(SALU_CYCLE_1) | instskip(SKIP_2) | instid1(VALU_DEP_1)
	s_or_b32 exec_lo, exec_lo, s3
	v_lshlrev_b32_e32 v21, 16, v21
	s_mov_b32 s3, exec_lo
	v_mul_f32_e32 v21, v9, v21
	s_delay_alu instid0(VALU_DEP_1) | instskip(NEXT) | instid1(VALU_DEP_1)
	v_maxmin_f32 v21, v21, v10, v11
	v_and_b32_e32 v24, 0x7fffffff, v21
	s_delay_alu instid0(VALU_DEP_1)
	v_cmpx_gt_u32_e32 0x43800000, v24
	s_cbranch_execz .LBB52_35
; %bb.30:
	v_cmp_lt_u32_e32 vcc_lo, 0x3bffffff, v24
	s_mov_b32 s6, 0
                                        ; implicit-def: $vgpr24
	s_and_saveexec_b32 s7, vcc_lo
	s_delay_alu instid0(SALU_CYCLE_1)
	s_xor_b32 s7, exec_lo, s7
	s_cbranch_execnz .LBB52_117
; %bb.31:
	s_or_saveexec_b32 s7, s7
                                        ; implicit-def: $sgpr8
	s_delay_alu instid0(SALU_CYCLE_1)
	s_xor_b32 exec_lo, exec_lo, s7
	s_cbranch_execnz .LBB52_118
.LBB52_32:
	s_or_b32 exec_lo, exec_lo, s7
	v_mov_b32_e32 v5, s8
	s_and_saveexec_b32 s7, s6
.LBB52_33:
	v_lshrrev_b32_e32 v5, 24, v21
	s_delay_alu instid0(VALU_DEP_1)
	v_and_or_b32 v5, 0x80, v5, v24
.LBB52_34:
	s_or_b32 exec_lo, exec_lo, s7
.LBB52_35:
	s_delay_alu instid0(SALU_CYCLE_1) | instskip(SKIP_2) | instid1(VALU_DEP_1)
	s_or_b32 exec_lo, exec_lo, s3
	v_dual_mov_b32 v21, 0x80 :: v_dual_lshlrev_b32 v6, 16, v6
	s_mov_b32 s3, exec_lo
	v_mul_f32_e32 v6, v9, v6
	s_delay_alu instid0(VALU_DEP_1) | instskip(SKIP_1) | instid1(VALU_DEP_2)
	v_maxmin_f32 v24, v6, v10, v11
	v_mov_b32_e32 v6, 0x80
	v_and_b32_e32 v25, 0x7fffffff, v24
	s_delay_alu instid0(VALU_DEP_1)
	v_cmpx_gt_u32_e32 0x43800000, v25
	s_cbranch_execz .LBB52_41
; %bb.36:
	v_cmp_lt_u32_e32 vcc_lo, 0x3bffffff, v25
	s_mov_b32 s6, 0
                                        ; implicit-def: $vgpr25
	s_and_saveexec_b32 s7, vcc_lo
	s_delay_alu instid0(SALU_CYCLE_1)
	s_xor_b32 s7, exec_lo, s7
	s_cbranch_execnz .LBB52_119
; %bb.37:
	s_or_saveexec_b32 s7, s7
                                        ; implicit-def: $sgpr8
	s_delay_alu instid0(SALU_CYCLE_1)
	s_xor_b32 exec_lo, exec_lo, s7
	s_cbranch_execnz .LBB52_120
.LBB52_38:
	s_or_b32 exec_lo, exec_lo, s7
	v_mov_b32_e32 v6, s8
	s_and_saveexec_b32 s7, s6
.LBB52_39:
	v_lshrrev_b32_e32 v6, 24, v24
	s_delay_alu instid0(VALU_DEP_1)
	v_and_or_b32 v6, 0x80, v6, v25
.LBB52_40:
	s_or_b32 exec_lo, exec_lo, s7
.LBB52_41:
	s_delay_alu instid0(SALU_CYCLE_1) | instskip(SKIP_2) | instid1(VALU_DEP_1)
	s_or_b32 exec_lo, exec_lo, s3
	v_lshlrev_b32_e32 v23, 16, v23
	s_mov_b32 s3, exec_lo
	v_mul_f32_e32 v23, v9, v23
	s_delay_alu instid0(VALU_DEP_1) | instskip(NEXT) | instid1(VALU_DEP_1)
	v_maxmin_f32 v23, v23, v10, v11
	v_and_b32_e32 v24, 0x7fffffff, v23
	s_delay_alu instid0(VALU_DEP_1)
	v_cmpx_gt_u32_e32 0x43800000, v24
	s_cbranch_execz .LBB52_47
; %bb.42:
	v_cmp_lt_u32_e32 vcc_lo, 0x3bffffff, v24
	s_mov_b32 s6, 0
                                        ; implicit-def: $vgpr24
	s_and_saveexec_b32 s7, vcc_lo
	s_delay_alu instid0(SALU_CYCLE_1)
	s_xor_b32 s7, exec_lo, s7
	s_cbranch_execnz .LBB52_121
; %bb.43:
	s_or_saveexec_b32 s7, s7
                                        ; implicit-def: $sgpr8
	s_delay_alu instid0(SALU_CYCLE_1)
	s_xor_b32 exec_lo, exec_lo, s7
	s_cbranch_execnz .LBB52_122
.LBB52_44:
	s_or_b32 exec_lo, exec_lo, s7
	v_mov_b32_e32 v21, s8
	s_and_saveexec_b32 s7, s6
.LBB52_45:
	v_lshrrev_b32_e32 v21, 24, v23
	s_delay_alu instid0(VALU_DEP_1)
	v_and_or_b32 v21, 0x80, v21, v24
.LBB52_46:
	s_or_b32 exec_lo, exec_lo, s7
.LBB52_47:
	s_delay_alu instid0(SALU_CYCLE_1) | instskip(SKIP_3) | instid1(VALU_DEP_2)
	s_or_b32 exec_lo, exec_lo, s3
	v_lshlrev_b32_e32 v7, 16, v7
	v_mov_b32_e32 v23, 0x80
	s_mov_b32 s3, exec_lo
	v_mul_f32_e32 v7, v9, v7
	s_delay_alu instid0(VALU_DEP_1) | instskip(SKIP_1) | instid1(VALU_DEP_2)
	v_maxmin_f32 v24, v7, v10, v11
	v_mov_b32_e32 v7, 0x80
	v_and_b32_e32 v25, 0x7fffffff, v24
	s_delay_alu instid0(VALU_DEP_1)
	v_cmpx_gt_u32_e32 0x43800000, v25
	s_cbranch_execz .LBB52_53
; %bb.48:
	v_cmp_lt_u32_e32 vcc_lo, 0x3bffffff, v25
	s_mov_b32 s6, 0
                                        ; implicit-def: $vgpr25
	s_and_saveexec_b32 s7, vcc_lo
	s_delay_alu instid0(SALU_CYCLE_1)
	s_xor_b32 s7, exec_lo, s7
	s_cbranch_execnz .LBB52_123
; %bb.49:
	s_or_saveexec_b32 s7, s7
                                        ; implicit-def: $sgpr8
	s_delay_alu instid0(SALU_CYCLE_1)
	s_xor_b32 exec_lo, exec_lo, s7
	s_cbranch_execnz .LBB52_124
.LBB52_50:
	s_or_b32 exec_lo, exec_lo, s7
	v_mov_b32_e32 v23, s8
	s_and_saveexec_b32 s7, s6
.LBB52_51:
	v_lshrrev_b32_e32 v23, 24, v24
	s_delay_alu instid0(VALU_DEP_1)
	v_and_or_b32 v23, 0x80, v23, v25
.LBB52_52:
	s_or_b32 exec_lo, exec_lo, s7
.LBB52_53:
	s_delay_alu instid0(SALU_CYCLE_1) | instskip(SKIP_2) | instid1(VALU_DEP_1)
	s_or_b32 exec_lo, exec_lo, s3
	v_lshlrev_b32_e32 v22, 16, v22
	s_mov_b32 s3, exec_lo
	v_mul_f32_e32 v22, v9, v22
	s_delay_alu instid0(VALU_DEP_1) | instskip(NEXT) | instid1(VALU_DEP_1)
	v_maxmin_f32 v22, v22, v10, v11
	v_and_b32_e32 v24, 0x7fffffff, v22
	s_delay_alu instid0(VALU_DEP_1)
	v_cmpx_gt_u32_e32 0x43800000, v24
	s_cbranch_execz .LBB52_59
; %bb.54:
	v_cmp_lt_u32_e32 vcc_lo, 0x3bffffff, v24
	s_mov_b32 s6, 0
                                        ; implicit-def: $vgpr24
	s_and_saveexec_b32 s7, vcc_lo
	s_delay_alu instid0(SALU_CYCLE_1)
	s_xor_b32 s7, exec_lo, s7
	s_cbranch_execnz .LBB52_125
; %bb.55:
	s_or_saveexec_b32 s7, s7
                                        ; implicit-def: $sgpr8
	s_delay_alu instid0(SALU_CYCLE_1)
	s_xor_b32 exec_lo, exec_lo, s7
	s_cbranch_execnz .LBB52_126
.LBB52_56:
	s_or_b32 exec_lo, exec_lo, s7
	v_mov_b32_e32 v7, s8
	s_and_saveexec_b32 s7, s6
.LBB52_57:
	v_lshrrev_b32_e32 v7, 24, v22
	s_delay_alu instid0(VALU_DEP_1)
	v_and_or_b32 v7, 0x80, v7, v24
.LBB52_58:
	s_or_b32 exec_lo, exec_lo, s7
.LBB52_59:
	s_delay_alu instid0(SALU_CYCLE_1) | instskip(SKIP_3) | instid1(VALU_DEP_2)
	s_or_b32 exec_lo, exec_lo, s3
	v_lshlrev_b32_e32 v0, 16, v0
	v_mov_b32_e32 v22, 0x80
	s_mov_b32 s3, exec_lo
	v_mul_f32_e32 v0, v9, v0
	s_delay_alu instid0(VALU_DEP_1) | instskip(SKIP_1) | instid1(VALU_DEP_2)
	v_maxmin_f32 v24, v0, v10, v11
	v_mov_b32_e32 v0, 0x80
	v_and_b32_e32 v25, 0x7fffffff, v24
	s_delay_alu instid0(VALU_DEP_1)
	v_cmpx_gt_u32_e32 0x43800000, v25
	s_cbranch_execz .LBB52_65
; %bb.60:
	v_cmp_lt_u32_e32 vcc_lo, 0x3bffffff, v25
	s_mov_b32 s6, 0
                                        ; implicit-def: $vgpr25
	s_and_saveexec_b32 s7, vcc_lo
	s_delay_alu instid0(SALU_CYCLE_1)
	s_xor_b32 s7, exec_lo, s7
	s_cbranch_execnz .LBB52_127
; %bb.61:
	s_or_saveexec_b32 s7, s7
                                        ; implicit-def: $sgpr8
	s_delay_alu instid0(SALU_CYCLE_1)
	s_xor_b32 exec_lo, exec_lo, s7
	s_cbranch_execnz .LBB52_128
.LBB52_62:
	s_or_b32 exec_lo, exec_lo, s7
	v_mov_b32_e32 v0, s8
	s_and_saveexec_b32 s7, s6
.LBB52_63:
	v_lshrrev_b32_e32 v0, 24, v24
	s_delay_alu instid0(VALU_DEP_1)
	v_and_or_b32 v0, 0x80, v0, v25
.LBB52_64:
	s_or_b32 exec_lo, exec_lo, s7
.LBB52_65:
	s_delay_alu instid0(SALU_CYCLE_1) | instskip(SKIP_2) | instid1(VALU_DEP_1)
	s_or_b32 exec_lo, exec_lo, s3
	v_lshlrev_b32_e32 v20, 16, v20
	s_mov_b32 s3, exec_lo
	v_mul_f32_e32 v20, v9, v20
	s_delay_alu instid0(VALU_DEP_1) | instskip(NEXT) | instid1(VALU_DEP_1)
	v_maxmin_f32 v20, v20, v10, v11
	v_and_b32_e32 v24, 0x7fffffff, v20
	s_delay_alu instid0(VALU_DEP_1)
	v_cmpx_gt_u32_e32 0x43800000, v24
	s_cbranch_execz .LBB52_71
; %bb.66:
	v_cmp_lt_u32_e32 vcc_lo, 0x3bffffff, v24
	s_mov_b32 s6, 0
                                        ; implicit-def: $vgpr24
	s_and_saveexec_b32 s7, vcc_lo
	s_delay_alu instid0(SALU_CYCLE_1)
	s_xor_b32 s7, exec_lo, s7
	s_cbranch_execnz .LBB52_129
; %bb.67:
	s_or_saveexec_b32 s7, s7
                                        ; implicit-def: $sgpr8
	s_delay_alu instid0(SALU_CYCLE_1)
	s_xor_b32 exec_lo, exec_lo, s7
	s_cbranch_execnz .LBB52_130
.LBB52_68:
	s_or_b32 exec_lo, exec_lo, s7
	v_mov_b32_e32 v22, s8
	s_and_saveexec_b32 s7, s6
.LBB52_69:
	v_lshrrev_b32_e32 v20, 24, v20
	s_delay_alu instid0(VALU_DEP_1)
	v_and_or_b32 v22, 0x80, v20, v24
.LBB52_70:
	s_or_b32 exec_lo, exec_lo, s7
.LBB52_71:
	s_delay_alu instid0(SALU_CYCLE_1) | instskip(SKIP_2) | instid1(VALU_DEP_1)
	s_or_b32 exec_lo, exec_lo, s3
	v_lshlrev_b32_e32 v1, 16, v1
	s_mov_b32 s3, exec_lo
	v_mul_f32_e32 v1, v9, v1
	s_delay_alu instid0(VALU_DEP_1) | instskip(SKIP_1) | instid1(VALU_DEP_2)
	v_maxmin_f32 v20, v1, v10, v11
	v_mov_b32_e32 v1, 0x800000
	v_and_b32_e32 v24, 0x7fffffff, v20
	s_delay_alu instid0(VALU_DEP_1)
	v_cmpx_gt_u32_e32 0x43800000, v24
	s_cbranch_execz .LBB52_77
; %bb.72:
	v_cmp_lt_u32_e32 vcc_lo, 0x3bffffff, v24
	s_mov_b32 s6, 0
                                        ; implicit-def: $vgpr24
	s_and_saveexec_b32 s7, vcc_lo
	s_delay_alu instid0(SALU_CYCLE_1)
	s_xor_b32 s7, exec_lo, s7
	s_cbranch_execnz .LBB52_131
; %bb.73:
	s_or_saveexec_b32 s7, s7
                                        ; implicit-def: $sgpr8
	s_delay_alu instid0(SALU_CYCLE_1)
	s_xor_b32 exec_lo, exec_lo, s7
	s_cbranch_execnz .LBB52_132
.LBB52_74:
	s_or_b32 exec_lo, exec_lo, s7
	v_mov_b32_e32 v1, s8
	s_and_saveexec_b32 s7, s6
.LBB52_75:
	v_lshrrev_b32_e32 v1, 24, v20
	s_delay_alu instid0(VALU_DEP_1) | instskip(NEXT) | instid1(VALU_DEP_1)
	v_and_or_b32 v1, 0x80, v1, v24
	v_lshlrev_b32_e32 v1, 16, v1
	s_delay_alu instid0(VALU_DEP_1)
	v_and_b32_e32 v1, 0xff0000, v1
.LBB52_76:
	s_or_b32 exec_lo, exec_lo, s7
.LBB52_77:
	s_delay_alu instid0(SALU_CYCLE_1) | instskip(SKIP_2) | instid1(VALU_DEP_1)
	s_or_b32 exec_lo, exec_lo, s3
	v_lshlrev_b32_e32 v18, 16, v18
	s_mov_b32 s3, exec_lo
	v_mul_f32_e32 v18, v9, v18
	s_delay_alu instid0(VALU_DEP_1) | instskip(SKIP_1) | instid1(VALU_DEP_2)
	v_maxmin_f32 v20, v18, v10, v11
	v_bfrev_b32_e32 v18, 1
	v_and_b32_e32 v24, 0x7fffffff, v20
	s_delay_alu instid0(VALU_DEP_1)
	v_cmpx_gt_u32_e32 0x43800000, v24
	s_cbranch_execz .LBB52_83
; %bb.78:
	v_cmp_lt_u32_e32 vcc_lo, 0x3bffffff, v24
	s_mov_b32 s6, 0
                                        ; implicit-def: $vgpr24
	s_and_saveexec_b32 s7, vcc_lo
	s_delay_alu instid0(SALU_CYCLE_1)
	s_xor_b32 s7, exec_lo, s7
	s_cbranch_execnz .LBB52_133
; %bb.79:
	s_or_saveexec_b32 s7, s7
                                        ; implicit-def: $sgpr8
	s_delay_alu instid0(SALU_CYCLE_1)
	s_xor_b32 exec_lo, exec_lo, s7
	s_cbranch_execnz .LBB52_134
.LBB52_80:
	s_or_b32 exec_lo, exec_lo, s7
	v_mov_b32_e32 v18, s8
	s_and_saveexec_b32 s7, s6
.LBB52_81:
	v_lshlrev_b32_e32 v18, 24, v24
	s_delay_alu instid0(VALU_DEP_1)
	v_and_or_b32 v18, 0x80000000, v20, v18
.LBB52_82:
	s_or_b32 exec_lo, exec_lo, s7
.LBB52_83:
	s_delay_alu instid0(SALU_CYCLE_1) | instskip(SKIP_2) | instid1(VALU_DEP_1)
	s_or_b32 exec_lo, exec_lo, s3
	v_lshlrev_b32_e32 v2, 16, v2
	s_mov_b32 s3, exec_lo
	v_mul_f32_e32 v2, v9, v2
	s_delay_alu instid0(VALU_DEP_1) | instskip(SKIP_1) | instid1(VALU_DEP_2)
	v_maxmin_f32 v20, v2, v10, v11
	v_mov_b32_e32 v2, 0x80
	v_and_b32_e32 v24, 0x7fffffff, v20
	s_delay_alu instid0(VALU_DEP_1)
	v_cmpx_gt_u32_e32 0x43800000, v24
	s_cbranch_execz .LBB52_89
; %bb.84:
	v_cmp_lt_u32_e32 vcc_lo, 0x3bffffff, v24
	s_mov_b32 s6, 0
                                        ; implicit-def: $vgpr24
	s_and_saveexec_b32 s7, vcc_lo
	s_delay_alu instid0(SALU_CYCLE_1)
	s_xor_b32 s7, exec_lo, s7
	s_cbranch_execnz .LBB52_135
; %bb.85:
	s_or_saveexec_b32 s7, s7
                                        ; implicit-def: $sgpr8
	s_delay_alu instid0(SALU_CYCLE_1)
	s_xor_b32 exec_lo, exec_lo, s7
	s_cbranch_execnz .LBB52_136
.LBB52_86:
	s_or_b32 exec_lo, exec_lo, s7
	v_mov_b32_e32 v2, s8
	s_and_saveexec_b32 s7, s6
.LBB52_87:
	v_lshrrev_b32_e32 v2, 24, v20
	s_delay_alu instid0(VALU_DEP_1)
	v_and_or_b32 v2, 0x80, v2, v24
.LBB52_88:
	s_or_b32 exec_lo, exec_lo, s7
.LBB52_89:
	s_delay_alu instid0(SALU_CYCLE_1) | instskip(SKIP_2) | instid1(VALU_DEP_1)
	s_or_b32 exec_lo, exec_lo, s3
	v_lshlrev_b32_e32 v17, 16, v17
	s_mov_b32 s3, exec_lo
	v_mul_f32_e32 v17, v9, v17
	s_delay_alu instid0(VALU_DEP_1) | instskip(SKIP_1) | instid1(VALU_DEP_2)
	v_maxmin_f32 v20, v17, v10, v11
	v_mov_b32_e32 v17, 0x8000
	v_and_b32_e32 v24, 0x7fffffff, v20
	s_delay_alu instid0(VALU_DEP_1)
	v_cmpx_gt_u32_e32 0x43800000, v24
	s_cbranch_execz .LBB52_95
; %bb.90:
	v_cmp_lt_u32_e32 vcc_lo, 0x3bffffff, v24
	s_mov_b32 s6, 0
                                        ; implicit-def: $vgpr24
	s_and_saveexec_b32 s7, vcc_lo
	s_delay_alu instid0(SALU_CYCLE_1)
	s_xor_b32 s7, exec_lo, s7
	s_cbranch_execnz .LBB52_137
; %bb.91:
	s_or_saveexec_b32 s7, s7
                                        ; implicit-def: $sgpr8
	s_delay_alu instid0(SALU_CYCLE_1)
	s_xor_b32 exec_lo, exec_lo, s7
	s_cbranch_execnz .LBB52_138
.LBB52_92:
	s_or_b32 exec_lo, exec_lo, s7
	v_mov_b32_e32 v17, s8
	s_and_saveexec_b32 s7, s6
.LBB52_93:
	v_lshrrev_b32_e32 v17, 24, v20
	s_delay_alu instid0(VALU_DEP_1) | instskip(NEXT) | instid1(VALU_DEP_1)
	v_and_or_b32 v17, 0x80, v17, v24
	v_lshlrev_b32_e32 v17, 8, v17
.LBB52_94:
	s_or_b32 exec_lo, exec_lo, s7
.LBB52_95:
	s_delay_alu instid0(SALU_CYCLE_1) | instskip(SKIP_2) | instid1(VALU_DEP_1)
	s_or_b32 exec_lo, exec_lo, s3
	v_lshlrev_b32_e32 v3, 16, v3
	s_mov_b32 s3, exec_lo
	v_mul_f32_e32 v3, v9, v3
	s_delay_alu instid0(VALU_DEP_1) | instskip(SKIP_1) | instid1(VALU_DEP_2)
	v_maxmin_f32 v20, v3, v10, v11
	v_mov_b32_e32 v3, 0x800000
	v_and_b32_e32 v24, 0x7fffffff, v20
	s_delay_alu instid0(VALU_DEP_1)
	v_cmpx_gt_u32_e32 0x43800000, v24
	s_cbranch_execz .LBB52_101
; %bb.96:
	v_cmp_lt_u32_e32 vcc_lo, 0x3bffffff, v24
	s_mov_b32 s6, 0
                                        ; implicit-def: $vgpr24
	s_and_saveexec_b32 s7, vcc_lo
	s_delay_alu instid0(SALU_CYCLE_1)
	s_xor_b32 s7, exec_lo, s7
	s_cbranch_execnz .LBB52_139
; %bb.97:
	s_or_saveexec_b32 s7, s7
                                        ; implicit-def: $sgpr8
	s_delay_alu instid0(SALU_CYCLE_1)
	s_xor_b32 exec_lo, exec_lo, s7
	s_cbranch_execnz .LBB52_140
.LBB52_98:
	s_or_b32 exec_lo, exec_lo, s7
	v_mov_b32_e32 v3, s8
	s_and_saveexec_b32 s7, s6
.LBB52_99:
	v_lshrrev_b32_e32 v3, 24, v20
	s_delay_alu instid0(VALU_DEP_1) | instskip(NEXT) | instid1(VALU_DEP_1)
	v_and_or_b32 v3, 0x80, v3, v24
	v_lshlrev_b32_e32 v3, 16, v3
.LBB52_100:
	s_or_b32 exec_lo, exec_lo, s7
.LBB52_101:
	s_delay_alu instid0(SALU_CYCLE_1) | instskip(SKIP_2) | instid1(VALU_DEP_1)
	s_or_b32 exec_lo, exec_lo, s3
	v_lshlrev_b32_e32 v14, 16, v14
	s_mov_b32 s3, exec_lo
	v_mul_f32_e32 v9, v9, v14
	s_delay_alu instid0(VALU_DEP_1) | instskip(SKIP_1) | instid1(VALU_DEP_2)
	v_maxmin_f32 v9, v9, v10, v11
	v_bfrev_b32_e32 v11, 1
	v_and_b32_e32 v10, 0x7fffffff, v9
	s_delay_alu instid0(VALU_DEP_1)
	v_cmpx_gt_u32_e32 0x43800000, v10
	s_cbranch_execz .LBB52_107
; %bb.102:
	v_cmp_lt_u32_e32 vcc_lo, 0x3bffffff, v10
	s_mov_b32 s6, 0
                                        ; implicit-def: $vgpr10
	s_and_saveexec_b32 s7, vcc_lo
	s_delay_alu instid0(SALU_CYCLE_1)
	s_xor_b32 s7, exec_lo, s7
	s_cbranch_execnz .LBB52_141
; %bb.103:
	s_or_saveexec_b32 s7, s7
                                        ; implicit-def: $sgpr8
	s_delay_alu instid0(SALU_CYCLE_1)
	s_xor_b32 exec_lo, exec_lo, s7
	s_cbranch_execnz .LBB52_142
.LBB52_104:
	s_or_b32 exec_lo, exec_lo, s7
	v_mov_b32_e32 v11, s8
	s_and_saveexec_b32 s7, s6
.LBB52_105:
	v_lshlrev_b32_e32 v10, 24, v10
	s_delay_alu instid0(VALU_DEP_1)
	v_and_or_b32 v11, 0x80000000, v9, v10
.LBB52_106:
	s_or_b32 exec_lo, exec_lo, s7
.LBB52_107:
	s_delay_alu instid0(SALU_CYCLE_1)
	s_or_b32 exec_lo, exec_lo, s3
	v_lshlrev_b32_e32 v9, 8, v21
	v_lshlrev_b32_e32 v8, 8, v8
	;; [unrolled: 1-line block ×5, first 2 shown]
	v_perm_b32 v6, v9, v6, 0xc0c0500
	v_perm_b32 v4, v8, v4, 0xc0c0500
	;; [unrolled: 1-line block ×3, first 2 shown]
	v_or_b32_e32 v2, v17, v2
	s_or_b32 s5, s5, exec_lo
	v_and_or_b32 v6, 0xff0000, v14, v6
	v_and_or_b32 v4, 0xff0000, v19, v4
	v_or3_b32 v10, v1, v0, v18
	v_or3_b32 v11, v3, v2, v11
	s_delay_alu instid0(VALU_DEP_4) | instskip(NEXT) | instid1(VALU_DEP_4)
	v_lshl_or_b32 v9, v7, 24, v6
	v_lshl_or_b32 v8, v5, 24, v4
.LBB52_108:
	s_or_b32 exec_lo, exec_lo, s2
	s_delay_alu instid0(SALU_CYCLE_1)
	s_and_b32 exec_lo, exec_lo, s5
	s_cbranch_execz .LBB52_110
; %bb.109:
	s_load_b64 s[0:1], s[0:1], 0x8
	v_lshlrev_b32_e32 v2, 7, v12
	v_alignbit_b32 v0, v16, v12, 25
	s_ashr_i32 s2, s4, 31
	s_delay_alu instid0(VALU_DEP_2) | instid1(SALU_CYCLE_1)
	v_mul_lo_u32 v3, v2, s2
	s_delay_alu instid0(VALU_DEP_2) | instskip(SKIP_3) | instid1(VALU_DEP_2)
	v_mul_lo_u32 v4, v0, s4
	s_waitcnt lgkmcnt(0)
	v_mad_u64_u32 v[0:1], null, v2, s4, s[0:1]
	v_ashrrev_i32_e32 v2, 31, v13
	v_add3_u32 v1, v4, v1, v3
	v_lshlrev_b32_e32 v3, 4, v15
	s_delay_alu instid0(VALU_DEP_4) | instskip(NEXT) | instid1(VALU_DEP_3)
	v_add_co_u32 v0, vcc_lo, v0, v13
	v_add_co_ci_u32_e32 v1, vcc_lo, v1, v2, vcc_lo
	s_delay_alu instid0(VALU_DEP_2) | instskip(NEXT) | instid1(VALU_DEP_2)
	v_add_co_u32 v0, vcc_lo, v0, v3
	v_add_co_ci_u32_e32 v1, vcc_lo, 0, v1, vcc_lo
	global_store_b128 v[0:1], v[8:11], off
.LBB52_110:
	s_nop 0
	s_sendmsg sendmsg(MSG_DEALLOC_VGPRS)
	s_endpgm
.LBB52_111:
	v_bfe_u32 v4, v24, 20, 1
	s_mov_b32 s6, exec_lo
	s_delay_alu instid0(VALU_DEP_1) | instskip(NEXT) | instid1(VALU_DEP_1)
	v_add3_u32 v4, v24, v4, 0x487ffff
	v_lshrrev_b32_e32 v25, 20, v4
	s_or_saveexec_b32 s7, s7
                                        ; implicit-def: $sgpr8
	s_delay_alu instid0(SALU_CYCLE_1)
	s_xor_b32 exec_lo, exec_lo, s7
	s_cbranch_execz .LBB52_14
.LBB52_112:
	v_add_f32_e64 v4, 0x46000000, |v24|
	s_and_not1_b32 s6, s6, exec_lo
	s_mov_b32 s8, 0
	s_delay_alu instid0(VALU_DEP_1) | instskip(NEXT) | instid1(VALU_DEP_1)
	v_and_b32_e32 v25, 0xff, v4
	v_cmp_ne_u32_e32 vcc_lo, 0, v25
	s_and_b32 s9, vcc_lo, exec_lo
	s_delay_alu instid0(SALU_CYCLE_1)
	s_or_b32 s6, s6, s9
	s_or_b32 exec_lo, exec_lo, s7
	v_mov_b32_e32 v4, s8
	s_and_saveexec_b32 s7, s6
	s_cbranch_execnz .LBB52_15
	s_branch .LBB52_16
.LBB52_113:
	v_bfe_u32 v8, v19, 20, 1
	s_mov_b32 s6, exec_lo
	s_delay_alu instid0(VALU_DEP_1) | instskip(NEXT) | instid1(VALU_DEP_1)
	v_add3_u32 v8, v19, v8, 0x487ffff
	v_lshrrev_b32_e32 v24, 20, v8
	s_or_saveexec_b32 s7, s7
                                        ; implicit-def: $sgpr8
	s_delay_alu instid0(SALU_CYCLE_1)
	s_xor_b32 exec_lo, exec_lo, s7
	s_cbranch_execz .LBB52_20
.LBB52_114:
	v_add_f32_e64 v8, 0x46000000, |v19|
	s_and_not1_b32 s6, s6, exec_lo
	s_mov_b32 s8, 0
	s_delay_alu instid0(VALU_DEP_1) | instskip(NEXT) | instid1(VALU_DEP_1)
	v_and_b32_e32 v24, 0xff, v8
	v_cmp_ne_u32_e32 vcc_lo, 0, v24
	s_and_b32 s9, vcc_lo, exec_lo
	s_delay_alu instid0(SALU_CYCLE_1)
	s_or_b32 s6, s6, s9
	s_or_b32 exec_lo, exec_lo, s7
	v_mov_b32_e32 v8, s8
	s_and_saveexec_b32 s7, s6
	s_cbranch_execnz .LBB52_21
	s_branch .LBB52_22
.LBB52_115:
	v_bfe_u32 v19, v24, 20, 1
	s_mov_b32 s6, exec_lo
	s_delay_alu instid0(VALU_DEP_1) | instskip(NEXT) | instid1(VALU_DEP_1)
	v_add3_u32 v19, v24, v19, 0x487ffff
	v_lshrrev_b32_e32 v25, 20, v19
	s_or_saveexec_b32 s7, s7
                                        ; implicit-def: $sgpr8
	s_delay_alu instid0(SALU_CYCLE_1)
	s_xor_b32 exec_lo, exec_lo, s7
	s_cbranch_execz .LBB52_26
.LBB52_116:
	v_add_f32_e64 v19, 0x46000000, |v24|
	s_and_not1_b32 s6, s6, exec_lo
	s_mov_b32 s8, 0
	s_delay_alu instid0(VALU_DEP_1) | instskip(NEXT) | instid1(VALU_DEP_1)
	v_and_b32_e32 v25, 0xff, v19
	v_cmp_ne_u32_e32 vcc_lo, 0, v25
	s_and_b32 s9, vcc_lo, exec_lo
	s_delay_alu instid0(SALU_CYCLE_1)
	s_or_b32 s6, s6, s9
	s_or_b32 exec_lo, exec_lo, s7
	v_mov_b32_e32 v19, s8
	s_and_saveexec_b32 s7, s6
	s_cbranch_execnz .LBB52_27
	s_branch .LBB52_28
.LBB52_117:
	v_bfe_u32 v5, v21, 20, 1
	s_mov_b32 s6, exec_lo
	s_delay_alu instid0(VALU_DEP_1) | instskip(NEXT) | instid1(VALU_DEP_1)
	v_add3_u32 v5, v21, v5, 0x487ffff
	v_lshrrev_b32_e32 v24, 20, v5
	s_or_saveexec_b32 s7, s7
                                        ; implicit-def: $sgpr8
	s_delay_alu instid0(SALU_CYCLE_1)
	s_xor_b32 exec_lo, exec_lo, s7
	s_cbranch_execz .LBB52_32
.LBB52_118:
	v_add_f32_e64 v5, 0x46000000, |v21|
	s_and_not1_b32 s6, s6, exec_lo
	s_mov_b32 s8, 0
	s_delay_alu instid0(VALU_DEP_1) | instskip(NEXT) | instid1(VALU_DEP_1)
	v_and_b32_e32 v24, 0xff, v5
	v_cmp_ne_u32_e32 vcc_lo, 0, v24
	s_and_b32 s9, vcc_lo, exec_lo
	s_delay_alu instid0(SALU_CYCLE_1)
	s_or_b32 s6, s6, s9
	s_or_b32 exec_lo, exec_lo, s7
	v_mov_b32_e32 v5, s8
	s_and_saveexec_b32 s7, s6
	s_cbranch_execnz .LBB52_33
	s_branch .LBB52_34
.LBB52_119:
	v_bfe_u32 v6, v24, 20, 1
	s_mov_b32 s6, exec_lo
	s_delay_alu instid0(VALU_DEP_1) | instskip(NEXT) | instid1(VALU_DEP_1)
	v_add3_u32 v6, v24, v6, 0x487ffff
	v_lshrrev_b32_e32 v25, 20, v6
	s_or_saveexec_b32 s7, s7
                                        ; implicit-def: $sgpr8
	s_delay_alu instid0(SALU_CYCLE_1)
	s_xor_b32 exec_lo, exec_lo, s7
	s_cbranch_execz .LBB52_38
.LBB52_120:
	v_add_f32_e64 v6, 0x46000000, |v24|
	s_and_not1_b32 s6, s6, exec_lo
	s_mov_b32 s8, 0
	s_delay_alu instid0(VALU_DEP_1) | instskip(NEXT) | instid1(VALU_DEP_1)
	v_and_b32_e32 v25, 0xff, v6
	v_cmp_ne_u32_e32 vcc_lo, 0, v25
	s_and_b32 s9, vcc_lo, exec_lo
	s_delay_alu instid0(SALU_CYCLE_1)
	s_or_b32 s6, s6, s9
	s_or_b32 exec_lo, exec_lo, s7
	v_mov_b32_e32 v6, s8
	s_and_saveexec_b32 s7, s6
	s_cbranch_execnz .LBB52_39
	s_branch .LBB52_40
.LBB52_121:
	v_bfe_u32 v21, v23, 20, 1
	s_mov_b32 s6, exec_lo
	s_delay_alu instid0(VALU_DEP_1) | instskip(NEXT) | instid1(VALU_DEP_1)
	v_add3_u32 v21, v23, v21, 0x487ffff
	v_lshrrev_b32_e32 v24, 20, v21
	s_or_saveexec_b32 s7, s7
                                        ; implicit-def: $sgpr8
	s_delay_alu instid0(SALU_CYCLE_1)
	s_xor_b32 exec_lo, exec_lo, s7
	s_cbranch_execz .LBB52_44
.LBB52_122:
	v_add_f32_e64 v21, 0x46000000, |v23|
	s_and_not1_b32 s6, s6, exec_lo
	s_mov_b32 s8, 0
	s_delay_alu instid0(VALU_DEP_1) | instskip(NEXT) | instid1(VALU_DEP_1)
	v_and_b32_e32 v24, 0xff, v21
	v_cmp_ne_u32_e32 vcc_lo, 0, v24
	s_and_b32 s9, vcc_lo, exec_lo
	s_delay_alu instid0(SALU_CYCLE_1)
	s_or_b32 s6, s6, s9
	s_or_b32 exec_lo, exec_lo, s7
	v_mov_b32_e32 v21, s8
	s_and_saveexec_b32 s7, s6
	s_cbranch_execnz .LBB52_45
	s_branch .LBB52_46
.LBB52_123:
	v_bfe_u32 v23, v24, 20, 1
	s_mov_b32 s6, exec_lo
	s_delay_alu instid0(VALU_DEP_1) | instskip(NEXT) | instid1(VALU_DEP_1)
	v_add3_u32 v23, v24, v23, 0x487ffff
	v_lshrrev_b32_e32 v25, 20, v23
	s_or_saveexec_b32 s7, s7
                                        ; implicit-def: $sgpr8
	s_delay_alu instid0(SALU_CYCLE_1)
	s_xor_b32 exec_lo, exec_lo, s7
	s_cbranch_execz .LBB52_50
.LBB52_124:
	v_add_f32_e64 v23, 0x46000000, |v24|
	s_and_not1_b32 s6, s6, exec_lo
	s_mov_b32 s8, 0
	s_delay_alu instid0(VALU_DEP_1) | instskip(NEXT) | instid1(VALU_DEP_1)
	v_and_b32_e32 v25, 0xff, v23
	v_cmp_ne_u32_e32 vcc_lo, 0, v25
	s_and_b32 s9, vcc_lo, exec_lo
	s_delay_alu instid0(SALU_CYCLE_1)
	s_or_b32 s6, s6, s9
	s_or_b32 exec_lo, exec_lo, s7
	v_mov_b32_e32 v23, s8
	s_and_saveexec_b32 s7, s6
	s_cbranch_execnz .LBB52_51
	s_branch .LBB52_52
.LBB52_125:
	v_bfe_u32 v7, v22, 20, 1
	s_mov_b32 s6, exec_lo
	s_delay_alu instid0(VALU_DEP_1) | instskip(NEXT) | instid1(VALU_DEP_1)
	v_add3_u32 v7, v22, v7, 0x487ffff
	v_lshrrev_b32_e32 v24, 20, v7
	s_or_saveexec_b32 s7, s7
                                        ; implicit-def: $sgpr8
	s_delay_alu instid0(SALU_CYCLE_1)
	s_xor_b32 exec_lo, exec_lo, s7
	s_cbranch_execz .LBB52_56
.LBB52_126:
	v_add_f32_e64 v7, 0x46000000, |v22|
	s_and_not1_b32 s6, s6, exec_lo
	s_mov_b32 s8, 0
	s_delay_alu instid0(VALU_DEP_1) | instskip(NEXT) | instid1(VALU_DEP_1)
	v_and_b32_e32 v24, 0xff, v7
	v_cmp_ne_u32_e32 vcc_lo, 0, v24
	s_and_b32 s9, vcc_lo, exec_lo
	s_delay_alu instid0(SALU_CYCLE_1)
	s_or_b32 s6, s6, s9
	s_or_b32 exec_lo, exec_lo, s7
	v_mov_b32_e32 v7, s8
	s_and_saveexec_b32 s7, s6
	s_cbranch_execnz .LBB52_57
	s_branch .LBB52_58
.LBB52_127:
	v_bfe_u32 v0, v24, 20, 1
	s_mov_b32 s6, exec_lo
	s_delay_alu instid0(VALU_DEP_1) | instskip(NEXT) | instid1(VALU_DEP_1)
	v_add3_u32 v0, v24, v0, 0x487ffff
	v_lshrrev_b32_e32 v25, 20, v0
	s_or_saveexec_b32 s7, s7
                                        ; implicit-def: $sgpr8
	s_delay_alu instid0(SALU_CYCLE_1)
	s_xor_b32 exec_lo, exec_lo, s7
	s_cbranch_execz .LBB52_62
.LBB52_128:
	v_add_f32_e64 v0, 0x46000000, |v24|
	s_and_not1_b32 s6, s6, exec_lo
	s_mov_b32 s8, 0
	s_delay_alu instid0(VALU_DEP_1) | instskip(NEXT) | instid1(VALU_DEP_1)
	v_and_b32_e32 v25, 0xff, v0
	v_cmp_ne_u32_e32 vcc_lo, 0, v25
	s_and_b32 s9, vcc_lo, exec_lo
	s_delay_alu instid0(SALU_CYCLE_1)
	s_or_b32 s6, s6, s9
	s_or_b32 exec_lo, exec_lo, s7
	v_mov_b32_e32 v0, s8
	s_and_saveexec_b32 s7, s6
	s_cbranch_execnz .LBB52_63
	s_branch .LBB52_64
.LBB52_129:
	v_bfe_u32 v22, v20, 20, 1
	s_mov_b32 s6, exec_lo
	s_delay_alu instid0(VALU_DEP_1) | instskip(NEXT) | instid1(VALU_DEP_1)
	v_add3_u32 v22, v20, v22, 0x487ffff
	v_lshrrev_b32_e32 v24, 20, v22
	s_or_saveexec_b32 s7, s7
                                        ; implicit-def: $sgpr8
	s_delay_alu instid0(SALU_CYCLE_1)
	s_xor_b32 exec_lo, exec_lo, s7
	s_cbranch_execz .LBB52_68
.LBB52_130:
	v_add_f32_e64 v22, 0x46000000, |v20|
	s_and_not1_b32 s6, s6, exec_lo
	s_mov_b32 s8, 0
	s_delay_alu instid0(VALU_DEP_1) | instskip(NEXT) | instid1(VALU_DEP_1)
	v_and_b32_e32 v24, 0xff, v22
	v_cmp_ne_u32_e32 vcc_lo, 0, v24
	s_and_b32 s9, vcc_lo, exec_lo
	s_delay_alu instid0(SALU_CYCLE_1)
	s_or_b32 s6, s6, s9
	s_or_b32 exec_lo, exec_lo, s7
	v_mov_b32_e32 v22, s8
	s_and_saveexec_b32 s7, s6
	s_cbranch_execnz .LBB52_69
	s_branch .LBB52_70
.LBB52_131:
	v_bfe_u32 v1, v20, 20, 1
	s_mov_b32 s6, exec_lo
	s_delay_alu instid0(VALU_DEP_1) | instskip(NEXT) | instid1(VALU_DEP_1)
	v_add3_u32 v1, v20, v1, 0x487ffff
	v_lshrrev_b32_e32 v24, 20, v1
	s_or_saveexec_b32 s7, s7
                                        ; implicit-def: $sgpr8
	s_delay_alu instid0(SALU_CYCLE_1)
	s_xor_b32 exec_lo, exec_lo, s7
	s_cbranch_execz .LBB52_74
.LBB52_132:
	v_add_f32_e64 v1, 0x46000000, |v20|
	s_and_not1_b32 s6, s6, exec_lo
	s_mov_b32 s8, 0
	s_delay_alu instid0(VALU_DEP_1) | instskip(NEXT) | instid1(VALU_DEP_1)
	v_and_b32_e32 v24, 0xff, v1
	v_cmp_ne_u32_e32 vcc_lo, 0, v24
	s_and_b32 s9, vcc_lo, exec_lo
	s_delay_alu instid0(SALU_CYCLE_1)
	s_or_b32 s6, s6, s9
	s_or_b32 exec_lo, exec_lo, s7
	v_mov_b32_e32 v1, s8
	s_and_saveexec_b32 s7, s6
	s_cbranch_execnz .LBB52_75
	s_branch .LBB52_76
.LBB52_133:
	v_bfe_u32 v18, v20, 20, 1
	s_mov_b32 s6, exec_lo
	s_delay_alu instid0(VALU_DEP_1) | instskip(NEXT) | instid1(VALU_DEP_1)
	v_add3_u32 v18, v20, v18, 0x487ffff
	v_lshrrev_b32_e32 v24, 20, v18
	s_or_saveexec_b32 s7, s7
                                        ; implicit-def: $sgpr8
	s_delay_alu instid0(SALU_CYCLE_1)
	s_xor_b32 exec_lo, exec_lo, s7
	s_cbranch_execz .LBB52_80
.LBB52_134:
	v_add_f32_e64 v18, 0x46000000, |v20|
	s_and_not1_b32 s6, s6, exec_lo
	s_mov_b32 s8, 0
	s_delay_alu instid0(VALU_DEP_1) | instskip(NEXT) | instid1(VALU_DEP_1)
	v_and_b32_e32 v24, 0xff, v18
	v_cmp_ne_u32_e32 vcc_lo, 0, v24
	s_and_b32 s9, vcc_lo, exec_lo
	s_delay_alu instid0(SALU_CYCLE_1)
	s_or_b32 s6, s6, s9
	s_or_b32 exec_lo, exec_lo, s7
	v_mov_b32_e32 v18, s8
	s_and_saveexec_b32 s7, s6
	s_cbranch_execnz .LBB52_81
	s_branch .LBB52_82
.LBB52_135:
	v_bfe_u32 v2, v20, 20, 1
	s_mov_b32 s6, exec_lo
	s_delay_alu instid0(VALU_DEP_1) | instskip(NEXT) | instid1(VALU_DEP_1)
	v_add3_u32 v2, v20, v2, 0x487ffff
	v_bfe_u32 v24, v2, 20, 8
	s_or_saveexec_b32 s7, s7
                                        ; implicit-def: $sgpr8
	s_delay_alu instid0(SALU_CYCLE_1)
	s_xor_b32 exec_lo, exec_lo, s7
	s_cbranch_execz .LBB52_86
.LBB52_136:
	v_add_f32_e64 v2, 0x46000000, |v20|
	s_and_not1_b32 s6, s6, exec_lo
	s_mov_b32 s8, 0
	s_delay_alu instid0(VALU_DEP_1) | instskip(NEXT) | instid1(VALU_DEP_1)
	v_and_b32_e32 v24, 0xff, v2
	v_cmp_ne_u32_e32 vcc_lo, 0, v24
	s_and_b32 s9, vcc_lo, exec_lo
	s_delay_alu instid0(SALU_CYCLE_1)
	s_or_b32 s6, s6, s9
	s_or_b32 exec_lo, exec_lo, s7
	v_mov_b32_e32 v2, s8
	s_and_saveexec_b32 s7, s6
	s_cbranch_execnz .LBB52_87
	s_branch .LBB52_88
.LBB52_137:
	v_bfe_u32 v17, v20, 20, 1
	s_mov_b32 s6, exec_lo
	s_delay_alu instid0(VALU_DEP_1) | instskip(NEXT) | instid1(VALU_DEP_1)
	v_add3_u32 v17, v20, v17, 0x487ffff
	v_bfe_u32 v24, v17, 20, 8
	s_or_saveexec_b32 s7, s7
                                        ; implicit-def: $sgpr8
	s_delay_alu instid0(SALU_CYCLE_1)
	s_xor_b32 exec_lo, exec_lo, s7
	s_cbranch_execz .LBB52_92
.LBB52_138:
	v_add_f32_e64 v17, 0x46000000, |v20|
	s_and_not1_b32 s6, s6, exec_lo
	s_mov_b32 s8, 0
	s_delay_alu instid0(VALU_DEP_1) | instskip(NEXT) | instid1(VALU_DEP_1)
	v_and_b32_e32 v24, 0xff, v17
	v_cmp_ne_u32_e32 vcc_lo, 0, v24
	s_and_b32 s9, vcc_lo, exec_lo
	s_delay_alu instid0(SALU_CYCLE_1)
	s_or_b32 s6, s6, s9
	s_or_b32 exec_lo, exec_lo, s7
	v_mov_b32_e32 v17, s8
	s_and_saveexec_b32 s7, s6
	s_cbranch_execnz .LBB52_93
	s_branch .LBB52_94
.LBB52_139:
	v_bfe_u32 v3, v20, 20, 1
	s_mov_b32 s6, exec_lo
	s_delay_alu instid0(VALU_DEP_1) | instskip(NEXT) | instid1(VALU_DEP_1)
	v_add3_u32 v3, v20, v3, 0x487ffff
	v_bfe_u32 v24, v3, 20, 8
	s_or_saveexec_b32 s7, s7
                                        ; implicit-def: $sgpr8
	s_delay_alu instid0(SALU_CYCLE_1)
	s_xor_b32 exec_lo, exec_lo, s7
	s_cbranch_execz .LBB52_98
.LBB52_140:
	v_add_f32_e64 v3, 0x46000000, |v20|
	s_and_not1_b32 s6, s6, exec_lo
	s_mov_b32 s8, 0
	s_delay_alu instid0(VALU_DEP_1) | instskip(NEXT) | instid1(VALU_DEP_1)
	v_and_b32_e32 v24, 0xff, v3
	v_cmp_ne_u32_e32 vcc_lo, 0, v24
	s_and_b32 s9, vcc_lo, exec_lo
	s_delay_alu instid0(SALU_CYCLE_1)
	s_or_b32 s6, s6, s9
	s_or_b32 exec_lo, exec_lo, s7
	v_mov_b32_e32 v3, s8
	s_and_saveexec_b32 s7, s6
	s_cbranch_execnz .LBB52_99
	s_branch .LBB52_100
.LBB52_141:
	v_bfe_u32 v10, v9, 20, 1
	s_mov_b32 s6, exec_lo
	s_delay_alu instid0(VALU_DEP_1) | instskip(NEXT) | instid1(VALU_DEP_1)
	v_add3_u32 v10, v9, v10, 0x487ffff
	v_bfe_u32 v10, v10, 20, 8
	s_or_saveexec_b32 s7, s7
                                        ; implicit-def: $sgpr8
	s_delay_alu instid0(SALU_CYCLE_1)
	s_xor_b32 exec_lo, exec_lo, s7
	s_cbranch_execz .LBB52_104
.LBB52_142:
	v_add_f32_e64 v10, 0x46000000, |v9|
	s_and_not1_b32 s6, s6, exec_lo
	s_mov_b32 s8, 0
	s_delay_alu instid0(VALU_DEP_1) | instskip(NEXT) | instid1(VALU_DEP_1)
	v_and_b32_e32 v10, 0xff, v10
	v_cmp_ne_u32_e32 vcc_lo, 0, v10
	s_and_b32 s9, vcc_lo, exec_lo
	s_delay_alu instid0(SALU_CYCLE_1)
	s_or_b32 s6, s6, s9
	s_or_b32 exec_lo, exec_lo, s7
	v_mov_b32_e32 v11, s8
	s_and_saveexec_b32 s7, s6
	s_cbranch_execnz .LBB52_105
	s_branch .LBB52_106
	.section	.rodata,"a",@progbits
	.p2align	6, 0x0
	.amdhsa_kernel _Z49per_token_group_quant_8bit_packed_register_kernelIN3c108BFloat16ENS0_15Float8_e4m3fnuzELi128ELi8ELi2EEvPKT_PvPjiiiiilfff
		.amdhsa_group_segment_fixed_size 0
		.amdhsa_private_segment_fixed_size 0
		.amdhsa_kernarg_size 68
		.amdhsa_user_sgpr_count 14
		.amdhsa_user_sgpr_dispatch_ptr 0
		.amdhsa_user_sgpr_queue_ptr 0
		.amdhsa_user_sgpr_kernarg_segment_ptr 1
		.amdhsa_user_sgpr_dispatch_id 0
		.amdhsa_user_sgpr_private_segment_size 0
		.amdhsa_wavefront_size32 1
		.amdhsa_uses_dynamic_stack 0
		.amdhsa_enable_private_segment 0
		.amdhsa_system_sgpr_workgroup_id_x 1
		.amdhsa_system_sgpr_workgroup_id_y 1
		.amdhsa_system_sgpr_workgroup_id_z 0
		.amdhsa_system_sgpr_workgroup_info 0
		.amdhsa_system_vgpr_workitem_id 0
		.amdhsa_next_free_vgpr 27
		.amdhsa_next_free_sgpr 16
		.amdhsa_reserve_vcc 1
		.amdhsa_float_round_mode_32 0
		.amdhsa_float_round_mode_16_64 0
		.amdhsa_float_denorm_mode_32 3
		.amdhsa_float_denorm_mode_16_64 3
		.amdhsa_dx10_clamp 1
		.amdhsa_ieee_mode 1
		.amdhsa_fp16_overflow 0
		.amdhsa_workgroup_processor_mode 1
		.amdhsa_memory_ordered 1
		.amdhsa_forward_progress 0
		.amdhsa_shared_vgpr_count 0
		.amdhsa_exception_fp_ieee_invalid_op 0
		.amdhsa_exception_fp_denorm_src 0
		.amdhsa_exception_fp_ieee_div_zero 0
		.amdhsa_exception_fp_ieee_overflow 0
		.amdhsa_exception_fp_ieee_underflow 0
		.amdhsa_exception_fp_ieee_inexact 0
		.amdhsa_exception_int_div_zero 0
	.end_amdhsa_kernel
	.section	.text._Z49per_token_group_quant_8bit_packed_register_kernelIN3c108BFloat16ENS0_15Float8_e4m3fnuzELi128ELi8ELi2EEvPKT_PvPjiiiiilfff,"axG",@progbits,_Z49per_token_group_quant_8bit_packed_register_kernelIN3c108BFloat16ENS0_15Float8_e4m3fnuzELi128ELi8ELi2EEvPKT_PvPjiiiiilfff,comdat
.Lfunc_end52:
	.size	_Z49per_token_group_quant_8bit_packed_register_kernelIN3c108BFloat16ENS0_15Float8_e4m3fnuzELi128ELi8ELi2EEvPKT_PvPjiiiiilfff, .Lfunc_end52-_Z49per_token_group_quant_8bit_packed_register_kernelIN3c108BFloat16ENS0_15Float8_e4m3fnuzELi128ELi8ELi2EEvPKT_PvPjiiiiilfff
                                        ; -- End function
	.section	.AMDGPU.csdata,"",@progbits
; Kernel info:
; codeLenInByte = 5592
; NumSgprs: 18
; NumVgprs: 27
; ScratchSize: 0
; MemoryBound: 0
; FloatMode: 240
; IeeeMode: 1
; LDSByteSize: 0 bytes/workgroup (compile time only)
; SGPRBlocks: 2
; VGPRBlocks: 3
; NumSGPRsForWavesPerEU: 18
; NumVGPRsForWavesPerEU: 27
; Occupancy: 16
; WaveLimiterHint : 0
; COMPUTE_PGM_RSRC2:SCRATCH_EN: 0
; COMPUTE_PGM_RSRC2:USER_SGPR: 14
; COMPUTE_PGM_RSRC2:TRAP_HANDLER: 0
; COMPUTE_PGM_RSRC2:TGID_X_EN: 1
; COMPUTE_PGM_RSRC2:TGID_Y_EN: 1
; COMPUTE_PGM_RSRC2:TGID_Z_EN: 0
; COMPUTE_PGM_RSRC2:TIDIG_COMP_CNT: 0
	.section	.text._Z49per_token_group_quant_8bit_packed_register_kernelIN3c108BFloat16ENS0_15Float8_e4m3fnuzELi128ELi4ELi4EEvPKT_PvPjiiiiilfff,"axG",@progbits,_Z49per_token_group_quant_8bit_packed_register_kernelIN3c108BFloat16ENS0_15Float8_e4m3fnuzELi128ELi4ELi4EEvPKT_PvPjiiiiilfff,comdat
	.protected	_Z49per_token_group_quant_8bit_packed_register_kernelIN3c108BFloat16ENS0_15Float8_e4m3fnuzELi128ELi4ELi4EEvPKT_PvPjiiiiilfff ; -- Begin function _Z49per_token_group_quant_8bit_packed_register_kernelIN3c108BFloat16ENS0_15Float8_e4m3fnuzELi128ELi4ELi4EEvPKT_PvPjiiiiilfff
	.globl	_Z49per_token_group_quant_8bit_packed_register_kernelIN3c108BFloat16ENS0_15Float8_e4m3fnuzELi128ELi4ELi4EEvPKT_PvPjiiiiilfff
	.p2align	8
	.type	_Z49per_token_group_quant_8bit_packed_register_kernelIN3c108BFloat16ENS0_15Float8_e4m3fnuzELi128ELi4ELi4EEvPKT_PvPjiiiiilfff,@function
_Z49per_token_group_quant_8bit_packed_register_kernelIN3c108BFloat16ENS0_15Float8_e4m3fnuzELi128ELi4ELi4EEvPKT_PvPjiiiiilfff: ; @_Z49per_token_group_quant_8bit_packed_register_kernelIN3c108BFloat16ENS0_15Float8_e4m3fnuzELi128ELi4ELi4EEvPKT_PvPjiiiiilfff
; %bb.0:
	s_load_b128 s[4:7], s[0:1], 0x1c
	v_lshrrev_b32_e32 v1, 5, v0
	s_mov_b32 s2, exec_lo
	s_delay_alu instid0(VALU_DEP_1) | instskip(SKIP_1) | instid1(VALU_DEP_1)
	v_lshl_add_u32 v12, s15, 2, v1
	s_waitcnt lgkmcnt(0)
	v_cmpx_gt_i32_e64 s7, v12
	s_cbranch_execz .LBB53_110
; %bb.1:
	s_load_b128 s[8:11], s[0:1], 0x38
	v_lshrrev_b32_e32 v1, 3, v0
	s_lshl_b32 s2, s14, 2
	v_and_b32_e32 v15, 7, v0
	v_ashrrev_i32_e32 v16, 31, v12
                                        ; implicit-def: $vgpr14
                                        ; implicit-def: $vgpr3
                                        ; implicit-def: $vgpr17
                                        ; implicit-def: $vgpr18
                                        ; implicit-def: $vgpr20
                                        ; implicit-def: $vgpr22
                                        ; implicit-def: $vgpr7
                                        ; implicit-def: $vgpr23
                                        ; implicit-def: $vgpr21
                                        ; implicit-def: $vgpr19
	s_delay_alu instid0(VALU_DEP_3) | instskip(SKIP_1) | instid1(VALU_DEP_2)
	v_and_or_b32 v10, v1, 3, s2
	v_cmp_gt_i32_e64 s2, s5, v12
	v_cmp_gt_i32_e64 s3, s4, v10
	v_lshlrev_b32_e32 v13, 7, v10
	s_waitcnt lgkmcnt(0)
	s_delay_alu instid0(VALU_DEP_2)
	s_and_b32 s11, s2, s3
	v_mov_b32_e32 v8, s8
	s_and_saveexec_b32 s5, s11
	s_cbranch_execz .LBB53_3
; %bb.2:
	s_load_b64 s[12:13], s[0:1], 0x0
	v_lshlrev_b32_e32 v2, 8, v12
	v_alignbit_b32 v0, v16, v12, 24
	s_ashr_i32 s14, s4, 31
	v_ashrrev_i32_e32 v14, 31, v13
	s_delay_alu instid0(VALU_DEP_3) | instskip(NEXT) | instid1(VALU_DEP_3)
	v_mul_lo_u32 v4, v2, s14
	v_mul_lo_u32 v5, v0, s4
	s_waitcnt lgkmcnt(0)
	v_mad_u64_u32 v[0:1], null, v2, s4, s[12:13]
	v_lshlrev_b64 v[2:3], 1, v[13:14]
	s_delay_alu instid0(VALU_DEP_2) | instskip(SKIP_1) | instid1(VALU_DEP_3)
	v_add3_u32 v1, v5, v1, v4
	v_lshlrev_b32_e32 v4, 5, v15
	v_add_co_u32 v0, vcc_lo, v0, v2
	s_delay_alu instid0(VALU_DEP_3) | instskip(NEXT) | instid1(VALU_DEP_2)
	v_add_co_ci_u32_e32 v1, vcc_lo, v1, v3, vcc_lo
	v_add_co_u32 v0, vcc_lo, v0, v4
	s_delay_alu instid0(VALU_DEP_2)
	v_add_co_ci_u32_e32 v1, vcc_lo, 0, v1, vcc_lo
	s_clause 0x1
	global_load_b128 v[4:7], v[0:1], off
	global_load_b128 v[0:3], v[0:1], off offset:16
	s_waitcnt vmcnt(1)
	v_lshlrev_b32_e32 v8, 16, v4
	v_and_b32_e32 v9, 0xffff0000, v4
	v_lshlrev_b32_e32 v11, 16, v5
	v_and_b32_e32 v14, 0xffff0000, v5
	v_and_b32_e32 v17, 0xffff0000, v6
	v_lshrrev_b32_e32 v19, 16, v4
	v_max3_f32 v8, s8, |v8|, |v9|
	v_lshlrev_b32_e32 v9, 16, v6
	v_lshrrev_b32_e32 v21, 16, v5
	v_lshrrev_b32_e32 v23, 16, v6
	;; [unrolled: 1-line block ×3, first 2 shown]
	v_max3_f32 v8, v8, |v11|, |v14|
	v_lshlrev_b32_e32 v11, 16, v7
	v_and_b32_e32 v14, 0xffff0000, v7
	s_waitcnt vmcnt(0)
	v_lshrrev_b32_e32 v20, 16, v0
	v_lshrrev_b32_e32 v18, 16, v1
	v_max3_f32 v8, v8, |v9|, |v17|
	v_lshlrev_b32_e32 v9, 16, v0
	v_and_b32_e32 v17, 0xffff0000, v0
	s_delay_alu instid0(VALU_DEP_3) | instskip(SKIP_2) | instid1(VALU_DEP_3)
	v_max3_f32 v8, v8, |v11|, |v14|
	v_lshlrev_b32_e32 v11, 16, v1
	v_and_b32_e32 v14, 0xffff0000, v1
	v_max3_f32 v8, v8, |v9|, |v17|
	v_lshlrev_b32_e32 v9, 16, v2
	v_and_b32_e32 v17, 0xffff0000, v2
	s_delay_alu instid0(VALU_DEP_3) | instskip(SKIP_2) | instid1(VALU_DEP_3)
	v_max3_f32 v8, v8, |v11|, |v14|
	v_lshlrev_b32_e32 v11, 16, v3
	v_lshrrev_b32_e32 v14, 16, v3
	v_max3_f32 v8, v8, |v9|, |v17|
	v_and_b32_e32 v9, 0xffff0000, v3
	v_lshrrev_b32_e32 v17, 16, v2
	s_delay_alu instid0(VALU_DEP_2)
	v_max3_f32 v8, v8, |v11|, |v9|
.LBB53_3:
	s_or_b32 exec_lo, exec_lo, s5
	v_mbcnt_lo_u32_b32 v9, -1, 0
	s_xor_b32 s8, s11, -1
	s_mov_b32 s5, 0
	s_mov_b32 s12, exec_lo
	s_delay_alu instid0(VALU_DEP_1) | instskip(SKIP_2) | instid1(VALU_DEP_2)
	v_xor_b32_e32 v24, 4, v9
	v_and_b32_e32 v11, 24, v9
	v_xor_b32_e32 v25, 2, v9
	v_add_nc_u32_e32 v11, 8, v11
	s_delay_alu instid0(VALU_DEP_1) | instskip(SKIP_1) | instid1(VALU_DEP_1)
	v_cmp_lt_i32_e32 vcc_lo, v24, v11
	v_cndmask_b32_e32 v24, v9, v24, vcc_lo
	v_lshlrev_b32_e32 v24, 2, v24
	ds_bpermute_b32 v24, v24, v8
	v_max_f32_e32 v8, v8, v8
	v_cmp_lt_i32_e32 vcc_lo, v25, v11
	v_cndmask_b32_e32 v25, v9, v25, vcc_lo
	s_waitcnt lgkmcnt(0)
	s_delay_alu instid0(VALU_DEP_1) | instskip(NEXT) | instid1(VALU_DEP_1)
	v_dual_max_f32 v24, v24, v24 :: v_dual_lshlrev_b32 v25, 2, v25
	v_max_f32_e32 v8, v8, v24
	ds_bpermute_b32 v24, v25, v8
	v_xor_b32_e32 v25, 1, v9
	s_delay_alu instid0(VALU_DEP_1) | instskip(SKIP_3) | instid1(VALU_DEP_1)
	v_cmp_lt_i32_e32 vcc_lo, v25, v11
	v_cndmask_b32_e32 v9, v9, v25, vcc_lo
	s_waitcnt lgkmcnt(0)
	v_max_f32_e32 v11, v24, v24
	v_dual_max_f32 v8, v8, v11 :: v_dual_lshlrev_b32 v9, 2, v9
	ds_bpermute_b32 v9, v9, v8
	s_waitcnt lgkmcnt(0)
	v_max_f32_e32 v9, v9, v9
	s_delay_alu instid0(VALU_DEP_1) | instskip(NEXT) | instid1(VALU_DEP_1)
	v_max_f32_e32 v8, v8, v9
	v_div_scale_f32 v9, null, s10, s10, v8
	v_div_scale_f32 v25, vcc_lo, v8, s10, v8
	s_delay_alu instid0(VALU_DEP_2) | instskip(SKIP_2) | instid1(VALU_DEP_1)
	v_rcp_f32_e32 v11, v9
	s_waitcnt_depctr 0xfff
	v_fma_f32 v24, -v9, v11, 1.0
	v_fmac_f32_e32 v11, v24, v11
	s_delay_alu instid0(VALU_DEP_1) | instskip(NEXT) | instid1(VALU_DEP_1)
	v_mul_f32_e32 v24, v25, v11
	v_fma_f32 v26, -v9, v24, v25
	s_delay_alu instid0(VALU_DEP_1) | instskip(NEXT) | instid1(VALU_DEP_1)
	v_fmac_f32_e32 v24, v26, v11
	v_fma_f32 v9, -v9, v24, v25
	s_delay_alu instid0(VALU_DEP_1) | instskip(NEXT) | instid1(VALU_DEP_1)
	v_div_fmas_f32 v9, v9, v11, v24
	v_div_fixup_f32 v8, v9, s10, v8
	s_delay_alu instid0(VALU_DEP_1) | instskip(NEXT) | instid1(VALU_DEP_1)
	v_max_f32_e32 v8, 0x2edbe6ff, v8
	v_and_b32_e32 v9, 0x7fffff, v8
	v_lshrrev_b32_e32 v8, 23, v8
	s_delay_alu instid0(VALU_DEP_2) | instskip(NEXT) | instid1(VALU_DEP_2)
	v_cmp_ne_u32_e32 vcc_lo, 0, v9
	v_add_co_ci_u32_e32 v24, vcc_lo, 0, v8, vcc_lo
	v_cmpx_eq_u32_e32 0, v15
	s_cbranch_execz .LBB53_8
; %bb.4:
	v_ashrrev_i32_e32 v8, 31, v10
	s_delay_alu instid0(VALU_DEP_1) | instskip(NEXT) | instid1(VALU_DEP_1)
	v_lshrrev_b32_e32 v8, 30, v8
	v_add_nc_u32_e32 v8, v10, v8
	s_delay_alu instid0(VALU_DEP_1) | instskip(NEXT) | instid1(VALU_DEP_1)
	v_ashrrev_i32_e32 v11, 2, v8
	v_mad_u64_u32 v[8:9], null, v11, s7, v[12:13]
	v_mov_b32_e32 v9, v24
	s_and_saveexec_b32 s7, s8
	s_cbranch_execz .LBB53_6
; %bb.5:
	s_load_b64 s[14:15], s[0:1], 0x30
	s_delay_alu instid0(VALU_DEP_2) | instskip(SKIP_2) | instid1(VALU_DEP_1)
	v_ashrrev_i32_e32 v9, 31, v8
	s_and_not1_b32 s11, s11, exec_lo
	s_waitcnt lgkmcnt(0)
	v_cmp_gt_i64_e32 vcc_lo, s[14:15], v[8:9]
	v_mov_b32_e32 v9, 0
	s_and_b32 s13, vcc_lo, exec_lo
	s_delay_alu instid0(SALU_CYCLE_1)
	s_or_b32 s11, s11, s13
.LBB53_6:
	s_or_b32 exec_lo, exec_lo, s7
	s_delay_alu instid0(SALU_CYCLE_1)
	s_and_b32 exec_lo, exec_lo, s11
	s_cbranch_execz .LBB53_8
; %bb.7:
	s_load_b64 s[14:15], s[0:1], 0x10
	v_lshlrev_b32_e32 v11, 2, v11
	s_delay_alu instid0(VALU_DEP_1) | instskip(NEXT) | instid1(VALU_DEP_1)
	v_sub_nc_u32_e32 v10, v10, v11
	v_lshl_add_u32 v8, v8, 2, v10
	s_delay_alu instid0(VALU_DEP_1) | instskip(SKIP_2) | instid1(VALU_DEP_2)
	v_ashrrev_i32_e32 v11, 31, v8
	s_waitcnt lgkmcnt(0)
	v_add_co_u32 v10, vcc_lo, s14, v8
	v_add_co_ci_u32_e32 v11, vcc_lo, s15, v11, vcc_lo
	global_store_b8 v[10:11], v9, off
.LBB53_8:
	s_or_b32 exec_lo, exec_lo, s12
                                        ; implicit-def: $sgpr7
	s_and_saveexec_b32 s11, s8
	s_delay_alu instid0(SALU_CYCLE_1)
	s_xor_b32 s8, exec_lo, s11
; %bb.9:
	v_cmp_gt_i32_e32 vcc_lo, s6, v12
	s_xor_b32 s2, s2, -1
	s_mov_b32 s7, 0
                                        ; implicit-def: $vgpr14
                                        ; implicit-def: $vgpr3
                                        ; implicit-def: $vgpr17
                                        ; implicit-def: $vgpr18
                                        ; implicit-def: $vgpr20
                                        ; implicit-def: $vgpr22
                                        ; implicit-def: $vgpr7
                                        ; implicit-def: $vgpr23
                                        ; implicit-def: $vgpr21
                                        ; implicit-def: $vgpr19
                                        ; implicit-def: $vgpr24
	s_and_b32 s2, vcc_lo, s2
	s_delay_alu instid0(SALU_CYCLE_1) | instskip(NEXT) | instid1(SALU_CYCLE_1)
	s_and_b32 s2, s3, s2
	s_and_b32 s5, s2, exec_lo
; %bb.10:
	s_or_saveexec_b32 s2, s8
	v_dual_mov_b32 v11, s7 :: v_dual_mov_b32 v10, s7
	v_dual_mov_b32 v9, s7 :: v_dual_mov_b32 v8, s7
	s_xor_b32 exec_lo, exec_lo, s2
	s_cbranch_execz .LBB53_108
; %bb.11:
	v_lshlrev_b32_e32 v8, 23, v24
	v_lshlrev_b32_e32 v4, 16, v4
	s_mov_b32 s3, exec_lo
	s_delay_alu instid0(VALU_DEP_2) | instskip(NEXT) | instid1(VALU_DEP_1)
	v_and_b32_e32 v8, 0x7f800000, v8
	v_div_scale_f32 v9, null, v8, v8, 1.0
	v_div_scale_f32 v24, vcc_lo, 1.0, v8, 1.0
	s_delay_alu instid0(VALU_DEP_2) | instskip(SKIP_2) | instid1(VALU_DEP_1)
	v_rcp_f32_e32 v10, v9
	s_waitcnt_depctr 0xfff
	v_fma_f32 v11, -v9, v10, 1.0
	v_fmac_f32_e32 v10, v11, v10
	s_delay_alu instid0(VALU_DEP_1) | instskip(NEXT) | instid1(VALU_DEP_1)
	v_mul_f32_e32 v11, v24, v10
	v_fma_f32 v25, -v9, v11, v24
	s_delay_alu instid0(VALU_DEP_1) | instskip(NEXT) | instid1(VALU_DEP_1)
	v_fmac_f32_e32 v11, v25, v10
	v_fma_f32 v9, -v9, v11, v24
	s_delay_alu instid0(VALU_DEP_1) | instskip(SKIP_2) | instid1(VALU_DEP_3)
	v_div_fmas_f32 v9, v9, v10, v11
	v_max_f32_e64 v10, s9, s9
	v_max_f32_e64 v11, s10, s10
	v_div_fixup_f32 v9, v9, v8, 1.0
	v_mov_b32_e32 v8, 0x80
	s_delay_alu instid0(VALU_DEP_2) | instskip(NEXT) | instid1(VALU_DEP_1)
	v_mul_f32_e32 v4, v9, v4
	v_maxmin_f32 v24, v4, v10, v11
	v_mov_b32_e32 v4, 0x80
	s_delay_alu instid0(VALU_DEP_2) | instskip(NEXT) | instid1(VALU_DEP_1)
	v_and_b32_e32 v25, 0x7fffffff, v24
	v_cmpx_gt_u32_e32 0x43800000, v25
	s_cbranch_execz .LBB53_17
; %bb.12:
	v_cmp_lt_u32_e32 vcc_lo, 0x3bffffff, v25
	s_mov_b32 s6, 0
                                        ; implicit-def: $vgpr25
	s_and_saveexec_b32 s7, vcc_lo
	s_delay_alu instid0(SALU_CYCLE_1)
	s_xor_b32 s7, exec_lo, s7
	s_cbranch_execnz .LBB53_111
; %bb.13:
	s_or_saveexec_b32 s7, s7
                                        ; implicit-def: $sgpr8
	s_delay_alu instid0(SALU_CYCLE_1)
	s_xor_b32 exec_lo, exec_lo, s7
	s_cbranch_execnz .LBB53_112
.LBB53_14:
	s_or_b32 exec_lo, exec_lo, s7
	v_mov_b32_e32 v4, s8
	s_and_saveexec_b32 s7, s6
.LBB53_15:
	v_lshrrev_b32_e32 v4, 24, v24
	s_delay_alu instid0(VALU_DEP_1)
	v_and_or_b32 v4, 0x80, v4, v25
.LBB53_16:
	s_or_b32 exec_lo, exec_lo, s7
.LBB53_17:
	s_delay_alu instid0(SALU_CYCLE_1) | instskip(SKIP_2) | instid1(VALU_DEP_1)
	s_or_b32 exec_lo, exec_lo, s3
	v_lshlrev_b32_e32 v19, 16, v19
	s_mov_b32 s3, exec_lo
	v_mul_f32_e32 v19, v9, v19
	s_delay_alu instid0(VALU_DEP_1) | instskip(NEXT) | instid1(VALU_DEP_1)
	v_maxmin_f32 v19, v19, v10, v11
	v_and_b32_e32 v24, 0x7fffffff, v19
	s_delay_alu instid0(VALU_DEP_1)
	v_cmpx_gt_u32_e32 0x43800000, v24
	s_cbranch_execz .LBB53_23
; %bb.18:
	v_cmp_lt_u32_e32 vcc_lo, 0x3bffffff, v24
	s_mov_b32 s6, 0
                                        ; implicit-def: $vgpr24
	s_and_saveexec_b32 s7, vcc_lo
	s_delay_alu instid0(SALU_CYCLE_1)
	s_xor_b32 s7, exec_lo, s7
	s_cbranch_execnz .LBB53_113
; %bb.19:
	s_or_saveexec_b32 s7, s7
                                        ; implicit-def: $sgpr8
	s_delay_alu instid0(SALU_CYCLE_1)
	s_xor_b32 exec_lo, exec_lo, s7
	s_cbranch_execnz .LBB53_114
.LBB53_20:
	s_or_b32 exec_lo, exec_lo, s7
	v_mov_b32_e32 v8, s8
	s_and_saveexec_b32 s7, s6
.LBB53_21:
	v_lshrrev_b32_e32 v8, 24, v19
	s_delay_alu instid0(VALU_DEP_1)
	v_and_or_b32 v8, 0x80, v8, v24
.LBB53_22:
	s_or_b32 exec_lo, exec_lo, s7
.LBB53_23:
	s_delay_alu instid0(SALU_CYCLE_1) | instskip(SKIP_3) | instid1(VALU_DEP_2)
	s_or_b32 exec_lo, exec_lo, s3
	v_lshlrev_b32_e32 v5, 16, v5
	v_mov_b32_e32 v19, 0x80
	s_mov_b32 s3, exec_lo
	v_mul_f32_e32 v5, v9, v5
	s_delay_alu instid0(VALU_DEP_1) | instskip(SKIP_1) | instid1(VALU_DEP_2)
	v_maxmin_f32 v24, v5, v10, v11
	v_mov_b32_e32 v5, 0x80
	v_and_b32_e32 v25, 0x7fffffff, v24
	s_delay_alu instid0(VALU_DEP_1)
	v_cmpx_gt_u32_e32 0x43800000, v25
	s_cbranch_execz .LBB53_29
; %bb.24:
	v_cmp_lt_u32_e32 vcc_lo, 0x3bffffff, v25
	s_mov_b32 s6, 0
                                        ; implicit-def: $vgpr25
	s_and_saveexec_b32 s7, vcc_lo
	s_delay_alu instid0(SALU_CYCLE_1)
	s_xor_b32 s7, exec_lo, s7
	s_cbranch_execnz .LBB53_115
; %bb.25:
	s_or_saveexec_b32 s7, s7
                                        ; implicit-def: $sgpr8
	s_delay_alu instid0(SALU_CYCLE_1)
	s_xor_b32 exec_lo, exec_lo, s7
	s_cbranch_execnz .LBB53_116
.LBB53_26:
	s_or_b32 exec_lo, exec_lo, s7
	v_mov_b32_e32 v19, s8
	s_and_saveexec_b32 s7, s6
.LBB53_27:
	v_lshrrev_b32_e32 v19, 24, v24
	s_delay_alu instid0(VALU_DEP_1)
	v_and_or_b32 v19, 0x80, v19, v25
.LBB53_28:
	s_or_b32 exec_lo, exec_lo, s7
.LBB53_29:
	s_delay_alu instid0(SALU_CYCLE_1) | instskip(SKIP_2) | instid1(VALU_DEP_1)
	s_or_b32 exec_lo, exec_lo, s3
	v_lshlrev_b32_e32 v21, 16, v21
	s_mov_b32 s3, exec_lo
	v_mul_f32_e32 v21, v9, v21
	s_delay_alu instid0(VALU_DEP_1) | instskip(NEXT) | instid1(VALU_DEP_1)
	v_maxmin_f32 v21, v21, v10, v11
	v_and_b32_e32 v24, 0x7fffffff, v21
	s_delay_alu instid0(VALU_DEP_1)
	v_cmpx_gt_u32_e32 0x43800000, v24
	s_cbranch_execz .LBB53_35
; %bb.30:
	v_cmp_lt_u32_e32 vcc_lo, 0x3bffffff, v24
	s_mov_b32 s6, 0
                                        ; implicit-def: $vgpr24
	s_and_saveexec_b32 s7, vcc_lo
	s_delay_alu instid0(SALU_CYCLE_1)
	s_xor_b32 s7, exec_lo, s7
	s_cbranch_execnz .LBB53_117
; %bb.31:
	s_or_saveexec_b32 s7, s7
                                        ; implicit-def: $sgpr8
	s_delay_alu instid0(SALU_CYCLE_1)
	s_xor_b32 exec_lo, exec_lo, s7
	s_cbranch_execnz .LBB53_118
.LBB53_32:
	s_or_b32 exec_lo, exec_lo, s7
	v_mov_b32_e32 v5, s8
	s_and_saveexec_b32 s7, s6
.LBB53_33:
	v_lshrrev_b32_e32 v5, 24, v21
	s_delay_alu instid0(VALU_DEP_1)
	v_and_or_b32 v5, 0x80, v5, v24
.LBB53_34:
	s_or_b32 exec_lo, exec_lo, s7
.LBB53_35:
	s_delay_alu instid0(SALU_CYCLE_1) | instskip(SKIP_2) | instid1(VALU_DEP_1)
	s_or_b32 exec_lo, exec_lo, s3
	v_dual_mov_b32 v21, 0x80 :: v_dual_lshlrev_b32 v6, 16, v6
	s_mov_b32 s3, exec_lo
	v_mul_f32_e32 v6, v9, v6
	s_delay_alu instid0(VALU_DEP_1) | instskip(SKIP_1) | instid1(VALU_DEP_2)
	v_maxmin_f32 v24, v6, v10, v11
	v_mov_b32_e32 v6, 0x80
	v_and_b32_e32 v25, 0x7fffffff, v24
	s_delay_alu instid0(VALU_DEP_1)
	v_cmpx_gt_u32_e32 0x43800000, v25
	s_cbranch_execz .LBB53_41
; %bb.36:
	v_cmp_lt_u32_e32 vcc_lo, 0x3bffffff, v25
	s_mov_b32 s6, 0
                                        ; implicit-def: $vgpr25
	s_and_saveexec_b32 s7, vcc_lo
	s_delay_alu instid0(SALU_CYCLE_1)
	s_xor_b32 s7, exec_lo, s7
	s_cbranch_execnz .LBB53_119
; %bb.37:
	s_or_saveexec_b32 s7, s7
                                        ; implicit-def: $sgpr8
	s_delay_alu instid0(SALU_CYCLE_1)
	s_xor_b32 exec_lo, exec_lo, s7
	s_cbranch_execnz .LBB53_120
.LBB53_38:
	s_or_b32 exec_lo, exec_lo, s7
	v_mov_b32_e32 v6, s8
	s_and_saveexec_b32 s7, s6
.LBB53_39:
	v_lshrrev_b32_e32 v6, 24, v24
	s_delay_alu instid0(VALU_DEP_1)
	v_and_or_b32 v6, 0x80, v6, v25
.LBB53_40:
	s_or_b32 exec_lo, exec_lo, s7
.LBB53_41:
	s_delay_alu instid0(SALU_CYCLE_1) | instskip(SKIP_2) | instid1(VALU_DEP_1)
	s_or_b32 exec_lo, exec_lo, s3
	v_lshlrev_b32_e32 v23, 16, v23
	s_mov_b32 s3, exec_lo
	v_mul_f32_e32 v23, v9, v23
	s_delay_alu instid0(VALU_DEP_1) | instskip(NEXT) | instid1(VALU_DEP_1)
	v_maxmin_f32 v23, v23, v10, v11
	v_and_b32_e32 v24, 0x7fffffff, v23
	s_delay_alu instid0(VALU_DEP_1)
	v_cmpx_gt_u32_e32 0x43800000, v24
	s_cbranch_execz .LBB53_47
; %bb.42:
	v_cmp_lt_u32_e32 vcc_lo, 0x3bffffff, v24
	s_mov_b32 s6, 0
                                        ; implicit-def: $vgpr24
	s_and_saveexec_b32 s7, vcc_lo
	s_delay_alu instid0(SALU_CYCLE_1)
	s_xor_b32 s7, exec_lo, s7
	s_cbranch_execnz .LBB53_121
; %bb.43:
	s_or_saveexec_b32 s7, s7
                                        ; implicit-def: $sgpr8
	s_delay_alu instid0(SALU_CYCLE_1)
	s_xor_b32 exec_lo, exec_lo, s7
	s_cbranch_execnz .LBB53_122
.LBB53_44:
	s_or_b32 exec_lo, exec_lo, s7
	v_mov_b32_e32 v21, s8
	s_and_saveexec_b32 s7, s6
.LBB53_45:
	v_lshrrev_b32_e32 v21, 24, v23
	s_delay_alu instid0(VALU_DEP_1)
	v_and_or_b32 v21, 0x80, v21, v24
.LBB53_46:
	s_or_b32 exec_lo, exec_lo, s7
.LBB53_47:
	s_delay_alu instid0(SALU_CYCLE_1) | instskip(SKIP_3) | instid1(VALU_DEP_2)
	s_or_b32 exec_lo, exec_lo, s3
	v_lshlrev_b32_e32 v7, 16, v7
	v_mov_b32_e32 v23, 0x80
	s_mov_b32 s3, exec_lo
	v_mul_f32_e32 v7, v9, v7
	s_delay_alu instid0(VALU_DEP_1) | instskip(SKIP_1) | instid1(VALU_DEP_2)
	v_maxmin_f32 v24, v7, v10, v11
	v_mov_b32_e32 v7, 0x80
	v_and_b32_e32 v25, 0x7fffffff, v24
	s_delay_alu instid0(VALU_DEP_1)
	v_cmpx_gt_u32_e32 0x43800000, v25
	s_cbranch_execz .LBB53_53
; %bb.48:
	v_cmp_lt_u32_e32 vcc_lo, 0x3bffffff, v25
	s_mov_b32 s6, 0
                                        ; implicit-def: $vgpr25
	s_and_saveexec_b32 s7, vcc_lo
	s_delay_alu instid0(SALU_CYCLE_1)
	s_xor_b32 s7, exec_lo, s7
	s_cbranch_execnz .LBB53_123
; %bb.49:
	s_or_saveexec_b32 s7, s7
                                        ; implicit-def: $sgpr8
	s_delay_alu instid0(SALU_CYCLE_1)
	s_xor_b32 exec_lo, exec_lo, s7
	s_cbranch_execnz .LBB53_124
.LBB53_50:
	s_or_b32 exec_lo, exec_lo, s7
	v_mov_b32_e32 v23, s8
	s_and_saveexec_b32 s7, s6
.LBB53_51:
	v_lshrrev_b32_e32 v23, 24, v24
	s_delay_alu instid0(VALU_DEP_1)
	v_and_or_b32 v23, 0x80, v23, v25
.LBB53_52:
	s_or_b32 exec_lo, exec_lo, s7
.LBB53_53:
	s_delay_alu instid0(SALU_CYCLE_1) | instskip(SKIP_2) | instid1(VALU_DEP_1)
	s_or_b32 exec_lo, exec_lo, s3
	v_lshlrev_b32_e32 v22, 16, v22
	s_mov_b32 s3, exec_lo
	v_mul_f32_e32 v22, v9, v22
	s_delay_alu instid0(VALU_DEP_1) | instskip(NEXT) | instid1(VALU_DEP_1)
	v_maxmin_f32 v22, v22, v10, v11
	v_and_b32_e32 v24, 0x7fffffff, v22
	s_delay_alu instid0(VALU_DEP_1)
	v_cmpx_gt_u32_e32 0x43800000, v24
	s_cbranch_execz .LBB53_59
; %bb.54:
	v_cmp_lt_u32_e32 vcc_lo, 0x3bffffff, v24
	s_mov_b32 s6, 0
                                        ; implicit-def: $vgpr24
	s_and_saveexec_b32 s7, vcc_lo
	s_delay_alu instid0(SALU_CYCLE_1)
	s_xor_b32 s7, exec_lo, s7
	s_cbranch_execnz .LBB53_125
; %bb.55:
	s_or_saveexec_b32 s7, s7
                                        ; implicit-def: $sgpr8
	s_delay_alu instid0(SALU_CYCLE_1)
	s_xor_b32 exec_lo, exec_lo, s7
	s_cbranch_execnz .LBB53_126
.LBB53_56:
	s_or_b32 exec_lo, exec_lo, s7
	v_mov_b32_e32 v7, s8
	s_and_saveexec_b32 s7, s6
.LBB53_57:
	v_lshrrev_b32_e32 v7, 24, v22
	s_delay_alu instid0(VALU_DEP_1)
	v_and_or_b32 v7, 0x80, v7, v24
.LBB53_58:
	s_or_b32 exec_lo, exec_lo, s7
.LBB53_59:
	s_delay_alu instid0(SALU_CYCLE_1) | instskip(SKIP_3) | instid1(VALU_DEP_2)
	s_or_b32 exec_lo, exec_lo, s3
	v_lshlrev_b32_e32 v0, 16, v0
	v_mov_b32_e32 v22, 0x80
	s_mov_b32 s3, exec_lo
	v_mul_f32_e32 v0, v9, v0
	s_delay_alu instid0(VALU_DEP_1) | instskip(SKIP_1) | instid1(VALU_DEP_2)
	v_maxmin_f32 v24, v0, v10, v11
	v_mov_b32_e32 v0, 0x80
	v_and_b32_e32 v25, 0x7fffffff, v24
	s_delay_alu instid0(VALU_DEP_1)
	v_cmpx_gt_u32_e32 0x43800000, v25
	s_cbranch_execz .LBB53_65
; %bb.60:
	v_cmp_lt_u32_e32 vcc_lo, 0x3bffffff, v25
	s_mov_b32 s6, 0
                                        ; implicit-def: $vgpr25
	s_and_saveexec_b32 s7, vcc_lo
	s_delay_alu instid0(SALU_CYCLE_1)
	s_xor_b32 s7, exec_lo, s7
	s_cbranch_execnz .LBB53_127
; %bb.61:
	s_or_saveexec_b32 s7, s7
                                        ; implicit-def: $sgpr8
	s_delay_alu instid0(SALU_CYCLE_1)
	s_xor_b32 exec_lo, exec_lo, s7
	s_cbranch_execnz .LBB53_128
.LBB53_62:
	s_or_b32 exec_lo, exec_lo, s7
	v_mov_b32_e32 v0, s8
	s_and_saveexec_b32 s7, s6
.LBB53_63:
	v_lshrrev_b32_e32 v0, 24, v24
	s_delay_alu instid0(VALU_DEP_1)
	v_and_or_b32 v0, 0x80, v0, v25
.LBB53_64:
	s_or_b32 exec_lo, exec_lo, s7
.LBB53_65:
	s_delay_alu instid0(SALU_CYCLE_1) | instskip(SKIP_2) | instid1(VALU_DEP_1)
	s_or_b32 exec_lo, exec_lo, s3
	v_lshlrev_b32_e32 v20, 16, v20
	s_mov_b32 s3, exec_lo
	v_mul_f32_e32 v20, v9, v20
	s_delay_alu instid0(VALU_DEP_1) | instskip(NEXT) | instid1(VALU_DEP_1)
	v_maxmin_f32 v20, v20, v10, v11
	v_and_b32_e32 v24, 0x7fffffff, v20
	s_delay_alu instid0(VALU_DEP_1)
	v_cmpx_gt_u32_e32 0x43800000, v24
	s_cbranch_execz .LBB53_71
; %bb.66:
	v_cmp_lt_u32_e32 vcc_lo, 0x3bffffff, v24
	s_mov_b32 s6, 0
                                        ; implicit-def: $vgpr24
	s_and_saveexec_b32 s7, vcc_lo
	s_delay_alu instid0(SALU_CYCLE_1)
	s_xor_b32 s7, exec_lo, s7
	s_cbranch_execnz .LBB53_129
; %bb.67:
	s_or_saveexec_b32 s7, s7
                                        ; implicit-def: $sgpr8
	s_delay_alu instid0(SALU_CYCLE_1)
	s_xor_b32 exec_lo, exec_lo, s7
	s_cbranch_execnz .LBB53_130
.LBB53_68:
	s_or_b32 exec_lo, exec_lo, s7
	v_mov_b32_e32 v22, s8
	s_and_saveexec_b32 s7, s6
.LBB53_69:
	v_lshrrev_b32_e32 v20, 24, v20
	s_delay_alu instid0(VALU_DEP_1)
	v_and_or_b32 v22, 0x80, v20, v24
.LBB53_70:
	s_or_b32 exec_lo, exec_lo, s7
.LBB53_71:
	s_delay_alu instid0(SALU_CYCLE_1) | instskip(SKIP_2) | instid1(VALU_DEP_1)
	s_or_b32 exec_lo, exec_lo, s3
	v_lshlrev_b32_e32 v1, 16, v1
	s_mov_b32 s3, exec_lo
	v_mul_f32_e32 v1, v9, v1
	s_delay_alu instid0(VALU_DEP_1) | instskip(SKIP_1) | instid1(VALU_DEP_2)
	v_maxmin_f32 v20, v1, v10, v11
	v_mov_b32_e32 v1, 0x800000
	v_and_b32_e32 v24, 0x7fffffff, v20
	s_delay_alu instid0(VALU_DEP_1)
	v_cmpx_gt_u32_e32 0x43800000, v24
	s_cbranch_execz .LBB53_77
; %bb.72:
	v_cmp_lt_u32_e32 vcc_lo, 0x3bffffff, v24
	s_mov_b32 s6, 0
                                        ; implicit-def: $vgpr24
	s_and_saveexec_b32 s7, vcc_lo
	s_delay_alu instid0(SALU_CYCLE_1)
	s_xor_b32 s7, exec_lo, s7
	s_cbranch_execnz .LBB53_131
; %bb.73:
	s_or_saveexec_b32 s7, s7
                                        ; implicit-def: $sgpr8
	s_delay_alu instid0(SALU_CYCLE_1)
	s_xor_b32 exec_lo, exec_lo, s7
	s_cbranch_execnz .LBB53_132
.LBB53_74:
	s_or_b32 exec_lo, exec_lo, s7
	v_mov_b32_e32 v1, s8
	s_and_saveexec_b32 s7, s6
.LBB53_75:
	v_lshrrev_b32_e32 v1, 24, v20
	s_delay_alu instid0(VALU_DEP_1) | instskip(NEXT) | instid1(VALU_DEP_1)
	v_and_or_b32 v1, 0x80, v1, v24
	v_lshlrev_b32_e32 v1, 16, v1
	s_delay_alu instid0(VALU_DEP_1)
	v_and_b32_e32 v1, 0xff0000, v1
.LBB53_76:
	s_or_b32 exec_lo, exec_lo, s7
.LBB53_77:
	s_delay_alu instid0(SALU_CYCLE_1) | instskip(SKIP_2) | instid1(VALU_DEP_1)
	s_or_b32 exec_lo, exec_lo, s3
	v_lshlrev_b32_e32 v18, 16, v18
	s_mov_b32 s3, exec_lo
	v_mul_f32_e32 v18, v9, v18
	s_delay_alu instid0(VALU_DEP_1) | instskip(SKIP_1) | instid1(VALU_DEP_2)
	v_maxmin_f32 v20, v18, v10, v11
	v_bfrev_b32_e32 v18, 1
	v_and_b32_e32 v24, 0x7fffffff, v20
	s_delay_alu instid0(VALU_DEP_1)
	v_cmpx_gt_u32_e32 0x43800000, v24
	s_cbranch_execz .LBB53_83
; %bb.78:
	v_cmp_lt_u32_e32 vcc_lo, 0x3bffffff, v24
	s_mov_b32 s6, 0
                                        ; implicit-def: $vgpr24
	s_and_saveexec_b32 s7, vcc_lo
	s_delay_alu instid0(SALU_CYCLE_1)
	s_xor_b32 s7, exec_lo, s7
	s_cbranch_execnz .LBB53_133
; %bb.79:
	s_or_saveexec_b32 s7, s7
                                        ; implicit-def: $sgpr8
	s_delay_alu instid0(SALU_CYCLE_1)
	s_xor_b32 exec_lo, exec_lo, s7
	s_cbranch_execnz .LBB53_134
.LBB53_80:
	s_or_b32 exec_lo, exec_lo, s7
	v_mov_b32_e32 v18, s8
	s_and_saveexec_b32 s7, s6
.LBB53_81:
	v_lshlrev_b32_e32 v18, 24, v24
	s_delay_alu instid0(VALU_DEP_1)
	v_and_or_b32 v18, 0x80000000, v20, v18
.LBB53_82:
	s_or_b32 exec_lo, exec_lo, s7
.LBB53_83:
	s_delay_alu instid0(SALU_CYCLE_1) | instskip(SKIP_2) | instid1(VALU_DEP_1)
	s_or_b32 exec_lo, exec_lo, s3
	v_lshlrev_b32_e32 v2, 16, v2
	s_mov_b32 s3, exec_lo
	v_mul_f32_e32 v2, v9, v2
	s_delay_alu instid0(VALU_DEP_1) | instskip(SKIP_1) | instid1(VALU_DEP_2)
	v_maxmin_f32 v20, v2, v10, v11
	v_mov_b32_e32 v2, 0x80
	v_and_b32_e32 v24, 0x7fffffff, v20
	s_delay_alu instid0(VALU_DEP_1)
	v_cmpx_gt_u32_e32 0x43800000, v24
	s_cbranch_execz .LBB53_89
; %bb.84:
	v_cmp_lt_u32_e32 vcc_lo, 0x3bffffff, v24
	s_mov_b32 s6, 0
                                        ; implicit-def: $vgpr24
	s_and_saveexec_b32 s7, vcc_lo
	s_delay_alu instid0(SALU_CYCLE_1)
	s_xor_b32 s7, exec_lo, s7
	s_cbranch_execnz .LBB53_135
; %bb.85:
	s_or_saveexec_b32 s7, s7
                                        ; implicit-def: $sgpr8
	s_delay_alu instid0(SALU_CYCLE_1)
	s_xor_b32 exec_lo, exec_lo, s7
	s_cbranch_execnz .LBB53_136
.LBB53_86:
	s_or_b32 exec_lo, exec_lo, s7
	v_mov_b32_e32 v2, s8
	s_and_saveexec_b32 s7, s6
.LBB53_87:
	v_lshrrev_b32_e32 v2, 24, v20
	s_delay_alu instid0(VALU_DEP_1)
	v_and_or_b32 v2, 0x80, v2, v24
.LBB53_88:
	s_or_b32 exec_lo, exec_lo, s7
.LBB53_89:
	s_delay_alu instid0(SALU_CYCLE_1) | instskip(SKIP_2) | instid1(VALU_DEP_1)
	s_or_b32 exec_lo, exec_lo, s3
	v_lshlrev_b32_e32 v17, 16, v17
	s_mov_b32 s3, exec_lo
	v_mul_f32_e32 v17, v9, v17
	s_delay_alu instid0(VALU_DEP_1) | instskip(SKIP_1) | instid1(VALU_DEP_2)
	v_maxmin_f32 v20, v17, v10, v11
	v_mov_b32_e32 v17, 0x8000
	v_and_b32_e32 v24, 0x7fffffff, v20
	s_delay_alu instid0(VALU_DEP_1)
	v_cmpx_gt_u32_e32 0x43800000, v24
	s_cbranch_execz .LBB53_95
; %bb.90:
	v_cmp_lt_u32_e32 vcc_lo, 0x3bffffff, v24
	s_mov_b32 s6, 0
                                        ; implicit-def: $vgpr24
	s_and_saveexec_b32 s7, vcc_lo
	s_delay_alu instid0(SALU_CYCLE_1)
	s_xor_b32 s7, exec_lo, s7
	s_cbranch_execnz .LBB53_137
; %bb.91:
	s_or_saveexec_b32 s7, s7
                                        ; implicit-def: $sgpr8
	s_delay_alu instid0(SALU_CYCLE_1)
	s_xor_b32 exec_lo, exec_lo, s7
	s_cbranch_execnz .LBB53_138
.LBB53_92:
	s_or_b32 exec_lo, exec_lo, s7
	v_mov_b32_e32 v17, s8
	s_and_saveexec_b32 s7, s6
.LBB53_93:
	v_lshrrev_b32_e32 v17, 24, v20
	s_delay_alu instid0(VALU_DEP_1) | instskip(NEXT) | instid1(VALU_DEP_1)
	v_and_or_b32 v17, 0x80, v17, v24
	v_lshlrev_b32_e32 v17, 8, v17
.LBB53_94:
	s_or_b32 exec_lo, exec_lo, s7
.LBB53_95:
	s_delay_alu instid0(SALU_CYCLE_1) | instskip(SKIP_2) | instid1(VALU_DEP_1)
	s_or_b32 exec_lo, exec_lo, s3
	v_lshlrev_b32_e32 v3, 16, v3
	s_mov_b32 s3, exec_lo
	v_mul_f32_e32 v3, v9, v3
	s_delay_alu instid0(VALU_DEP_1) | instskip(SKIP_1) | instid1(VALU_DEP_2)
	v_maxmin_f32 v20, v3, v10, v11
	v_mov_b32_e32 v3, 0x800000
	v_and_b32_e32 v24, 0x7fffffff, v20
	s_delay_alu instid0(VALU_DEP_1)
	v_cmpx_gt_u32_e32 0x43800000, v24
	s_cbranch_execz .LBB53_101
; %bb.96:
	v_cmp_lt_u32_e32 vcc_lo, 0x3bffffff, v24
	s_mov_b32 s6, 0
                                        ; implicit-def: $vgpr24
	s_and_saveexec_b32 s7, vcc_lo
	s_delay_alu instid0(SALU_CYCLE_1)
	s_xor_b32 s7, exec_lo, s7
	s_cbranch_execnz .LBB53_139
; %bb.97:
	s_or_saveexec_b32 s7, s7
                                        ; implicit-def: $sgpr8
	s_delay_alu instid0(SALU_CYCLE_1)
	s_xor_b32 exec_lo, exec_lo, s7
	s_cbranch_execnz .LBB53_140
.LBB53_98:
	s_or_b32 exec_lo, exec_lo, s7
	v_mov_b32_e32 v3, s8
	s_and_saveexec_b32 s7, s6
.LBB53_99:
	v_lshrrev_b32_e32 v3, 24, v20
	s_delay_alu instid0(VALU_DEP_1) | instskip(NEXT) | instid1(VALU_DEP_1)
	v_and_or_b32 v3, 0x80, v3, v24
	v_lshlrev_b32_e32 v3, 16, v3
.LBB53_100:
	s_or_b32 exec_lo, exec_lo, s7
.LBB53_101:
	s_delay_alu instid0(SALU_CYCLE_1) | instskip(SKIP_2) | instid1(VALU_DEP_1)
	s_or_b32 exec_lo, exec_lo, s3
	v_lshlrev_b32_e32 v14, 16, v14
	s_mov_b32 s3, exec_lo
	v_mul_f32_e32 v9, v9, v14
	s_delay_alu instid0(VALU_DEP_1) | instskip(SKIP_1) | instid1(VALU_DEP_2)
	v_maxmin_f32 v9, v9, v10, v11
	v_bfrev_b32_e32 v11, 1
	v_and_b32_e32 v10, 0x7fffffff, v9
	s_delay_alu instid0(VALU_DEP_1)
	v_cmpx_gt_u32_e32 0x43800000, v10
	s_cbranch_execz .LBB53_107
; %bb.102:
	v_cmp_lt_u32_e32 vcc_lo, 0x3bffffff, v10
	s_mov_b32 s6, 0
                                        ; implicit-def: $vgpr10
	s_and_saveexec_b32 s7, vcc_lo
	s_delay_alu instid0(SALU_CYCLE_1)
	s_xor_b32 s7, exec_lo, s7
	s_cbranch_execnz .LBB53_141
; %bb.103:
	s_or_saveexec_b32 s7, s7
                                        ; implicit-def: $sgpr8
	s_delay_alu instid0(SALU_CYCLE_1)
	s_xor_b32 exec_lo, exec_lo, s7
	s_cbranch_execnz .LBB53_142
.LBB53_104:
	s_or_b32 exec_lo, exec_lo, s7
	v_mov_b32_e32 v11, s8
	s_and_saveexec_b32 s7, s6
.LBB53_105:
	v_lshlrev_b32_e32 v10, 24, v10
	s_delay_alu instid0(VALU_DEP_1)
	v_and_or_b32 v11, 0x80000000, v9, v10
.LBB53_106:
	s_or_b32 exec_lo, exec_lo, s7
.LBB53_107:
	s_delay_alu instid0(SALU_CYCLE_1)
	s_or_b32 exec_lo, exec_lo, s3
	v_lshlrev_b32_e32 v9, 8, v21
	v_lshlrev_b32_e32 v8, 8, v8
	;; [unrolled: 1-line block ×5, first 2 shown]
	v_perm_b32 v6, v9, v6, 0xc0c0500
	v_perm_b32 v4, v8, v4, 0xc0c0500
	;; [unrolled: 1-line block ×3, first 2 shown]
	v_or_b32_e32 v2, v17, v2
	s_or_b32 s5, s5, exec_lo
	v_and_or_b32 v6, 0xff0000, v14, v6
	v_and_or_b32 v4, 0xff0000, v19, v4
	v_or3_b32 v10, v1, v0, v18
	v_or3_b32 v11, v3, v2, v11
	s_delay_alu instid0(VALU_DEP_4) | instskip(NEXT) | instid1(VALU_DEP_4)
	v_lshl_or_b32 v9, v7, 24, v6
	v_lshl_or_b32 v8, v5, 24, v4
.LBB53_108:
	s_or_b32 exec_lo, exec_lo, s2
	s_delay_alu instid0(SALU_CYCLE_1)
	s_and_b32 exec_lo, exec_lo, s5
	s_cbranch_execz .LBB53_110
; %bb.109:
	s_load_b64 s[0:1], s[0:1], 0x8
	v_lshlrev_b32_e32 v2, 7, v12
	v_alignbit_b32 v0, v16, v12, 25
	s_ashr_i32 s2, s4, 31
	s_delay_alu instid0(VALU_DEP_2) | instid1(SALU_CYCLE_1)
	v_mul_lo_u32 v3, v2, s2
	s_delay_alu instid0(VALU_DEP_2) | instskip(SKIP_3) | instid1(VALU_DEP_2)
	v_mul_lo_u32 v4, v0, s4
	s_waitcnt lgkmcnt(0)
	v_mad_u64_u32 v[0:1], null, v2, s4, s[0:1]
	v_ashrrev_i32_e32 v2, 31, v13
	v_add3_u32 v1, v4, v1, v3
	v_lshlrev_b32_e32 v3, 4, v15
	s_delay_alu instid0(VALU_DEP_4) | instskip(NEXT) | instid1(VALU_DEP_3)
	v_add_co_u32 v0, vcc_lo, v0, v13
	v_add_co_ci_u32_e32 v1, vcc_lo, v1, v2, vcc_lo
	s_delay_alu instid0(VALU_DEP_2) | instskip(NEXT) | instid1(VALU_DEP_2)
	v_add_co_u32 v0, vcc_lo, v0, v3
	v_add_co_ci_u32_e32 v1, vcc_lo, 0, v1, vcc_lo
	global_store_b128 v[0:1], v[8:11], off
.LBB53_110:
	s_nop 0
	s_sendmsg sendmsg(MSG_DEALLOC_VGPRS)
	s_endpgm
.LBB53_111:
	v_bfe_u32 v4, v24, 20, 1
	s_mov_b32 s6, exec_lo
	s_delay_alu instid0(VALU_DEP_1) | instskip(NEXT) | instid1(VALU_DEP_1)
	v_add3_u32 v4, v24, v4, 0x487ffff
	v_lshrrev_b32_e32 v25, 20, v4
	s_or_saveexec_b32 s7, s7
                                        ; implicit-def: $sgpr8
	s_delay_alu instid0(SALU_CYCLE_1)
	s_xor_b32 exec_lo, exec_lo, s7
	s_cbranch_execz .LBB53_14
.LBB53_112:
	v_add_f32_e64 v4, 0x46000000, |v24|
	s_and_not1_b32 s6, s6, exec_lo
	s_mov_b32 s8, 0
	s_delay_alu instid0(VALU_DEP_1) | instskip(NEXT) | instid1(VALU_DEP_1)
	v_and_b32_e32 v25, 0xff, v4
	v_cmp_ne_u32_e32 vcc_lo, 0, v25
	s_and_b32 s9, vcc_lo, exec_lo
	s_delay_alu instid0(SALU_CYCLE_1)
	s_or_b32 s6, s6, s9
	s_or_b32 exec_lo, exec_lo, s7
	v_mov_b32_e32 v4, s8
	s_and_saveexec_b32 s7, s6
	s_cbranch_execnz .LBB53_15
	s_branch .LBB53_16
.LBB53_113:
	v_bfe_u32 v8, v19, 20, 1
	s_mov_b32 s6, exec_lo
	s_delay_alu instid0(VALU_DEP_1) | instskip(NEXT) | instid1(VALU_DEP_1)
	v_add3_u32 v8, v19, v8, 0x487ffff
	v_lshrrev_b32_e32 v24, 20, v8
	s_or_saveexec_b32 s7, s7
                                        ; implicit-def: $sgpr8
	s_delay_alu instid0(SALU_CYCLE_1)
	s_xor_b32 exec_lo, exec_lo, s7
	s_cbranch_execz .LBB53_20
.LBB53_114:
	v_add_f32_e64 v8, 0x46000000, |v19|
	s_and_not1_b32 s6, s6, exec_lo
	s_mov_b32 s8, 0
	s_delay_alu instid0(VALU_DEP_1) | instskip(NEXT) | instid1(VALU_DEP_1)
	v_and_b32_e32 v24, 0xff, v8
	v_cmp_ne_u32_e32 vcc_lo, 0, v24
	s_and_b32 s9, vcc_lo, exec_lo
	s_delay_alu instid0(SALU_CYCLE_1)
	s_or_b32 s6, s6, s9
	s_or_b32 exec_lo, exec_lo, s7
	v_mov_b32_e32 v8, s8
	s_and_saveexec_b32 s7, s6
	s_cbranch_execnz .LBB53_21
	s_branch .LBB53_22
.LBB53_115:
	v_bfe_u32 v19, v24, 20, 1
	s_mov_b32 s6, exec_lo
	s_delay_alu instid0(VALU_DEP_1) | instskip(NEXT) | instid1(VALU_DEP_1)
	v_add3_u32 v19, v24, v19, 0x487ffff
	v_lshrrev_b32_e32 v25, 20, v19
	s_or_saveexec_b32 s7, s7
                                        ; implicit-def: $sgpr8
	s_delay_alu instid0(SALU_CYCLE_1)
	s_xor_b32 exec_lo, exec_lo, s7
	s_cbranch_execz .LBB53_26
.LBB53_116:
	v_add_f32_e64 v19, 0x46000000, |v24|
	s_and_not1_b32 s6, s6, exec_lo
	s_mov_b32 s8, 0
	s_delay_alu instid0(VALU_DEP_1) | instskip(NEXT) | instid1(VALU_DEP_1)
	v_and_b32_e32 v25, 0xff, v19
	v_cmp_ne_u32_e32 vcc_lo, 0, v25
	s_and_b32 s9, vcc_lo, exec_lo
	s_delay_alu instid0(SALU_CYCLE_1)
	s_or_b32 s6, s6, s9
	s_or_b32 exec_lo, exec_lo, s7
	v_mov_b32_e32 v19, s8
	s_and_saveexec_b32 s7, s6
	s_cbranch_execnz .LBB53_27
	s_branch .LBB53_28
.LBB53_117:
	v_bfe_u32 v5, v21, 20, 1
	s_mov_b32 s6, exec_lo
	s_delay_alu instid0(VALU_DEP_1) | instskip(NEXT) | instid1(VALU_DEP_1)
	v_add3_u32 v5, v21, v5, 0x487ffff
	v_lshrrev_b32_e32 v24, 20, v5
	s_or_saveexec_b32 s7, s7
                                        ; implicit-def: $sgpr8
	s_delay_alu instid0(SALU_CYCLE_1)
	s_xor_b32 exec_lo, exec_lo, s7
	s_cbranch_execz .LBB53_32
.LBB53_118:
	v_add_f32_e64 v5, 0x46000000, |v21|
	s_and_not1_b32 s6, s6, exec_lo
	s_mov_b32 s8, 0
	s_delay_alu instid0(VALU_DEP_1) | instskip(NEXT) | instid1(VALU_DEP_1)
	v_and_b32_e32 v24, 0xff, v5
	v_cmp_ne_u32_e32 vcc_lo, 0, v24
	s_and_b32 s9, vcc_lo, exec_lo
	s_delay_alu instid0(SALU_CYCLE_1)
	s_or_b32 s6, s6, s9
	s_or_b32 exec_lo, exec_lo, s7
	v_mov_b32_e32 v5, s8
	s_and_saveexec_b32 s7, s6
	s_cbranch_execnz .LBB53_33
	s_branch .LBB53_34
.LBB53_119:
	v_bfe_u32 v6, v24, 20, 1
	s_mov_b32 s6, exec_lo
	s_delay_alu instid0(VALU_DEP_1) | instskip(NEXT) | instid1(VALU_DEP_1)
	v_add3_u32 v6, v24, v6, 0x487ffff
	v_lshrrev_b32_e32 v25, 20, v6
	s_or_saveexec_b32 s7, s7
                                        ; implicit-def: $sgpr8
	s_delay_alu instid0(SALU_CYCLE_1)
	s_xor_b32 exec_lo, exec_lo, s7
	s_cbranch_execz .LBB53_38
.LBB53_120:
	v_add_f32_e64 v6, 0x46000000, |v24|
	s_and_not1_b32 s6, s6, exec_lo
	s_mov_b32 s8, 0
	s_delay_alu instid0(VALU_DEP_1) | instskip(NEXT) | instid1(VALU_DEP_1)
	v_and_b32_e32 v25, 0xff, v6
	v_cmp_ne_u32_e32 vcc_lo, 0, v25
	s_and_b32 s9, vcc_lo, exec_lo
	s_delay_alu instid0(SALU_CYCLE_1)
	s_or_b32 s6, s6, s9
	s_or_b32 exec_lo, exec_lo, s7
	v_mov_b32_e32 v6, s8
	s_and_saveexec_b32 s7, s6
	s_cbranch_execnz .LBB53_39
	s_branch .LBB53_40
.LBB53_121:
	v_bfe_u32 v21, v23, 20, 1
	s_mov_b32 s6, exec_lo
	s_delay_alu instid0(VALU_DEP_1) | instskip(NEXT) | instid1(VALU_DEP_1)
	v_add3_u32 v21, v23, v21, 0x487ffff
	v_lshrrev_b32_e32 v24, 20, v21
	s_or_saveexec_b32 s7, s7
                                        ; implicit-def: $sgpr8
	s_delay_alu instid0(SALU_CYCLE_1)
	s_xor_b32 exec_lo, exec_lo, s7
	s_cbranch_execz .LBB53_44
.LBB53_122:
	v_add_f32_e64 v21, 0x46000000, |v23|
	s_and_not1_b32 s6, s6, exec_lo
	s_mov_b32 s8, 0
	s_delay_alu instid0(VALU_DEP_1) | instskip(NEXT) | instid1(VALU_DEP_1)
	v_and_b32_e32 v24, 0xff, v21
	v_cmp_ne_u32_e32 vcc_lo, 0, v24
	s_and_b32 s9, vcc_lo, exec_lo
	s_delay_alu instid0(SALU_CYCLE_1)
	s_or_b32 s6, s6, s9
	s_or_b32 exec_lo, exec_lo, s7
	v_mov_b32_e32 v21, s8
	s_and_saveexec_b32 s7, s6
	s_cbranch_execnz .LBB53_45
	s_branch .LBB53_46
.LBB53_123:
	v_bfe_u32 v23, v24, 20, 1
	s_mov_b32 s6, exec_lo
	s_delay_alu instid0(VALU_DEP_1) | instskip(NEXT) | instid1(VALU_DEP_1)
	v_add3_u32 v23, v24, v23, 0x487ffff
	v_lshrrev_b32_e32 v25, 20, v23
	s_or_saveexec_b32 s7, s7
                                        ; implicit-def: $sgpr8
	s_delay_alu instid0(SALU_CYCLE_1)
	s_xor_b32 exec_lo, exec_lo, s7
	s_cbranch_execz .LBB53_50
.LBB53_124:
	v_add_f32_e64 v23, 0x46000000, |v24|
	s_and_not1_b32 s6, s6, exec_lo
	s_mov_b32 s8, 0
	s_delay_alu instid0(VALU_DEP_1) | instskip(NEXT) | instid1(VALU_DEP_1)
	v_and_b32_e32 v25, 0xff, v23
	v_cmp_ne_u32_e32 vcc_lo, 0, v25
	s_and_b32 s9, vcc_lo, exec_lo
	s_delay_alu instid0(SALU_CYCLE_1)
	s_or_b32 s6, s6, s9
	s_or_b32 exec_lo, exec_lo, s7
	v_mov_b32_e32 v23, s8
	s_and_saveexec_b32 s7, s6
	s_cbranch_execnz .LBB53_51
	s_branch .LBB53_52
.LBB53_125:
	v_bfe_u32 v7, v22, 20, 1
	s_mov_b32 s6, exec_lo
	s_delay_alu instid0(VALU_DEP_1) | instskip(NEXT) | instid1(VALU_DEP_1)
	v_add3_u32 v7, v22, v7, 0x487ffff
	v_lshrrev_b32_e32 v24, 20, v7
	s_or_saveexec_b32 s7, s7
                                        ; implicit-def: $sgpr8
	s_delay_alu instid0(SALU_CYCLE_1)
	s_xor_b32 exec_lo, exec_lo, s7
	s_cbranch_execz .LBB53_56
.LBB53_126:
	v_add_f32_e64 v7, 0x46000000, |v22|
	s_and_not1_b32 s6, s6, exec_lo
	s_mov_b32 s8, 0
	s_delay_alu instid0(VALU_DEP_1) | instskip(NEXT) | instid1(VALU_DEP_1)
	v_and_b32_e32 v24, 0xff, v7
	v_cmp_ne_u32_e32 vcc_lo, 0, v24
	s_and_b32 s9, vcc_lo, exec_lo
	s_delay_alu instid0(SALU_CYCLE_1)
	s_or_b32 s6, s6, s9
	s_or_b32 exec_lo, exec_lo, s7
	v_mov_b32_e32 v7, s8
	s_and_saveexec_b32 s7, s6
	s_cbranch_execnz .LBB53_57
	s_branch .LBB53_58
.LBB53_127:
	v_bfe_u32 v0, v24, 20, 1
	s_mov_b32 s6, exec_lo
	s_delay_alu instid0(VALU_DEP_1) | instskip(NEXT) | instid1(VALU_DEP_1)
	v_add3_u32 v0, v24, v0, 0x487ffff
	v_lshrrev_b32_e32 v25, 20, v0
	s_or_saveexec_b32 s7, s7
                                        ; implicit-def: $sgpr8
	s_delay_alu instid0(SALU_CYCLE_1)
	s_xor_b32 exec_lo, exec_lo, s7
	s_cbranch_execz .LBB53_62
.LBB53_128:
	v_add_f32_e64 v0, 0x46000000, |v24|
	s_and_not1_b32 s6, s6, exec_lo
	s_mov_b32 s8, 0
	s_delay_alu instid0(VALU_DEP_1) | instskip(NEXT) | instid1(VALU_DEP_1)
	v_and_b32_e32 v25, 0xff, v0
	v_cmp_ne_u32_e32 vcc_lo, 0, v25
	s_and_b32 s9, vcc_lo, exec_lo
	s_delay_alu instid0(SALU_CYCLE_1)
	s_or_b32 s6, s6, s9
	s_or_b32 exec_lo, exec_lo, s7
	v_mov_b32_e32 v0, s8
	s_and_saveexec_b32 s7, s6
	s_cbranch_execnz .LBB53_63
	s_branch .LBB53_64
.LBB53_129:
	v_bfe_u32 v22, v20, 20, 1
	s_mov_b32 s6, exec_lo
	s_delay_alu instid0(VALU_DEP_1) | instskip(NEXT) | instid1(VALU_DEP_1)
	v_add3_u32 v22, v20, v22, 0x487ffff
	v_lshrrev_b32_e32 v24, 20, v22
	s_or_saveexec_b32 s7, s7
                                        ; implicit-def: $sgpr8
	s_delay_alu instid0(SALU_CYCLE_1)
	s_xor_b32 exec_lo, exec_lo, s7
	s_cbranch_execz .LBB53_68
.LBB53_130:
	v_add_f32_e64 v22, 0x46000000, |v20|
	s_and_not1_b32 s6, s6, exec_lo
	s_mov_b32 s8, 0
	s_delay_alu instid0(VALU_DEP_1) | instskip(NEXT) | instid1(VALU_DEP_1)
	v_and_b32_e32 v24, 0xff, v22
	v_cmp_ne_u32_e32 vcc_lo, 0, v24
	s_and_b32 s9, vcc_lo, exec_lo
	s_delay_alu instid0(SALU_CYCLE_1)
	s_or_b32 s6, s6, s9
	s_or_b32 exec_lo, exec_lo, s7
	v_mov_b32_e32 v22, s8
	s_and_saveexec_b32 s7, s6
	s_cbranch_execnz .LBB53_69
	s_branch .LBB53_70
.LBB53_131:
	v_bfe_u32 v1, v20, 20, 1
	s_mov_b32 s6, exec_lo
	s_delay_alu instid0(VALU_DEP_1) | instskip(NEXT) | instid1(VALU_DEP_1)
	v_add3_u32 v1, v20, v1, 0x487ffff
	v_lshrrev_b32_e32 v24, 20, v1
	s_or_saveexec_b32 s7, s7
                                        ; implicit-def: $sgpr8
	s_delay_alu instid0(SALU_CYCLE_1)
	s_xor_b32 exec_lo, exec_lo, s7
	s_cbranch_execz .LBB53_74
.LBB53_132:
	v_add_f32_e64 v1, 0x46000000, |v20|
	s_and_not1_b32 s6, s6, exec_lo
	s_mov_b32 s8, 0
	s_delay_alu instid0(VALU_DEP_1) | instskip(NEXT) | instid1(VALU_DEP_1)
	v_and_b32_e32 v24, 0xff, v1
	v_cmp_ne_u32_e32 vcc_lo, 0, v24
	s_and_b32 s9, vcc_lo, exec_lo
	s_delay_alu instid0(SALU_CYCLE_1)
	s_or_b32 s6, s6, s9
	s_or_b32 exec_lo, exec_lo, s7
	v_mov_b32_e32 v1, s8
	s_and_saveexec_b32 s7, s6
	s_cbranch_execnz .LBB53_75
	s_branch .LBB53_76
.LBB53_133:
	v_bfe_u32 v18, v20, 20, 1
	s_mov_b32 s6, exec_lo
	s_delay_alu instid0(VALU_DEP_1) | instskip(NEXT) | instid1(VALU_DEP_1)
	v_add3_u32 v18, v20, v18, 0x487ffff
	v_lshrrev_b32_e32 v24, 20, v18
	s_or_saveexec_b32 s7, s7
                                        ; implicit-def: $sgpr8
	s_delay_alu instid0(SALU_CYCLE_1)
	s_xor_b32 exec_lo, exec_lo, s7
	s_cbranch_execz .LBB53_80
.LBB53_134:
	v_add_f32_e64 v18, 0x46000000, |v20|
	s_and_not1_b32 s6, s6, exec_lo
	s_mov_b32 s8, 0
	s_delay_alu instid0(VALU_DEP_1) | instskip(NEXT) | instid1(VALU_DEP_1)
	v_and_b32_e32 v24, 0xff, v18
	v_cmp_ne_u32_e32 vcc_lo, 0, v24
	s_and_b32 s9, vcc_lo, exec_lo
	s_delay_alu instid0(SALU_CYCLE_1)
	s_or_b32 s6, s6, s9
	s_or_b32 exec_lo, exec_lo, s7
	v_mov_b32_e32 v18, s8
	s_and_saveexec_b32 s7, s6
	s_cbranch_execnz .LBB53_81
	s_branch .LBB53_82
.LBB53_135:
	v_bfe_u32 v2, v20, 20, 1
	s_mov_b32 s6, exec_lo
	s_delay_alu instid0(VALU_DEP_1) | instskip(NEXT) | instid1(VALU_DEP_1)
	v_add3_u32 v2, v20, v2, 0x487ffff
	v_bfe_u32 v24, v2, 20, 8
	s_or_saveexec_b32 s7, s7
                                        ; implicit-def: $sgpr8
	s_delay_alu instid0(SALU_CYCLE_1)
	s_xor_b32 exec_lo, exec_lo, s7
	s_cbranch_execz .LBB53_86
.LBB53_136:
	v_add_f32_e64 v2, 0x46000000, |v20|
	s_and_not1_b32 s6, s6, exec_lo
	s_mov_b32 s8, 0
	s_delay_alu instid0(VALU_DEP_1) | instskip(NEXT) | instid1(VALU_DEP_1)
	v_and_b32_e32 v24, 0xff, v2
	v_cmp_ne_u32_e32 vcc_lo, 0, v24
	s_and_b32 s9, vcc_lo, exec_lo
	s_delay_alu instid0(SALU_CYCLE_1)
	s_or_b32 s6, s6, s9
	s_or_b32 exec_lo, exec_lo, s7
	v_mov_b32_e32 v2, s8
	s_and_saveexec_b32 s7, s6
	s_cbranch_execnz .LBB53_87
	s_branch .LBB53_88
.LBB53_137:
	v_bfe_u32 v17, v20, 20, 1
	s_mov_b32 s6, exec_lo
	s_delay_alu instid0(VALU_DEP_1) | instskip(NEXT) | instid1(VALU_DEP_1)
	v_add3_u32 v17, v20, v17, 0x487ffff
	v_bfe_u32 v24, v17, 20, 8
	s_or_saveexec_b32 s7, s7
                                        ; implicit-def: $sgpr8
	s_delay_alu instid0(SALU_CYCLE_1)
	s_xor_b32 exec_lo, exec_lo, s7
	s_cbranch_execz .LBB53_92
.LBB53_138:
	v_add_f32_e64 v17, 0x46000000, |v20|
	s_and_not1_b32 s6, s6, exec_lo
	s_mov_b32 s8, 0
	s_delay_alu instid0(VALU_DEP_1) | instskip(NEXT) | instid1(VALU_DEP_1)
	v_and_b32_e32 v24, 0xff, v17
	v_cmp_ne_u32_e32 vcc_lo, 0, v24
	s_and_b32 s9, vcc_lo, exec_lo
	s_delay_alu instid0(SALU_CYCLE_1)
	s_or_b32 s6, s6, s9
	s_or_b32 exec_lo, exec_lo, s7
	v_mov_b32_e32 v17, s8
	s_and_saveexec_b32 s7, s6
	s_cbranch_execnz .LBB53_93
	s_branch .LBB53_94
.LBB53_139:
	v_bfe_u32 v3, v20, 20, 1
	s_mov_b32 s6, exec_lo
	s_delay_alu instid0(VALU_DEP_1) | instskip(NEXT) | instid1(VALU_DEP_1)
	v_add3_u32 v3, v20, v3, 0x487ffff
	v_bfe_u32 v24, v3, 20, 8
	s_or_saveexec_b32 s7, s7
                                        ; implicit-def: $sgpr8
	s_delay_alu instid0(SALU_CYCLE_1)
	s_xor_b32 exec_lo, exec_lo, s7
	s_cbranch_execz .LBB53_98
.LBB53_140:
	v_add_f32_e64 v3, 0x46000000, |v20|
	s_and_not1_b32 s6, s6, exec_lo
	s_mov_b32 s8, 0
	s_delay_alu instid0(VALU_DEP_1) | instskip(NEXT) | instid1(VALU_DEP_1)
	v_and_b32_e32 v24, 0xff, v3
	v_cmp_ne_u32_e32 vcc_lo, 0, v24
	s_and_b32 s9, vcc_lo, exec_lo
	s_delay_alu instid0(SALU_CYCLE_1)
	s_or_b32 s6, s6, s9
	s_or_b32 exec_lo, exec_lo, s7
	v_mov_b32_e32 v3, s8
	s_and_saveexec_b32 s7, s6
	s_cbranch_execnz .LBB53_99
	s_branch .LBB53_100
.LBB53_141:
	v_bfe_u32 v10, v9, 20, 1
	s_mov_b32 s6, exec_lo
	s_delay_alu instid0(VALU_DEP_1) | instskip(NEXT) | instid1(VALU_DEP_1)
	v_add3_u32 v10, v9, v10, 0x487ffff
	v_bfe_u32 v10, v10, 20, 8
	s_or_saveexec_b32 s7, s7
                                        ; implicit-def: $sgpr8
	s_delay_alu instid0(SALU_CYCLE_1)
	s_xor_b32 exec_lo, exec_lo, s7
	s_cbranch_execz .LBB53_104
.LBB53_142:
	v_add_f32_e64 v10, 0x46000000, |v9|
	s_and_not1_b32 s6, s6, exec_lo
	s_mov_b32 s8, 0
	s_delay_alu instid0(VALU_DEP_1) | instskip(NEXT) | instid1(VALU_DEP_1)
	v_and_b32_e32 v10, 0xff, v10
	v_cmp_ne_u32_e32 vcc_lo, 0, v10
	s_and_b32 s9, vcc_lo, exec_lo
	s_delay_alu instid0(SALU_CYCLE_1)
	s_or_b32 s6, s6, s9
	s_or_b32 exec_lo, exec_lo, s7
	v_mov_b32_e32 v11, s8
	s_and_saveexec_b32 s7, s6
	s_cbranch_execnz .LBB53_105
	s_branch .LBB53_106
	.section	.rodata,"a",@progbits
	.p2align	6, 0x0
	.amdhsa_kernel _Z49per_token_group_quant_8bit_packed_register_kernelIN3c108BFloat16ENS0_15Float8_e4m3fnuzELi128ELi4ELi4EEvPKT_PvPjiiiiilfff
		.amdhsa_group_segment_fixed_size 0
		.amdhsa_private_segment_fixed_size 0
		.amdhsa_kernarg_size 68
		.amdhsa_user_sgpr_count 14
		.amdhsa_user_sgpr_dispatch_ptr 0
		.amdhsa_user_sgpr_queue_ptr 0
		.amdhsa_user_sgpr_kernarg_segment_ptr 1
		.amdhsa_user_sgpr_dispatch_id 0
		.amdhsa_user_sgpr_private_segment_size 0
		.amdhsa_wavefront_size32 1
		.amdhsa_uses_dynamic_stack 0
		.amdhsa_enable_private_segment 0
		.amdhsa_system_sgpr_workgroup_id_x 1
		.amdhsa_system_sgpr_workgroup_id_y 1
		.amdhsa_system_sgpr_workgroup_id_z 0
		.amdhsa_system_sgpr_workgroup_info 0
		.amdhsa_system_vgpr_workitem_id 0
		.amdhsa_next_free_vgpr 27
		.amdhsa_next_free_sgpr 16
		.amdhsa_reserve_vcc 1
		.amdhsa_float_round_mode_32 0
		.amdhsa_float_round_mode_16_64 0
		.amdhsa_float_denorm_mode_32 3
		.amdhsa_float_denorm_mode_16_64 3
		.amdhsa_dx10_clamp 1
		.amdhsa_ieee_mode 1
		.amdhsa_fp16_overflow 0
		.amdhsa_workgroup_processor_mode 1
		.amdhsa_memory_ordered 1
		.amdhsa_forward_progress 0
		.amdhsa_shared_vgpr_count 0
		.amdhsa_exception_fp_ieee_invalid_op 0
		.amdhsa_exception_fp_denorm_src 0
		.amdhsa_exception_fp_ieee_div_zero 0
		.amdhsa_exception_fp_ieee_overflow 0
		.amdhsa_exception_fp_ieee_underflow 0
		.amdhsa_exception_fp_ieee_inexact 0
		.amdhsa_exception_int_div_zero 0
	.end_amdhsa_kernel
	.section	.text._Z49per_token_group_quant_8bit_packed_register_kernelIN3c108BFloat16ENS0_15Float8_e4m3fnuzELi128ELi4ELi4EEvPKT_PvPjiiiiilfff,"axG",@progbits,_Z49per_token_group_quant_8bit_packed_register_kernelIN3c108BFloat16ENS0_15Float8_e4m3fnuzELi128ELi4ELi4EEvPKT_PvPjiiiiilfff,comdat
.Lfunc_end53:
	.size	_Z49per_token_group_quant_8bit_packed_register_kernelIN3c108BFloat16ENS0_15Float8_e4m3fnuzELi128ELi4ELi4EEvPKT_PvPjiiiiilfff, .Lfunc_end53-_Z49per_token_group_quant_8bit_packed_register_kernelIN3c108BFloat16ENS0_15Float8_e4m3fnuzELi128ELi4ELi4EEvPKT_PvPjiiiiilfff
                                        ; -- End function
	.section	.AMDGPU.csdata,"",@progbits
; Kernel info:
; codeLenInByte = 5592
; NumSgprs: 18
; NumVgprs: 27
; ScratchSize: 0
; MemoryBound: 0
; FloatMode: 240
; IeeeMode: 1
; LDSByteSize: 0 bytes/workgroup (compile time only)
; SGPRBlocks: 2
; VGPRBlocks: 3
; NumSGPRsForWavesPerEU: 18
; NumVGPRsForWavesPerEU: 27
; Occupancy: 16
; WaveLimiterHint : 0
; COMPUTE_PGM_RSRC2:SCRATCH_EN: 0
; COMPUTE_PGM_RSRC2:USER_SGPR: 14
; COMPUTE_PGM_RSRC2:TRAP_HANDLER: 0
; COMPUTE_PGM_RSRC2:TGID_X_EN: 1
; COMPUTE_PGM_RSRC2:TGID_Y_EN: 1
; COMPUTE_PGM_RSRC2:TGID_Z_EN: 0
; COMPUTE_PGM_RSRC2:TIDIG_COMP_CNT: 0
	.text
	.p2alignl 7, 3214868480
	.fill 96, 4, 3214868480
	.type	__hip_cuid_e8adf51f8b093ea8,@object ; @__hip_cuid_e8adf51f8b093ea8
	.section	.bss,"aw",@nobits
	.globl	__hip_cuid_e8adf51f8b093ea8
__hip_cuid_e8adf51f8b093ea8:
	.byte	0                               ; 0x0
	.size	__hip_cuid_e8adf51f8b093ea8, 1

	.ident	"AMD clang version 19.0.0git (https://github.com/RadeonOpenCompute/llvm-project roc-6.4.0 25133 c7fe45cf4b819c5991fe208aaa96edf142730f1d)"
	.section	".note.GNU-stack","",@progbits
	.addrsig
	.addrsig_sym smem_raw
	.addrsig_sym __hip_cuid_e8adf51f8b093ea8
	.amdgpu_metadata
---
amdhsa.kernels:
  - .args:
      - .address_space:  global
        .offset:         0
        .size:           8
        .value_kind:     global_buffer
      - .actual_access:  write_only
        .address_space:  global
        .offset:         8
        .size:           8
        .value_kind:     global_buffer
      - .actual_access:  write_only
        .address_space:  global
        .offset:         16
        .size:           8
        .value_kind:     global_buffer
      - .offset:         24
        .size:           4
        .value_kind:     by_value
      - .offset:         28
        .size:           4
        .value_kind:     by_value
      - .offset:         32
        .size:           4
        .value_kind:     by_value
      - .offset:         36
        .size:           4
        .value_kind:     by_value
      - .offset:         40
        .size:           4
        .value_kind:     by_value
      - .offset:         44
        .size:           4
        .value_kind:     by_value
      - .offset:         48
        .size:           4
        .value_kind:     by_value
      - .offset:         52
        .size:           4
        .value_kind:     by_value
    .group_segment_fixed_size: 0
    .kernarg_segment_align: 8
    .kernarg_segment_size: 56
    .language:       OpenCL C
    .language_version:
      - 2
      - 0
    .max_flat_workgroup_size: 1024
    .name:           _Z33per_token_group_quant_8bit_kernelIfaLb1ELb1EfEvPKT_PvPT3_iiifffii
    .private_segment_fixed_size: 0
    .sgpr_count:     19
    .sgpr_spill_count: 0
    .symbol:         _Z33per_token_group_quant_8bit_kernelIfaLb1ELb1EfEvPKT_PvPT3_iiifffii.kd
    .uniform_work_group_size: 1
    .uses_dynamic_stack: false
    .vgpr_count:     40
    .vgpr_spill_count: 0
    .wavefront_size: 32
    .workgroup_processor_mode: 1
  - .args:
      - .address_space:  global
        .offset:         0
        .size:           8
        .value_kind:     global_buffer
      - .actual_access:  write_only
        .address_space:  global
        .offset:         8
        .size:           8
        .value_kind:     global_buffer
      - .actual_access:  write_only
        .address_space:  global
        .offset:         16
        .size:           8
        .value_kind:     global_buffer
      - .offset:         24
        .size:           4
        .value_kind:     by_value
      - .offset:         28
        .size:           4
        .value_kind:     by_value
      - .offset:         32
        .size:           4
        .value_kind:     by_value
      - .offset:         36
        .size:           4
        .value_kind:     by_value
      - .offset:         40
        .size:           4
        .value_kind:     by_value
      - .offset:         44
        .size:           4
        .value_kind:     by_value
      - .offset:         48
        .size:           4
        .value_kind:     by_value
      - .offset:         52
        .size:           4
        .value_kind:     by_value
    .group_segment_fixed_size: 0
    .kernarg_segment_align: 8
    .kernarg_segment_size: 56
    .language:       OpenCL C
    .language_version:
      - 2
      - 0
    .max_flat_workgroup_size: 1024
    .name:           _Z33per_token_group_quant_8bit_kernelIfaLb1ELb0EfEvPKT_PvPT3_iiifffii
    .private_segment_fixed_size: 0
    .sgpr_count:     19
    .sgpr_spill_count: 0
    .symbol:         _Z33per_token_group_quant_8bit_kernelIfaLb1ELb0EfEvPKT_PvPT3_iiifffii.kd
    .uniform_work_group_size: 1
    .uses_dynamic_stack: false
    .vgpr_count:     40
    .vgpr_spill_count: 0
    .wavefront_size: 32
    .workgroup_processor_mode: 1
  - .args:
      - .address_space:  global
        .offset:         0
        .size:           8
        .value_kind:     global_buffer
      - .actual_access:  write_only
        .address_space:  global
        .offset:         8
        .size:           8
        .value_kind:     global_buffer
      - .actual_access:  write_only
        .address_space:  global
        .offset:         16
        .size:           8
        .value_kind:     global_buffer
      - .offset:         24
        .size:           4
        .value_kind:     by_value
      - .offset:         28
        .size:           4
        .value_kind:     by_value
      - .offset:         32
        .size:           4
        .value_kind:     by_value
      - .offset:         36
        .size:           4
        .value_kind:     by_value
      - .offset:         40
        .size:           4
        .value_kind:     by_value
      - .offset:         44
        .size:           4
        .value_kind:     by_value
      - .offset:         48
        .size:           4
        .value_kind:     by_value
      - .offset:         52
        .size:           4
        .value_kind:     by_value
    .group_segment_fixed_size: 0
    .kernarg_segment_align: 8
    .kernarg_segment_size: 56
    .language:       OpenCL C
    .language_version:
      - 2
      - 0
    .max_flat_workgroup_size: 1024
    .name:           _Z33per_token_group_quant_8bit_kernelIfaLb0ELb1EfEvPKT_PvPT3_iiifffii
    .private_segment_fixed_size: 0
    .sgpr_count:     18
    .sgpr_spill_count: 0
    .symbol:         _Z33per_token_group_quant_8bit_kernelIfaLb0ELb1EfEvPKT_PvPT3_iiifffii.kd
    .uniform_work_group_size: 1
    .uses_dynamic_stack: false
    .vgpr_count:     40
    .vgpr_spill_count: 0
    .wavefront_size: 32
    .workgroup_processor_mode: 1
  - .args:
      - .address_space:  global
        .offset:         0
        .size:           8
        .value_kind:     global_buffer
      - .actual_access:  write_only
        .address_space:  global
        .offset:         8
        .size:           8
        .value_kind:     global_buffer
      - .actual_access:  write_only
        .address_space:  global
        .offset:         16
        .size:           8
        .value_kind:     global_buffer
      - .offset:         24
        .size:           4
        .value_kind:     by_value
      - .offset:         28
        .size:           4
        .value_kind:     by_value
      - .offset:         32
        .size:           4
        .value_kind:     by_value
      - .offset:         36
        .size:           4
        .value_kind:     by_value
      - .offset:         40
        .size:           4
        .value_kind:     by_value
      - .offset:         44
        .size:           4
        .value_kind:     by_value
      - .offset:         48
        .size:           4
        .value_kind:     by_value
      - .offset:         52
        .size:           4
        .value_kind:     by_value
    .group_segment_fixed_size: 0
    .kernarg_segment_align: 8
    .kernarg_segment_size: 56
    .language:       OpenCL C
    .language_version:
      - 2
      - 0
    .max_flat_workgroup_size: 1024
    .name:           _Z33per_token_group_quant_8bit_kernelIfaLb0ELb0EfEvPKT_PvPT3_iiifffii
    .private_segment_fixed_size: 0
    .sgpr_count:     18
    .sgpr_spill_count: 0
    .symbol:         _Z33per_token_group_quant_8bit_kernelIfaLb0ELb0EfEvPKT_PvPT3_iiifffii.kd
    .uniform_work_group_size: 1
    .uses_dynamic_stack: false
    .vgpr_count:     40
    .vgpr_spill_count: 0
    .wavefront_size: 32
    .workgroup_processor_mode: 1
  - .args:
      - .address_space:  global
        .offset:         0
        .size:           8
        .value_kind:     global_buffer
      - .actual_access:  write_only
        .address_space:  global
        .offset:         8
        .size:           8
        .value_kind:     global_buffer
      - .actual_access:  write_only
        .address_space:  global
        .offset:         16
        .size:           8
        .value_kind:     global_buffer
      - .offset:         24
        .size:           4
        .value_kind:     by_value
      - .offset:         28
        .size:           4
        .value_kind:     by_value
      - .offset:         32
        .size:           4
        .value_kind:     by_value
      - .offset:         36
        .size:           4
        .value_kind:     by_value
      - .offset:         40
        .size:           4
        .value_kind:     by_value
      - .offset:         44
        .size:           4
        .value_kind:     by_value
      - .offset:         48
        .size:           4
        .value_kind:     by_value
      - .offset:         52
        .size:           4
        .value_kind:     by_value
    .group_segment_fixed_size: 0
    .kernarg_segment_align: 8
    .kernarg_segment_size: 56
    .language:       OpenCL C
    .language_version:
      - 2
      - 0
    .max_flat_workgroup_size: 1024
    .name:           _Z33per_token_group_quant_8bit_kernelIfN3c1013Float8_e4m3fnELb1ELb1EfEvPKT_PvPT3_iiifffii
    .private_segment_fixed_size: 0
    .sgpr_count:     19
    .sgpr_spill_count: 0
    .symbol:         _Z33per_token_group_quant_8bit_kernelIfN3c1013Float8_e4m3fnELb1ELb1EfEvPKT_PvPT3_iiifffii.kd
    .uniform_work_group_size: 1
    .uses_dynamic_stack: false
    .vgpr_count:     29
    .vgpr_spill_count: 0
    .wavefront_size: 32
    .workgroup_processor_mode: 1
  - .args:
      - .address_space:  global
        .offset:         0
        .size:           8
        .value_kind:     global_buffer
      - .actual_access:  write_only
        .address_space:  global
        .offset:         8
        .size:           8
        .value_kind:     global_buffer
      - .actual_access:  write_only
        .address_space:  global
        .offset:         16
        .size:           8
        .value_kind:     global_buffer
      - .offset:         24
        .size:           4
        .value_kind:     by_value
      - .offset:         28
        .size:           4
        .value_kind:     by_value
      - .offset:         32
        .size:           4
        .value_kind:     by_value
      - .offset:         36
        .size:           4
        .value_kind:     by_value
      - .offset:         40
        .size:           4
        .value_kind:     by_value
      - .offset:         44
        .size:           4
        .value_kind:     by_value
      - .offset:         48
        .size:           4
        .value_kind:     by_value
      - .offset:         52
        .size:           4
        .value_kind:     by_value
    .group_segment_fixed_size: 0
    .kernarg_segment_align: 8
    .kernarg_segment_size: 56
    .language:       OpenCL C
    .language_version:
      - 2
      - 0
    .max_flat_workgroup_size: 1024
    .name:           _Z33per_token_group_quant_8bit_kernelIfN3c1013Float8_e4m3fnELb1ELb0EfEvPKT_PvPT3_iiifffii
    .private_segment_fixed_size: 0
    .sgpr_count:     19
    .sgpr_spill_count: 0
    .symbol:         _Z33per_token_group_quant_8bit_kernelIfN3c1013Float8_e4m3fnELb1ELb0EfEvPKT_PvPT3_iiifffii.kd
    .uniform_work_group_size: 1
    .uses_dynamic_stack: false
    .vgpr_count:     29
    .vgpr_spill_count: 0
    .wavefront_size: 32
    .workgroup_processor_mode: 1
  - .args:
      - .address_space:  global
        .offset:         0
        .size:           8
        .value_kind:     global_buffer
      - .actual_access:  write_only
        .address_space:  global
        .offset:         8
        .size:           8
        .value_kind:     global_buffer
      - .actual_access:  write_only
        .address_space:  global
        .offset:         16
        .size:           8
        .value_kind:     global_buffer
      - .offset:         24
        .size:           4
        .value_kind:     by_value
      - .offset:         28
        .size:           4
        .value_kind:     by_value
      - .offset:         32
        .size:           4
        .value_kind:     by_value
      - .offset:         36
        .size:           4
        .value_kind:     by_value
      - .offset:         40
        .size:           4
        .value_kind:     by_value
      - .offset:         44
        .size:           4
        .value_kind:     by_value
      - .offset:         48
        .size:           4
        .value_kind:     by_value
      - .offset:         52
        .size:           4
        .value_kind:     by_value
    .group_segment_fixed_size: 0
    .kernarg_segment_align: 8
    .kernarg_segment_size: 56
    .language:       OpenCL C
    .language_version:
      - 2
      - 0
    .max_flat_workgroup_size: 1024
    .name:           _Z33per_token_group_quant_8bit_kernelIfN3c1013Float8_e4m3fnELb0ELb1EfEvPKT_PvPT3_iiifffii
    .private_segment_fixed_size: 0
    .sgpr_count:     18
    .sgpr_spill_count: 0
    .symbol:         _Z33per_token_group_quant_8bit_kernelIfN3c1013Float8_e4m3fnELb0ELb1EfEvPKT_PvPT3_iiifffii.kd
    .uniform_work_group_size: 1
    .uses_dynamic_stack: false
    .vgpr_count:     29
    .vgpr_spill_count: 0
    .wavefront_size: 32
    .workgroup_processor_mode: 1
  - .args:
      - .address_space:  global
        .offset:         0
        .size:           8
        .value_kind:     global_buffer
      - .actual_access:  write_only
        .address_space:  global
        .offset:         8
        .size:           8
        .value_kind:     global_buffer
      - .actual_access:  write_only
        .address_space:  global
        .offset:         16
        .size:           8
        .value_kind:     global_buffer
      - .offset:         24
        .size:           4
        .value_kind:     by_value
      - .offset:         28
        .size:           4
        .value_kind:     by_value
      - .offset:         32
        .size:           4
        .value_kind:     by_value
      - .offset:         36
        .size:           4
        .value_kind:     by_value
      - .offset:         40
        .size:           4
        .value_kind:     by_value
      - .offset:         44
        .size:           4
        .value_kind:     by_value
      - .offset:         48
        .size:           4
        .value_kind:     by_value
      - .offset:         52
        .size:           4
        .value_kind:     by_value
    .group_segment_fixed_size: 0
    .kernarg_segment_align: 8
    .kernarg_segment_size: 56
    .language:       OpenCL C
    .language_version:
      - 2
      - 0
    .max_flat_workgroup_size: 1024
    .name:           _Z33per_token_group_quant_8bit_kernelIfN3c1013Float8_e4m3fnELb0ELb0EfEvPKT_PvPT3_iiifffii
    .private_segment_fixed_size: 0
    .sgpr_count:     18
    .sgpr_spill_count: 0
    .symbol:         _Z33per_token_group_quant_8bit_kernelIfN3c1013Float8_e4m3fnELb0ELb0EfEvPKT_PvPT3_iiifffii.kd
    .uniform_work_group_size: 1
    .uses_dynamic_stack: false
    .vgpr_count:     29
    .vgpr_spill_count: 0
    .wavefront_size: 32
    .workgroup_processor_mode: 1
  - .args:
      - .address_space:  global
        .offset:         0
        .size:           8
        .value_kind:     global_buffer
      - .actual_access:  write_only
        .address_space:  global
        .offset:         8
        .size:           8
        .value_kind:     global_buffer
      - .actual_access:  write_only
        .address_space:  global
        .offset:         16
        .size:           8
        .value_kind:     global_buffer
      - .offset:         24
        .size:           4
        .value_kind:     by_value
      - .offset:         28
        .size:           4
        .value_kind:     by_value
      - .offset:         32
        .size:           4
        .value_kind:     by_value
      - .offset:         36
        .size:           4
        .value_kind:     by_value
      - .offset:         40
        .size:           4
        .value_kind:     by_value
      - .offset:         44
        .size:           4
        .value_kind:     by_value
      - .offset:         48
        .size:           4
        .value_kind:     by_value
      - .offset:         52
        .size:           4
        .value_kind:     by_value
    .group_segment_fixed_size: 0
    .kernarg_segment_align: 8
    .kernarg_segment_size: 56
    .language:       OpenCL C
    .language_version:
      - 2
      - 0
    .max_flat_workgroup_size: 1024
    .name:           _Z33per_token_group_quant_8bit_kernelIfN3c1015Float8_e4m3fnuzELb1ELb1EfEvPKT_PvPT3_iiifffii
    .private_segment_fixed_size: 0
    .sgpr_count:     19
    .sgpr_spill_count: 0
    .symbol:         _Z33per_token_group_quant_8bit_kernelIfN3c1015Float8_e4m3fnuzELb1ELb1EfEvPKT_PvPT3_iiifffii.kd
    .uniform_work_group_size: 1
    .uses_dynamic_stack: false
    .vgpr_count:     26
    .vgpr_spill_count: 0
    .wavefront_size: 32
    .workgroup_processor_mode: 1
  - .args:
      - .address_space:  global
        .offset:         0
        .size:           8
        .value_kind:     global_buffer
      - .actual_access:  write_only
        .address_space:  global
        .offset:         8
        .size:           8
        .value_kind:     global_buffer
      - .actual_access:  write_only
        .address_space:  global
        .offset:         16
        .size:           8
        .value_kind:     global_buffer
      - .offset:         24
        .size:           4
        .value_kind:     by_value
      - .offset:         28
        .size:           4
        .value_kind:     by_value
      - .offset:         32
        .size:           4
        .value_kind:     by_value
      - .offset:         36
        .size:           4
        .value_kind:     by_value
      - .offset:         40
        .size:           4
        .value_kind:     by_value
      - .offset:         44
        .size:           4
        .value_kind:     by_value
      - .offset:         48
        .size:           4
        .value_kind:     by_value
      - .offset:         52
        .size:           4
        .value_kind:     by_value
    .group_segment_fixed_size: 0
    .kernarg_segment_align: 8
    .kernarg_segment_size: 56
    .language:       OpenCL C
    .language_version:
      - 2
      - 0
    .max_flat_workgroup_size: 1024
    .name:           _Z33per_token_group_quant_8bit_kernelIfN3c1015Float8_e4m3fnuzELb1ELb0EfEvPKT_PvPT3_iiifffii
    .private_segment_fixed_size: 0
    .sgpr_count:     19
    .sgpr_spill_count: 0
    .symbol:         _Z33per_token_group_quant_8bit_kernelIfN3c1015Float8_e4m3fnuzELb1ELb0EfEvPKT_PvPT3_iiifffii.kd
    .uniform_work_group_size: 1
    .uses_dynamic_stack: false
    .vgpr_count:     26
    .vgpr_spill_count: 0
    .wavefront_size: 32
    .workgroup_processor_mode: 1
  - .args:
      - .address_space:  global
        .offset:         0
        .size:           8
        .value_kind:     global_buffer
      - .actual_access:  write_only
        .address_space:  global
        .offset:         8
        .size:           8
        .value_kind:     global_buffer
      - .actual_access:  write_only
        .address_space:  global
        .offset:         16
        .size:           8
        .value_kind:     global_buffer
      - .offset:         24
        .size:           4
        .value_kind:     by_value
      - .offset:         28
        .size:           4
        .value_kind:     by_value
      - .offset:         32
        .size:           4
        .value_kind:     by_value
      - .offset:         36
        .size:           4
        .value_kind:     by_value
      - .offset:         40
        .size:           4
        .value_kind:     by_value
      - .offset:         44
        .size:           4
        .value_kind:     by_value
      - .offset:         48
        .size:           4
        .value_kind:     by_value
      - .offset:         52
        .size:           4
        .value_kind:     by_value
    .group_segment_fixed_size: 0
    .kernarg_segment_align: 8
    .kernarg_segment_size: 56
    .language:       OpenCL C
    .language_version:
      - 2
      - 0
    .max_flat_workgroup_size: 1024
    .name:           _Z33per_token_group_quant_8bit_kernelIfN3c1015Float8_e4m3fnuzELb0ELb1EfEvPKT_PvPT3_iiifffii
    .private_segment_fixed_size: 0
    .sgpr_count:     18
    .sgpr_spill_count: 0
    .symbol:         _Z33per_token_group_quant_8bit_kernelIfN3c1015Float8_e4m3fnuzELb0ELb1EfEvPKT_PvPT3_iiifffii.kd
    .uniform_work_group_size: 1
    .uses_dynamic_stack: false
    .vgpr_count:     26
    .vgpr_spill_count: 0
    .wavefront_size: 32
    .workgroup_processor_mode: 1
  - .args:
      - .address_space:  global
        .offset:         0
        .size:           8
        .value_kind:     global_buffer
      - .actual_access:  write_only
        .address_space:  global
        .offset:         8
        .size:           8
        .value_kind:     global_buffer
      - .actual_access:  write_only
        .address_space:  global
        .offset:         16
        .size:           8
        .value_kind:     global_buffer
      - .offset:         24
        .size:           4
        .value_kind:     by_value
      - .offset:         28
        .size:           4
        .value_kind:     by_value
      - .offset:         32
        .size:           4
        .value_kind:     by_value
      - .offset:         36
        .size:           4
        .value_kind:     by_value
      - .offset:         40
        .size:           4
        .value_kind:     by_value
      - .offset:         44
        .size:           4
        .value_kind:     by_value
      - .offset:         48
        .size:           4
        .value_kind:     by_value
      - .offset:         52
        .size:           4
        .value_kind:     by_value
    .group_segment_fixed_size: 0
    .kernarg_segment_align: 8
    .kernarg_segment_size: 56
    .language:       OpenCL C
    .language_version:
      - 2
      - 0
    .max_flat_workgroup_size: 1024
    .name:           _Z33per_token_group_quant_8bit_kernelIfN3c1015Float8_e4m3fnuzELb0ELb0EfEvPKT_PvPT3_iiifffii
    .private_segment_fixed_size: 0
    .sgpr_count:     18
    .sgpr_spill_count: 0
    .symbol:         _Z33per_token_group_quant_8bit_kernelIfN3c1015Float8_e4m3fnuzELb0ELb0EfEvPKT_PvPT3_iiifffii.kd
    .uniform_work_group_size: 1
    .uses_dynamic_stack: false
    .vgpr_count:     26
    .vgpr_spill_count: 0
    .wavefront_size: 32
    .workgroup_processor_mode: 1
  - .args:
      - .address_space:  global
        .offset:         0
        .size:           8
        .value_kind:     global_buffer
      - .actual_access:  write_only
        .address_space:  global
        .offset:         8
        .size:           8
        .value_kind:     global_buffer
      - .actual_access:  write_only
        .address_space:  global
        .offset:         16
        .size:           8
        .value_kind:     global_buffer
      - .offset:         24
        .size:           4
        .value_kind:     by_value
      - .offset:         28
        .size:           4
        .value_kind:     by_value
      - .offset:         32
        .size:           4
        .value_kind:     by_value
      - .offset:         36
        .size:           4
        .value_kind:     by_value
      - .offset:         40
        .size:           4
        .value_kind:     by_value
      - .offset:         44
        .size:           4
        .value_kind:     by_value
      - .offset:         48
        .size:           4
        .value_kind:     by_value
      - .offset:         52
        .size:           4
        .value_kind:     by_value
    .group_segment_fixed_size: 0
    .kernarg_segment_align: 8
    .kernarg_segment_size: 56
    .language:       OpenCL C
    .language_version:
      - 2
      - 0
    .max_flat_workgroup_size: 1024
    .name:           _Z33per_token_group_quant_8bit_kernelIN3c104HalfEaLb1ELb1EfEvPKT_PvPT3_iiifffii
    .private_segment_fixed_size: 0
    .sgpr_count:     19
    .sgpr_spill_count: 0
    .symbol:         _Z33per_token_group_quant_8bit_kernelIN3c104HalfEaLb1ELb1EfEvPKT_PvPT3_iiifffii.kd
    .uniform_work_group_size: 1
    .uses_dynamic_stack: false
    .vgpr_count:     60
    .vgpr_spill_count: 0
    .wavefront_size: 32
    .workgroup_processor_mode: 1
  - .args:
      - .address_space:  global
        .offset:         0
        .size:           8
        .value_kind:     global_buffer
      - .actual_access:  write_only
        .address_space:  global
        .offset:         8
        .size:           8
        .value_kind:     global_buffer
      - .actual_access:  write_only
        .address_space:  global
        .offset:         16
        .size:           8
        .value_kind:     global_buffer
      - .offset:         24
        .size:           4
        .value_kind:     by_value
      - .offset:         28
        .size:           4
        .value_kind:     by_value
      - .offset:         32
        .size:           4
        .value_kind:     by_value
      - .offset:         36
        .size:           4
        .value_kind:     by_value
      - .offset:         40
        .size:           4
        .value_kind:     by_value
      - .offset:         44
        .size:           4
        .value_kind:     by_value
      - .offset:         48
        .size:           4
        .value_kind:     by_value
      - .offset:         52
        .size:           4
        .value_kind:     by_value
    .group_segment_fixed_size: 0
    .kernarg_segment_align: 8
    .kernarg_segment_size: 56
    .language:       OpenCL C
    .language_version:
      - 2
      - 0
    .max_flat_workgroup_size: 1024
    .name:           _Z33per_token_group_quant_8bit_kernelIN3c104HalfEaLb1ELb0EfEvPKT_PvPT3_iiifffii
    .private_segment_fixed_size: 0
    .sgpr_count:     19
    .sgpr_spill_count: 0
    .symbol:         _Z33per_token_group_quant_8bit_kernelIN3c104HalfEaLb1ELb0EfEvPKT_PvPT3_iiifffii.kd
    .uniform_work_group_size: 1
    .uses_dynamic_stack: false
    .vgpr_count:     60
    .vgpr_spill_count: 0
    .wavefront_size: 32
    .workgroup_processor_mode: 1
  - .args:
      - .address_space:  global
        .offset:         0
        .size:           8
        .value_kind:     global_buffer
      - .actual_access:  write_only
        .address_space:  global
        .offset:         8
        .size:           8
        .value_kind:     global_buffer
      - .actual_access:  write_only
        .address_space:  global
        .offset:         16
        .size:           8
        .value_kind:     global_buffer
      - .offset:         24
        .size:           4
        .value_kind:     by_value
      - .offset:         28
        .size:           4
        .value_kind:     by_value
      - .offset:         32
        .size:           4
        .value_kind:     by_value
      - .offset:         36
        .size:           4
        .value_kind:     by_value
      - .offset:         40
        .size:           4
        .value_kind:     by_value
      - .offset:         44
        .size:           4
        .value_kind:     by_value
      - .offset:         48
        .size:           4
        .value_kind:     by_value
      - .offset:         52
        .size:           4
        .value_kind:     by_value
    .group_segment_fixed_size: 0
    .kernarg_segment_align: 8
    .kernarg_segment_size: 56
    .language:       OpenCL C
    .language_version:
      - 2
      - 0
    .max_flat_workgroup_size: 1024
    .name:           _Z33per_token_group_quant_8bit_kernelIN3c104HalfEaLb0ELb1EfEvPKT_PvPT3_iiifffii
    .private_segment_fixed_size: 0
    .sgpr_count:     18
    .sgpr_spill_count: 0
    .symbol:         _Z33per_token_group_quant_8bit_kernelIN3c104HalfEaLb0ELb1EfEvPKT_PvPT3_iiifffii.kd
    .uniform_work_group_size: 1
    .uses_dynamic_stack: false
    .vgpr_count:     60
    .vgpr_spill_count: 0
    .wavefront_size: 32
    .workgroup_processor_mode: 1
  - .args:
      - .address_space:  global
        .offset:         0
        .size:           8
        .value_kind:     global_buffer
      - .actual_access:  write_only
        .address_space:  global
        .offset:         8
        .size:           8
        .value_kind:     global_buffer
      - .actual_access:  write_only
        .address_space:  global
        .offset:         16
        .size:           8
        .value_kind:     global_buffer
      - .offset:         24
        .size:           4
        .value_kind:     by_value
      - .offset:         28
        .size:           4
        .value_kind:     by_value
      - .offset:         32
        .size:           4
        .value_kind:     by_value
      - .offset:         36
        .size:           4
        .value_kind:     by_value
      - .offset:         40
        .size:           4
        .value_kind:     by_value
      - .offset:         44
        .size:           4
        .value_kind:     by_value
      - .offset:         48
        .size:           4
        .value_kind:     by_value
      - .offset:         52
        .size:           4
        .value_kind:     by_value
    .group_segment_fixed_size: 0
    .kernarg_segment_align: 8
    .kernarg_segment_size: 56
    .language:       OpenCL C
    .language_version:
      - 2
      - 0
    .max_flat_workgroup_size: 1024
    .name:           _Z33per_token_group_quant_8bit_kernelIN3c104HalfEaLb0ELb0EfEvPKT_PvPT3_iiifffii
    .private_segment_fixed_size: 0
    .sgpr_count:     18
    .sgpr_spill_count: 0
    .symbol:         _Z33per_token_group_quant_8bit_kernelIN3c104HalfEaLb0ELb0EfEvPKT_PvPT3_iiifffii.kd
    .uniform_work_group_size: 1
    .uses_dynamic_stack: false
    .vgpr_count:     60
    .vgpr_spill_count: 0
    .wavefront_size: 32
    .workgroup_processor_mode: 1
  - .args:
      - .address_space:  global
        .offset:         0
        .size:           8
        .value_kind:     global_buffer
      - .actual_access:  write_only
        .address_space:  global
        .offset:         8
        .size:           8
        .value_kind:     global_buffer
      - .actual_access:  write_only
        .address_space:  global
        .offset:         16
        .size:           8
        .value_kind:     global_buffer
      - .offset:         24
        .size:           4
        .value_kind:     by_value
      - .offset:         28
        .size:           4
        .value_kind:     by_value
      - .offset:         32
        .size:           4
        .value_kind:     by_value
      - .offset:         36
        .size:           4
        .value_kind:     by_value
      - .offset:         40
        .size:           4
        .value_kind:     by_value
      - .offset:         44
        .size:           4
        .value_kind:     by_value
      - .offset:         48
        .size:           4
        .value_kind:     by_value
      - .offset:         52
        .size:           4
        .value_kind:     by_value
    .group_segment_fixed_size: 0
    .kernarg_segment_align: 8
    .kernarg_segment_size: 56
    .language:       OpenCL C
    .language_version:
      - 2
      - 0
    .max_flat_workgroup_size: 1024
    .name:           _Z33per_token_group_quant_8bit_kernelIN3c104HalfENS0_13Float8_e4m3fnELb1ELb1EfEvPKT_PvPT3_iiifffii
    .private_segment_fixed_size: 0
    .sgpr_count:     19
    .sgpr_spill_count: 0
    .symbol:         _Z33per_token_group_quant_8bit_kernelIN3c104HalfENS0_13Float8_e4m3fnELb1ELb1EfEvPKT_PvPT3_iiifffii.kd
    .uniform_work_group_size: 1
    .uses_dynamic_stack: false
    .vgpr_count:     39
    .vgpr_spill_count: 0
    .wavefront_size: 32
    .workgroup_processor_mode: 1
  - .args:
      - .address_space:  global
        .offset:         0
        .size:           8
        .value_kind:     global_buffer
      - .actual_access:  write_only
        .address_space:  global
        .offset:         8
        .size:           8
        .value_kind:     global_buffer
      - .actual_access:  write_only
        .address_space:  global
        .offset:         16
        .size:           8
        .value_kind:     global_buffer
      - .offset:         24
        .size:           4
        .value_kind:     by_value
      - .offset:         28
        .size:           4
        .value_kind:     by_value
      - .offset:         32
        .size:           4
        .value_kind:     by_value
      - .offset:         36
        .size:           4
        .value_kind:     by_value
      - .offset:         40
        .size:           4
        .value_kind:     by_value
      - .offset:         44
        .size:           4
        .value_kind:     by_value
      - .offset:         48
        .size:           4
        .value_kind:     by_value
      - .offset:         52
        .size:           4
        .value_kind:     by_value
    .group_segment_fixed_size: 0
    .kernarg_segment_align: 8
    .kernarg_segment_size: 56
    .language:       OpenCL C
    .language_version:
      - 2
      - 0
    .max_flat_workgroup_size: 1024
    .name:           _Z33per_token_group_quant_8bit_kernelIN3c104HalfENS0_13Float8_e4m3fnELb1ELb0EfEvPKT_PvPT3_iiifffii
    .private_segment_fixed_size: 0
    .sgpr_count:     19
    .sgpr_spill_count: 0
    .symbol:         _Z33per_token_group_quant_8bit_kernelIN3c104HalfENS0_13Float8_e4m3fnELb1ELb0EfEvPKT_PvPT3_iiifffii.kd
    .uniform_work_group_size: 1
    .uses_dynamic_stack: false
    .vgpr_count:     39
    .vgpr_spill_count: 0
    .wavefront_size: 32
    .workgroup_processor_mode: 1
  - .args:
      - .address_space:  global
        .offset:         0
        .size:           8
        .value_kind:     global_buffer
      - .actual_access:  write_only
        .address_space:  global
        .offset:         8
        .size:           8
        .value_kind:     global_buffer
      - .actual_access:  write_only
        .address_space:  global
        .offset:         16
        .size:           8
        .value_kind:     global_buffer
      - .offset:         24
        .size:           4
        .value_kind:     by_value
      - .offset:         28
        .size:           4
        .value_kind:     by_value
      - .offset:         32
        .size:           4
        .value_kind:     by_value
      - .offset:         36
        .size:           4
        .value_kind:     by_value
      - .offset:         40
        .size:           4
        .value_kind:     by_value
      - .offset:         44
        .size:           4
        .value_kind:     by_value
      - .offset:         48
        .size:           4
        .value_kind:     by_value
      - .offset:         52
        .size:           4
        .value_kind:     by_value
    .group_segment_fixed_size: 0
    .kernarg_segment_align: 8
    .kernarg_segment_size: 56
    .language:       OpenCL C
    .language_version:
      - 2
      - 0
    .max_flat_workgroup_size: 1024
    .name:           _Z33per_token_group_quant_8bit_kernelIN3c104HalfENS0_13Float8_e4m3fnELb0ELb1EfEvPKT_PvPT3_iiifffii
    .private_segment_fixed_size: 0
    .sgpr_count:     18
    .sgpr_spill_count: 0
    .symbol:         _Z33per_token_group_quant_8bit_kernelIN3c104HalfENS0_13Float8_e4m3fnELb0ELb1EfEvPKT_PvPT3_iiifffii.kd
    .uniform_work_group_size: 1
    .uses_dynamic_stack: false
    .vgpr_count:     39
    .vgpr_spill_count: 0
    .wavefront_size: 32
    .workgroup_processor_mode: 1
  - .args:
      - .address_space:  global
        .offset:         0
        .size:           8
        .value_kind:     global_buffer
      - .actual_access:  write_only
        .address_space:  global
        .offset:         8
        .size:           8
        .value_kind:     global_buffer
      - .actual_access:  write_only
        .address_space:  global
        .offset:         16
        .size:           8
        .value_kind:     global_buffer
      - .offset:         24
        .size:           4
        .value_kind:     by_value
      - .offset:         28
        .size:           4
        .value_kind:     by_value
      - .offset:         32
        .size:           4
        .value_kind:     by_value
      - .offset:         36
        .size:           4
        .value_kind:     by_value
      - .offset:         40
        .size:           4
        .value_kind:     by_value
      - .offset:         44
        .size:           4
        .value_kind:     by_value
      - .offset:         48
        .size:           4
        .value_kind:     by_value
      - .offset:         52
        .size:           4
        .value_kind:     by_value
    .group_segment_fixed_size: 0
    .kernarg_segment_align: 8
    .kernarg_segment_size: 56
    .language:       OpenCL C
    .language_version:
      - 2
      - 0
    .max_flat_workgroup_size: 1024
    .name:           _Z33per_token_group_quant_8bit_kernelIN3c104HalfENS0_13Float8_e4m3fnELb0ELb0EfEvPKT_PvPT3_iiifffii
    .private_segment_fixed_size: 0
    .sgpr_count:     18
    .sgpr_spill_count: 0
    .symbol:         _Z33per_token_group_quant_8bit_kernelIN3c104HalfENS0_13Float8_e4m3fnELb0ELb0EfEvPKT_PvPT3_iiifffii.kd
    .uniform_work_group_size: 1
    .uses_dynamic_stack: false
    .vgpr_count:     39
    .vgpr_spill_count: 0
    .wavefront_size: 32
    .workgroup_processor_mode: 1
  - .args:
      - .address_space:  global
        .offset:         0
        .size:           8
        .value_kind:     global_buffer
      - .actual_access:  write_only
        .address_space:  global
        .offset:         8
        .size:           8
        .value_kind:     global_buffer
      - .actual_access:  write_only
        .address_space:  global
        .offset:         16
        .size:           8
        .value_kind:     global_buffer
      - .offset:         24
        .size:           4
        .value_kind:     by_value
      - .offset:         28
        .size:           4
        .value_kind:     by_value
      - .offset:         32
        .size:           4
        .value_kind:     by_value
      - .offset:         36
        .size:           4
        .value_kind:     by_value
      - .offset:         40
        .size:           4
        .value_kind:     by_value
      - .offset:         44
        .size:           4
        .value_kind:     by_value
      - .offset:         48
        .size:           4
        .value_kind:     by_value
      - .offset:         52
        .size:           4
        .value_kind:     by_value
    .group_segment_fixed_size: 0
    .kernarg_segment_align: 8
    .kernarg_segment_size: 56
    .language:       OpenCL C
    .language_version:
      - 2
      - 0
    .max_flat_workgroup_size: 1024
    .name:           _Z33per_token_group_quant_8bit_kernelIN3c104HalfENS0_15Float8_e4m3fnuzELb1ELb1EfEvPKT_PvPT3_iiifffii
    .private_segment_fixed_size: 0
    .sgpr_count:     19
    .sgpr_spill_count: 0
    .symbol:         _Z33per_token_group_quant_8bit_kernelIN3c104HalfENS0_15Float8_e4m3fnuzELb1ELb1EfEvPKT_PvPT3_iiifffii.kd
    .uniform_work_group_size: 1
    .uses_dynamic_stack: false
    .vgpr_count:     38
    .vgpr_spill_count: 0
    .wavefront_size: 32
    .workgroup_processor_mode: 1
  - .args:
      - .address_space:  global
        .offset:         0
        .size:           8
        .value_kind:     global_buffer
      - .actual_access:  write_only
        .address_space:  global
        .offset:         8
        .size:           8
        .value_kind:     global_buffer
      - .actual_access:  write_only
        .address_space:  global
        .offset:         16
        .size:           8
        .value_kind:     global_buffer
      - .offset:         24
        .size:           4
        .value_kind:     by_value
      - .offset:         28
        .size:           4
        .value_kind:     by_value
      - .offset:         32
        .size:           4
        .value_kind:     by_value
      - .offset:         36
        .size:           4
        .value_kind:     by_value
      - .offset:         40
        .size:           4
        .value_kind:     by_value
      - .offset:         44
        .size:           4
        .value_kind:     by_value
      - .offset:         48
        .size:           4
        .value_kind:     by_value
      - .offset:         52
        .size:           4
        .value_kind:     by_value
    .group_segment_fixed_size: 0
    .kernarg_segment_align: 8
    .kernarg_segment_size: 56
    .language:       OpenCL C
    .language_version:
      - 2
      - 0
    .max_flat_workgroup_size: 1024
    .name:           _Z33per_token_group_quant_8bit_kernelIN3c104HalfENS0_15Float8_e4m3fnuzELb1ELb0EfEvPKT_PvPT3_iiifffii
    .private_segment_fixed_size: 0
    .sgpr_count:     19
    .sgpr_spill_count: 0
    .symbol:         _Z33per_token_group_quant_8bit_kernelIN3c104HalfENS0_15Float8_e4m3fnuzELb1ELb0EfEvPKT_PvPT3_iiifffii.kd
    .uniform_work_group_size: 1
    .uses_dynamic_stack: false
    .vgpr_count:     38
    .vgpr_spill_count: 0
    .wavefront_size: 32
    .workgroup_processor_mode: 1
  - .args:
      - .address_space:  global
        .offset:         0
        .size:           8
        .value_kind:     global_buffer
      - .actual_access:  write_only
        .address_space:  global
        .offset:         8
        .size:           8
        .value_kind:     global_buffer
      - .actual_access:  write_only
        .address_space:  global
        .offset:         16
        .size:           8
        .value_kind:     global_buffer
      - .offset:         24
        .size:           4
        .value_kind:     by_value
      - .offset:         28
        .size:           4
        .value_kind:     by_value
      - .offset:         32
        .size:           4
        .value_kind:     by_value
      - .offset:         36
        .size:           4
        .value_kind:     by_value
      - .offset:         40
        .size:           4
        .value_kind:     by_value
      - .offset:         44
        .size:           4
        .value_kind:     by_value
      - .offset:         48
        .size:           4
        .value_kind:     by_value
      - .offset:         52
        .size:           4
        .value_kind:     by_value
    .group_segment_fixed_size: 0
    .kernarg_segment_align: 8
    .kernarg_segment_size: 56
    .language:       OpenCL C
    .language_version:
      - 2
      - 0
    .max_flat_workgroup_size: 1024
    .name:           _Z33per_token_group_quant_8bit_kernelIN3c104HalfENS0_15Float8_e4m3fnuzELb0ELb1EfEvPKT_PvPT3_iiifffii
    .private_segment_fixed_size: 0
    .sgpr_count:     18
    .sgpr_spill_count: 0
    .symbol:         _Z33per_token_group_quant_8bit_kernelIN3c104HalfENS0_15Float8_e4m3fnuzELb0ELb1EfEvPKT_PvPT3_iiifffii.kd
    .uniform_work_group_size: 1
    .uses_dynamic_stack: false
    .vgpr_count:     38
    .vgpr_spill_count: 0
    .wavefront_size: 32
    .workgroup_processor_mode: 1
  - .args:
      - .address_space:  global
        .offset:         0
        .size:           8
        .value_kind:     global_buffer
      - .actual_access:  write_only
        .address_space:  global
        .offset:         8
        .size:           8
        .value_kind:     global_buffer
      - .actual_access:  write_only
        .address_space:  global
        .offset:         16
        .size:           8
        .value_kind:     global_buffer
      - .offset:         24
        .size:           4
        .value_kind:     by_value
      - .offset:         28
        .size:           4
        .value_kind:     by_value
      - .offset:         32
        .size:           4
        .value_kind:     by_value
      - .offset:         36
        .size:           4
        .value_kind:     by_value
      - .offset:         40
        .size:           4
        .value_kind:     by_value
      - .offset:         44
        .size:           4
        .value_kind:     by_value
      - .offset:         48
        .size:           4
        .value_kind:     by_value
      - .offset:         52
        .size:           4
        .value_kind:     by_value
    .group_segment_fixed_size: 0
    .kernarg_segment_align: 8
    .kernarg_segment_size: 56
    .language:       OpenCL C
    .language_version:
      - 2
      - 0
    .max_flat_workgroup_size: 1024
    .name:           _Z33per_token_group_quant_8bit_kernelIN3c104HalfENS0_15Float8_e4m3fnuzELb0ELb0EfEvPKT_PvPT3_iiifffii
    .private_segment_fixed_size: 0
    .sgpr_count:     18
    .sgpr_spill_count: 0
    .symbol:         _Z33per_token_group_quant_8bit_kernelIN3c104HalfENS0_15Float8_e4m3fnuzELb0ELb0EfEvPKT_PvPT3_iiifffii.kd
    .uniform_work_group_size: 1
    .uses_dynamic_stack: false
    .vgpr_count:     38
    .vgpr_spill_count: 0
    .wavefront_size: 32
    .workgroup_processor_mode: 1
  - .args:
      - .address_space:  global
        .offset:         0
        .size:           8
        .value_kind:     global_buffer
      - .actual_access:  write_only
        .address_space:  global
        .offset:         8
        .size:           8
        .value_kind:     global_buffer
      - .actual_access:  write_only
        .address_space:  global
        .offset:         16
        .size:           8
        .value_kind:     global_buffer
      - .offset:         24
        .size:           4
        .value_kind:     by_value
      - .offset:         28
        .size:           4
        .value_kind:     by_value
      - .offset:         32
        .size:           4
        .value_kind:     by_value
      - .offset:         36
        .size:           4
        .value_kind:     by_value
      - .offset:         40
        .size:           4
        .value_kind:     by_value
      - .offset:         44
        .size:           4
        .value_kind:     by_value
      - .offset:         48
        .size:           4
        .value_kind:     by_value
      - .offset:         52
        .size:           4
        .value_kind:     by_value
    .group_segment_fixed_size: 0
    .kernarg_segment_align: 8
    .kernarg_segment_size: 56
    .language:       OpenCL C
    .language_version:
      - 2
      - 0
    .max_flat_workgroup_size: 1024
    .name:           _Z33per_token_group_quant_8bit_kernelIN3c108BFloat16EaLb1ELb1EfEvPKT_PvPT3_iiifffii
    .private_segment_fixed_size: 0
    .sgpr_count:     19
    .sgpr_spill_count: 0
    .symbol:         _Z33per_token_group_quant_8bit_kernelIN3c108BFloat16EaLb1ELb1EfEvPKT_PvPT3_iiifffii.kd
    .uniform_work_group_size: 1
    .uses_dynamic_stack: false
    .vgpr_count:     64
    .vgpr_spill_count: 0
    .wavefront_size: 32
    .workgroup_processor_mode: 1
  - .args:
      - .address_space:  global
        .offset:         0
        .size:           8
        .value_kind:     global_buffer
      - .actual_access:  write_only
        .address_space:  global
        .offset:         8
        .size:           8
        .value_kind:     global_buffer
      - .actual_access:  write_only
        .address_space:  global
        .offset:         16
        .size:           8
        .value_kind:     global_buffer
      - .offset:         24
        .size:           4
        .value_kind:     by_value
      - .offset:         28
        .size:           4
        .value_kind:     by_value
      - .offset:         32
        .size:           4
        .value_kind:     by_value
      - .offset:         36
        .size:           4
        .value_kind:     by_value
      - .offset:         40
        .size:           4
        .value_kind:     by_value
      - .offset:         44
        .size:           4
        .value_kind:     by_value
      - .offset:         48
        .size:           4
        .value_kind:     by_value
      - .offset:         52
        .size:           4
        .value_kind:     by_value
    .group_segment_fixed_size: 0
    .kernarg_segment_align: 8
    .kernarg_segment_size: 56
    .language:       OpenCL C
    .language_version:
      - 2
      - 0
    .max_flat_workgroup_size: 1024
    .name:           _Z33per_token_group_quant_8bit_kernelIN3c108BFloat16EaLb1ELb0EfEvPKT_PvPT3_iiifffii
    .private_segment_fixed_size: 0
    .sgpr_count:     19
    .sgpr_spill_count: 0
    .symbol:         _Z33per_token_group_quant_8bit_kernelIN3c108BFloat16EaLb1ELb0EfEvPKT_PvPT3_iiifffii.kd
    .uniform_work_group_size: 1
    .uses_dynamic_stack: false
    .vgpr_count:     64
    .vgpr_spill_count: 0
    .wavefront_size: 32
    .workgroup_processor_mode: 1
  - .args:
      - .address_space:  global
        .offset:         0
        .size:           8
        .value_kind:     global_buffer
      - .actual_access:  write_only
        .address_space:  global
        .offset:         8
        .size:           8
        .value_kind:     global_buffer
      - .actual_access:  write_only
        .address_space:  global
        .offset:         16
        .size:           8
        .value_kind:     global_buffer
      - .offset:         24
        .size:           4
        .value_kind:     by_value
      - .offset:         28
        .size:           4
        .value_kind:     by_value
      - .offset:         32
        .size:           4
        .value_kind:     by_value
      - .offset:         36
        .size:           4
        .value_kind:     by_value
      - .offset:         40
        .size:           4
        .value_kind:     by_value
      - .offset:         44
        .size:           4
        .value_kind:     by_value
      - .offset:         48
        .size:           4
        .value_kind:     by_value
      - .offset:         52
        .size:           4
        .value_kind:     by_value
    .group_segment_fixed_size: 0
    .kernarg_segment_align: 8
    .kernarg_segment_size: 56
    .language:       OpenCL C
    .language_version:
      - 2
      - 0
    .max_flat_workgroup_size: 1024
    .name:           _Z33per_token_group_quant_8bit_kernelIN3c108BFloat16EaLb0ELb1EfEvPKT_PvPT3_iiifffii
    .private_segment_fixed_size: 0
    .sgpr_count:     18
    .sgpr_spill_count: 0
    .symbol:         _Z33per_token_group_quant_8bit_kernelIN3c108BFloat16EaLb0ELb1EfEvPKT_PvPT3_iiifffii.kd
    .uniform_work_group_size: 1
    .uses_dynamic_stack: false
    .vgpr_count:     64
    .vgpr_spill_count: 0
    .wavefront_size: 32
    .workgroup_processor_mode: 1
  - .args:
      - .address_space:  global
        .offset:         0
        .size:           8
        .value_kind:     global_buffer
      - .actual_access:  write_only
        .address_space:  global
        .offset:         8
        .size:           8
        .value_kind:     global_buffer
      - .actual_access:  write_only
        .address_space:  global
        .offset:         16
        .size:           8
        .value_kind:     global_buffer
      - .offset:         24
        .size:           4
        .value_kind:     by_value
      - .offset:         28
        .size:           4
        .value_kind:     by_value
      - .offset:         32
        .size:           4
        .value_kind:     by_value
      - .offset:         36
        .size:           4
        .value_kind:     by_value
      - .offset:         40
        .size:           4
        .value_kind:     by_value
      - .offset:         44
        .size:           4
        .value_kind:     by_value
      - .offset:         48
        .size:           4
        .value_kind:     by_value
      - .offset:         52
        .size:           4
        .value_kind:     by_value
    .group_segment_fixed_size: 0
    .kernarg_segment_align: 8
    .kernarg_segment_size: 56
    .language:       OpenCL C
    .language_version:
      - 2
      - 0
    .max_flat_workgroup_size: 1024
    .name:           _Z33per_token_group_quant_8bit_kernelIN3c108BFloat16EaLb0ELb0EfEvPKT_PvPT3_iiifffii
    .private_segment_fixed_size: 0
    .sgpr_count:     18
    .sgpr_spill_count: 0
    .symbol:         _Z33per_token_group_quant_8bit_kernelIN3c108BFloat16EaLb0ELb0EfEvPKT_PvPT3_iiifffii.kd
    .uniform_work_group_size: 1
    .uses_dynamic_stack: false
    .vgpr_count:     64
    .vgpr_spill_count: 0
    .wavefront_size: 32
    .workgroup_processor_mode: 1
  - .args:
      - .address_space:  global
        .offset:         0
        .size:           8
        .value_kind:     global_buffer
      - .actual_access:  write_only
        .address_space:  global
        .offset:         8
        .size:           8
        .value_kind:     global_buffer
      - .actual_access:  write_only
        .address_space:  global
        .offset:         16
        .size:           8
        .value_kind:     global_buffer
      - .offset:         24
        .size:           4
        .value_kind:     by_value
      - .offset:         28
        .size:           4
        .value_kind:     by_value
      - .offset:         32
        .size:           4
        .value_kind:     by_value
      - .offset:         36
        .size:           4
        .value_kind:     by_value
      - .offset:         40
        .size:           4
        .value_kind:     by_value
      - .offset:         44
        .size:           4
        .value_kind:     by_value
      - .offset:         48
        .size:           4
        .value_kind:     by_value
      - .offset:         52
        .size:           4
        .value_kind:     by_value
    .group_segment_fixed_size: 0
    .kernarg_segment_align: 8
    .kernarg_segment_size: 56
    .language:       OpenCL C
    .language_version:
      - 2
      - 0
    .max_flat_workgroup_size: 1024
    .name:           _Z33per_token_group_quant_8bit_kernelIN3c108BFloat16ENS0_13Float8_e4m3fnELb1ELb1EfEvPKT_PvPT3_iiifffii
    .private_segment_fixed_size: 0
    .sgpr_count:     19
    .sgpr_spill_count: 0
    .symbol:         _Z33per_token_group_quant_8bit_kernelIN3c108BFloat16ENS0_13Float8_e4m3fnELb1ELb1EfEvPKT_PvPT3_iiifffii.kd
    .uniform_work_group_size: 1
    .uses_dynamic_stack: false
    .vgpr_count:     39
    .vgpr_spill_count: 0
    .wavefront_size: 32
    .workgroup_processor_mode: 1
  - .args:
      - .address_space:  global
        .offset:         0
        .size:           8
        .value_kind:     global_buffer
      - .actual_access:  write_only
        .address_space:  global
        .offset:         8
        .size:           8
        .value_kind:     global_buffer
      - .actual_access:  write_only
        .address_space:  global
        .offset:         16
        .size:           8
        .value_kind:     global_buffer
      - .offset:         24
        .size:           4
        .value_kind:     by_value
      - .offset:         28
        .size:           4
        .value_kind:     by_value
      - .offset:         32
        .size:           4
        .value_kind:     by_value
      - .offset:         36
        .size:           4
        .value_kind:     by_value
      - .offset:         40
        .size:           4
        .value_kind:     by_value
      - .offset:         44
        .size:           4
        .value_kind:     by_value
      - .offset:         48
        .size:           4
        .value_kind:     by_value
      - .offset:         52
        .size:           4
        .value_kind:     by_value
    .group_segment_fixed_size: 0
    .kernarg_segment_align: 8
    .kernarg_segment_size: 56
    .language:       OpenCL C
    .language_version:
      - 2
      - 0
    .max_flat_workgroup_size: 1024
    .name:           _Z33per_token_group_quant_8bit_kernelIN3c108BFloat16ENS0_13Float8_e4m3fnELb1ELb0EfEvPKT_PvPT3_iiifffii
    .private_segment_fixed_size: 0
    .sgpr_count:     19
    .sgpr_spill_count: 0
    .symbol:         _Z33per_token_group_quant_8bit_kernelIN3c108BFloat16ENS0_13Float8_e4m3fnELb1ELb0EfEvPKT_PvPT3_iiifffii.kd
    .uniform_work_group_size: 1
    .uses_dynamic_stack: false
    .vgpr_count:     39
    .vgpr_spill_count: 0
    .wavefront_size: 32
    .workgroup_processor_mode: 1
  - .args:
      - .address_space:  global
        .offset:         0
        .size:           8
        .value_kind:     global_buffer
      - .actual_access:  write_only
        .address_space:  global
        .offset:         8
        .size:           8
        .value_kind:     global_buffer
      - .actual_access:  write_only
        .address_space:  global
        .offset:         16
        .size:           8
        .value_kind:     global_buffer
      - .offset:         24
        .size:           4
        .value_kind:     by_value
      - .offset:         28
        .size:           4
        .value_kind:     by_value
      - .offset:         32
        .size:           4
        .value_kind:     by_value
      - .offset:         36
        .size:           4
        .value_kind:     by_value
      - .offset:         40
        .size:           4
        .value_kind:     by_value
      - .offset:         44
        .size:           4
        .value_kind:     by_value
      - .offset:         48
        .size:           4
        .value_kind:     by_value
      - .offset:         52
        .size:           4
        .value_kind:     by_value
    .group_segment_fixed_size: 0
    .kernarg_segment_align: 8
    .kernarg_segment_size: 56
    .language:       OpenCL C
    .language_version:
      - 2
      - 0
    .max_flat_workgroup_size: 1024
    .name:           _Z33per_token_group_quant_8bit_kernelIN3c108BFloat16ENS0_13Float8_e4m3fnELb0ELb1EfEvPKT_PvPT3_iiifffii
    .private_segment_fixed_size: 0
    .sgpr_count:     18
    .sgpr_spill_count: 0
    .symbol:         _Z33per_token_group_quant_8bit_kernelIN3c108BFloat16ENS0_13Float8_e4m3fnELb0ELb1EfEvPKT_PvPT3_iiifffii.kd
    .uniform_work_group_size: 1
    .uses_dynamic_stack: false
    .vgpr_count:     39
    .vgpr_spill_count: 0
    .wavefront_size: 32
    .workgroup_processor_mode: 1
  - .args:
      - .address_space:  global
        .offset:         0
        .size:           8
        .value_kind:     global_buffer
      - .actual_access:  write_only
        .address_space:  global
        .offset:         8
        .size:           8
        .value_kind:     global_buffer
      - .actual_access:  write_only
        .address_space:  global
        .offset:         16
        .size:           8
        .value_kind:     global_buffer
      - .offset:         24
        .size:           4
        .value_kind:     by_value
      - .offset:         28
        .size:           4
        .value_kind:     by_value
      - .offset:         32
        .size:           4
        .value_kind:     by_value
      - .offset:         36
        .size:           4
        .value_kind:     by_value
      - .offset:         40
        .size:           4
        .value_kind:     by_value
      - .offset:         44
        .size:           4
        .value_kind:     by_value
      - .offset:         48
        .size:           4
        .value_kind:     by_value
      - .offset:         52
        .size:           4
        .value_kind:     by_value
    .group_segment_fixed_size: 0
    .kernarg_segment_align: 8
    .kernarg_segment_size: 56
    .language:       OpenCL C
    .language_version:
      - 2
      - 0
    .max_flat_workgroup_size: 1024
    .name:           _Z33per_token_group_quant_8bit_kernelIN3c108BFloat16ENS0_13Float8_e4m3fnELb0ELb0EfEvPKT_PvPT3_iiifffii
    .private_segment_fixed_size: 0
    .sgpr_count:     18
    .sgpr_spill_count: 0
    .symbol:         _Z33per_token_group_quant_8bit_kernelIN3c108BFloat16ENS0_13Float8_e4m3fnELb0ELb0EfEvPKT_PvPT3_iiifffii.kd
    .uniform_work_group_size: 1
    .uses_dynamic_stack: false
    .vgpr_count:     39
    .vgpr_spill_count: 0
    .wavefront_size: 32
    .workgroup_processor_mode: 1
  - .args:
      - .address_space:  global
        .offset:         0
        .size:           8
        .value_kind:     global_buffer
      - .actual_access:  write_only
        .address_space:  global
        .offset:         8
        .size:           8
        .value_kind:     global_buffer
      - .actual_access:  write_only
        .address_space:  global
        .offset:         16
        .size:           8
        .value_kind:     global_buffer
      - .offset:         24
        .size:           4
        .value_kind:     by_value
      - .offset:         28
        .size:           4
        .value_kind:     by_value
      - .offset:         32
        .size:           4
        .value_kind:     by_value
      - .offset:         36
        .size:           4
        .value_kind:     by_value
      - .offset:         40
        .size:           4
        .value_kind:     by_value
      - .offset:         44
        .size:           4
        .value_kind:     by_value
      - .offset:         48
        .size:           4
        .value_kind:     by_value
      - .offset:         52
        .size:           4
        .value_kind:     by_value
    .group_segment_fixed_size: 0
    .kernarg_segment_align: 8
    .kernarg_segment_size: 56
    .language:       OpenCL C
    .language_version:
      - 2
      - 0
    .max_flat_workgroup_size: 1024
    .name:           _Z33per_token_group_quant_8bit_kernelIN3c108BFloat16ENS0_15Float8_e4m3fnuzELb1ELb1EfEvPKT_PvPT3_iiifffii
    .private_segment_fixed_size: 0
    .sgpr_count:     19
    .sgpr_spill_count: 0
    .symbol:         _Z33per_token_group_quant_8bit_kernelIN3c108BFloat16ENS0_15Float8_e4m3fnuzELb1ELb1EfEvPKT_PvPT3_iiifffii.kd
    .uniform_work_group_size: 1
    .uses_dynamic_stack: false
    .vgpr_count:     38
    .vgpr_spill_count: 0
    .wavefront_size: 32
    .workgroup_processor_mode: 1
  - .args:
      - .address_space:  global
        .offset:         0
        .size:           8
        .value_kind:     global_buffer
      - .actual_access:  write_only
        .address_space:  global
        .offset:         8
        .size:           8
        .value_kind:     global_buffer
      - .actual_access:  write_only
        .address_space:  global
        .offset:         16
        .size:           8
        .value_kind:     global_buffer
      - .offset:         24
        .size:           4
        .value_kind:     by_value
      - .offset:         28
        .size:           4
        .value_kind:     by_value
      - .offset:         32
        .size:           4
        .value_kind:     by_value
      - .offset:         36
        .size:           4
        .value_kind:     by_value
      - .offset:         40
        .size:           4
        .value_kind:     by_value
      - .offset:         44
        .size:           4
        .value_kind:     by_value
      - .offset:         48
        .size:           4
        .value_kind:     by_value
      - .offset:         52
        .size:           4
        .value_kind:     by_value
    .group_segment_fixed_size: 0
    .kernarg_segment_align: 8
    .kernarg_segment_size: 56
    .language:       OpenCL C
    .language_version:
      - 2
      - 0
    .max_flat_workgroup_size: 1024
    .name:           _Z33per_token_group_quant_8bit_kernelIN3c108BFloat16ENS0_15Float8_e4m3fnuzELb1ELb0EfEvPKT_PvPT3_iiifffii
    .private_segment_fixed_size: 0
    .sgpr_count:     19
    .sgpr_spill_count: 0
    .symbol:         _Z33per_token_group_quant_8bit_kernelIN3c108BFloat16ENS0_15Float8_e4m3fnuzELb1ELb0EfEvPKT_PvPT3_iiifffii.kd
    .uniform_work_group_size: 1
    .uses_dynamic_stack: false
    .vgpr_count:     38
    .vgpr_spill_count: 0
    .wavefront_size: 32
    .workgroup_processor_mode: 1
  - .args:
      - .address_space:  global
        .offset:         0
        .size:           8
        .value_kind:     global_buffer
      - .actual_access:  write_only
        .address_space:  global
        .offset:         8
        .size:           8
        .value_kind:     global_buffer
      - .actual_access:  write_only
        .address_space:  global
        .offset:         16
        .size:           8
        .value_kind:     global_buffer
      - .offset:         24
        .size:           4
        .value_kind:     by_value
      - .offset:         28
        .size:           4
        .value_kind:     by_value
      - .offset:         32
        .size:           4
        .value_kind:     by_value
      - .offset:         36
        .size:           4
        .value_kind:     by_value
      - .offset:         40
        .size:           4
        .value_kind:     by_value
      - .offset:         44
        .size:           4
        .value_kind:     by_value
      - .offset:         48
        .size:           4
        .value_kind:     by_value
      - .offset:         52
        .size:           4
        .value_kind:     by_value
    .group_segment_fixed_size: 0
    .kernarg_segment_align: 8
    .kernarg_segment_size: 56
    .language:       OpenCL C
    .language_version:
      - 2
      - 0
    .max_flat_workgroup_size: 1024
    .name:           _Z33per_token_group_quant_8bit_kernelIN3c108BFloat16ENS0_15Float8_e4m3fnuzELb0ELb1EfEvPKT_PvPT3_iiifffii
    .private_segment_fixed_size: 0
    .sgpr_count:     18
    .sgpr_spill_count: 0
    .symbol:         _Z33per_token_group_quant_8bit_kernelIN3c108BFloat16ENS0_15Float8_e4m3fnuzELb0ELb1EfEvPKT_PvPT3_iiifffii.kd
    .uniform_work_group_size: 1
    .uses_dynamic_stack: false
    .vgpr_count:     38
    .vgpr_spill_count: 0
    .wavefront_size: 32
    .workgroup_processor_mode: 1
  - .args:
      - .address_space:  global
        .offset:         0
        .size:           8
        .value_kind:     global_buffer
      - .actual_access:  write_only
        .address_space:  global
        .offset:         8
        .size:           8
        .value_kind:     global_buffer
      - .actual_access:  write_only
        .address_space:  global
        .offset:         16
        .size:           8
        .value_kind:     global_buffer
      - .offset:         24
        .size:           4
        .value_kind:     by_value
      - .offset:         28
        .size:           4
        .value_kind:     by_value
      - .offset:         32
        .size:           4
        .value_kind:     by_value
      - .offset:         36
        .size:           4
        .value_kind:     by_value
      - .offset:         40
        .size:           4
        .value_kind:     by_value
      - .offset:         44
        .size:           4
        .value_kind:     by_value
      - .offset:         48
        .size:           4
        .value_kind:     by_value
      - .offset:         52
        .size:           4
        .value_kind:     by_value
    .group_segment_fixed_size: 0
    .kernarg_segment_align: 8
    .kernarg_segment_size: 56
    .language:       OpenCL C
    .language_version:
      - 2
      - 0
    .max_flat_workgroup_size: 1024
    .name:           _Z33per_token_group_quant_8bit_kernelIN3c108BFloat16ENS0_15Float8_e4m3fnuzELb0ELb0EfEvPKT_PvPT3_iiifffii
    .private_segment_fixed_size: 0
    .sgpr_count:     18
    .sgpr_spill_count: 0
    .symbol:         _Z33per_token_group_quant_8bit_kernelIN3c108BFloat16ENS0_15Float8_e4m3fnuzELb0ELb0EfEvPKT_PvPT3_iiifffii.kd
    .uniform_work_group_size: 1
    .uses_dynamic_stack: false
    .vgpr_count:     38
    .vgpr_spill_count: 0
    .wavefront_size: 32
    .workgroup_processor_mode: 1
  - .args:
      - .actual_access:  read_only
        .address_space:  global
        .offset:         0
        .size:           8
        .value_kind:     global_buffer
      - .actual_access:  write_only
        .address_space:  global
        .offset:         8
        .size:           8
        .value_kind:     global_buffer
      - .actual_access:  write_only
        .address_space:  global
        .offset:         16
        .size:           8
        .value_kind:     global_buffer
      - .offset:         24
        .size:           4
        .value_kind:     by_value
      - .offset:         28
        .size:           4
        .value_kind:     by_value
      - .offset:         32
        .size:           4
        .value_kind:     by_value
      - .offset:         36
        .size:           4
        .value_kind:     by_value
      - .offset:         40
        .size:           4
        .value_kind:     by_value
      - .offset:         48
        .size:           8
        .value_kind:     by_value
      - .offset:         56
        .size:           4
        .value_kind:     by_value
      - .offset:         60
        .size:           4
        .value_kind:     by_value
      - .offset:         64
        .size:           4
        .value_kind:     by_value
    .group_segment_fixed_size: 0
    .kernarg_segment_align: 8
    .kernarg_segment_size: 68
    .language:       OpenCL C
    .language_version:
      - 2
      - 0
    .max_flat_workgroup_size: 1024
    .name:           _Z49per_token_group_quant_8bit_packed_register_kernelIN3c104HalfEaLi128ELi16ELi1EEvPKT_PvPjiiiiilfff
    .private_segment_fixed_size: 0
    .sgpr_count:     18
    .sgpr_spill_count: 0
    .symbol:         _Z49per_token_group_quant_8bit_packed_register_kernelIN3c104HalfEaLi128ELi16ELi1EEvPKT_PvPjiiiiilfff.kd
    .uniform_work_group_size: 1
    .uses_dynamic_stack: false
    .vgpr_count:     32
    .vgpr_spill_count: 0
    .wavefront_size: 32
    .workgroup_processor_mode: 1
  - .args:
      - .actual_access:  read_only
        .address_space:  global
        .offset:         0
        .size:           8
        .value_kind:     global_buffer
      - .actual_access:  write_only
        .address_space:  global
        .offset:         8
        .size:           8
        .value_kind:     global_buffer
      - .actual_access:  write_only
        .address_space:  global
        .offset:         16
        .size:           8
        .value_kind:     global_buffer
      - .offset:         24
        .size:           4
        .value_kind:     by_value
      - .offset:         28
        .size:           4
        .value_kind:     by_value
      - .offset:         32
        .size:           4
        .value_kind:     by_value
      - .offset:         36
        .size:           4
        .value_kind:     by_value
      - .offset:         40
        .size:           4
        .value_kind:     by_value
      - .offset:         48
        .size:           8
        .value_kind:     by_value
      - .offset:         56
        .size:           4
        .value_kind:     by_value
      - .offset:         60
        .size:           4
        .value_kind:     by_value
      - .offset:         64
        .size:           4
        .value_kind:     by_value
    .group_segment_fixed_size: 0
    .kernarg_segment_align: 8
    .kernarg_segment_size: 68
    .language:       OpenCL C
    .language_version:
      - 2
      - 0
    .max_flat_workgroup_size: 1024
    .name:           _Z49per_token_group_quant_8bit_packed_register_kernelIN3c104HalfEaLi128ELi8ELi2EEvPKT_PvPjiiiiilfff
    .private_segment_fixed_size: 0
    .sgpr_count:     18
    .sgpr_spill_count: 0
    .symbol:         _Z49per_token_group_quant_8bit_packed_register_kernelIN3c104HalfEaLi128ELi8ELi2EEvPKT_PvPjiiiiilfff.kd
    .uniform_work_group_size: 1
    .uses_dynamic_stack: false
    .vgpr_count:     32
    .vgpr_spill_count: 0
    .wavefront_size: 32
    .workgroup_processor_mode: 1
  - .args:
      - .actual_access:  read_only
        .address_space:  global
        .offset:         0
        .size:           8
        .value_kind:     global_buffer
      - .actual_access:  write_only
        .address_space:  global
        .offset:         8
        .size:           8
        .value_kind:     global_buffer
      - .actual_access:  write_only
        .address_space:  global
        .offset:         16
        .size:           8
        .value_kind:     global_buffer
      - .offset:         24
        .size:           4
        .value_kind:     by_value
      - .offset:         28
        .size:           4
        .value_kind:     by_value
      - .offset:         32
        .size:           4
        .value_kind:     by_value
      - .offset:         36
        .size:           4
        .value_kind:     by_value
      - .offset:         40
        .size:           4
        .value_kind:     by_value
      - .offset:         48
        .size:           8
        .value_kind:     by_value
      - .offset:         56
        .size:           4
        .value_kind:     by_value
      - .offset:         60
        .size:           4
        .value_kind:     by_value
      - .offset:         64
        .size:           4
        .value_kind:     by_value
    .group_segment_fixed_size: 0
    .kernarg_segment_align: 8
    .kernarg_segment_size: 68
    .language:       OpenCL C
    .language_version:
      - 2
      - 0
    .max_flat_workgroup_size: 1024
    .name:           _Z49per_token_group_quant_8bit_packed_register_kernelIN3c104HalfEaLi128ELi4ELi4EEvPKT_PvPjiiiiilfff
    .private_segment_fixed_size: 0
    .sgpr_count:     18
    .sgpr_spill_count: 0
    .symbol:         _Z49per_token_group_quant_8bit_packed_register_kernelIN3c104HalfEaLi128ELi4ELi4EEvPKT_PvPjiiiiilfff.kd
    .uniform_work_group_size: 1
    .uses_dynamic_stack: false
    .vgpr_count:     32
    .vgpr_spill_count: 0
    .wavefront_size: 32
    .workgroup_processor_mode: 1
  - .args:
      - .actual_access:  read_only
        .address_space:  global
        .offset:         0
        .size:           8
        .value_kind:     global_buffer
      - .actual_access:  write_only
        .address_space:  global
        .offset:         8
        .size:           8
        .value_kind:     global_buffer
      - .actual_access:  write_only
        .address_space:  global
        .offset:         16
        .size:           8
        .value_kind:     global_buffer
      - .offset:         24
        .size:           4
        .value_kind:     by_value
      - .offset:         28
        .size:           4
        .value_kind:     by_value
      - .offset:         32
        .size:           4
        .value_kind:     by_value
      - .offset:         36
        .size:           4
        .value_kind:     by_value
      - .offset:         40
        .size:           4
        .value_kind:     by_value
      - .offset:         48
        .size:           8
        .value_kind:     by_value
      - .offset:         56
        .size:           4
        .value_kind:     by_value
      - .offset:         60
        .size:           4
        .value_kind:     by_value
      - .offset:         64
        .size:           4
        .value_kind:     by_value
    .group_segment_fixed_size: 0
    .kernarg_segment_align: 8
    .kernarg_segment_size: 68
    .language:       OpenCL C
    .language_version:
      - 2
      - 0
    .max_flat_workgroup_size: 1024
    .name:           _Z49per_token_group_quant_8bit_packed_register_kernelIN3c104HalfENS0_13Float8_e4m3fnELi128ELi16ELi1EEvPKT_PvPjiiiiilfff
    .private_segment_fixed_size: 0
    .sgpr_count:     18
    .sgpr_spill_count: 0
    .symbol:         _Z49per_token_group_quant_8bit_packed_register_kernelIN3c104HalfENS0_13Float8_e4m3fnELi128ELi16ELi1EEvPKT_PvPjiiiiilfff.kd
    .uniform_work_group_size: 1
    .uses_dynamic_stack: false
    .vgpr_count:     40
    .vgpr_spill_count: 0
    .wavefront_size: 32
    .workgroup_processor_mode: 1
  - .args:
      - .actual_access:  read_only
        .address_space:  global
        .offset:         0
        .size:           8
        .value_kind:     global_buffer
      - .actual_access:  write_only
        .address_space:  global
        .offset:         8
        .size:           8
        .value_kind:     global_buffer
      - .actual_access:  write_only
        .address_space:  global
        .offset:         16
        .size:           8
        .value_kind:     global_buffer
      - .offset:         24
        .size:           4
        .value_kind:     by_value
      - .offset:         28
        .size:           4
        .value_kind:     by_value
      - .offset:         32
        .size:           4
        .value_kind:     by_value
      - .offset:         36
        .size:           4
        .value_kind:     by_value
      - .offset:         40
        .size:           4
        .value_kind:     by_value
      - .offset:         48
        .size:           8
        .value_kind:     by_value
      - .offset:         56
        .size:           4
        .value_kind:     by_value
      - .offset:         60
        .size:           4
        .value_kind:     by_value
      - .offset:         64
        .size:           4
        .value_kind:     by_value
    .group_segment_fixed_size: 0
    .kernarg_segment_align: 8
    .kernarg_segment_size: 68
    .language:       OpenCL C
    .language_version:
      - 2
      - 0
    .max_flat_workgroup_size: 1024
    .name:           _Z49per_token_group_quant_8bit_packed_register_kernelIN3c104HalfENS0_13Float8_e4m3fnELi128ELi8ELi2EEvPKT_PvPjiiiiilfff
    .private_segment_fixed_size: 0
    .sgpr_count:     18
    .sgpr_spill_count: 0
    .symbol:         _Z49per_token_group_quant_8bit_packed_register_kernelIN3c104HalfENS0_13Float8_e4m3fnELi128ELi8ELi2EEvPKT_PvPjiiiiilfff.kd
    .uniform_work_group_size: 1
    .uses_dynamic_stack: false
    .vgpr_count:     40
    .vgpr_spill_count: 0
    .wavefront_size: 32
    .workgroup_processor_mode: 1
  - .args:
      - .actual_access:  read_only
        .address_space:  global
        .offset:         0
        .size:           8
        .value_kind:     global_buffer
      - .actual_access:  write_only
        .address_space:  global
        .offset:         8
        .size:           8
        .value_kind:     global_buffer
      - .actual_access:  write_only
        .address_space:  global
        .offset:         16
        .size:           8
        .value_kind:     global_buffer
      - .offset:         24
        .size:           4
        .value_kind:     by_value
      - .offset:         28
        .size:           4
        .value_kind:     by_value
      - .offset:         32
        .size:           4
        .value_kind:     by_value
      - .offset:         36
        .size:           4
        .value_kind:     by_value
      - .offset:         40
        .size:           4
        .value_kind:     by_value
      - .offset:         48
        .size:           8
        .value_kind:     by_value
      - .offset:         56
        .size:           4
        .value_kind:     by_value
      - .offset:         60
        .size:           4
        .value_kind:     by_value
      - .offset:         64
        .size:           4
        .value_kind:     by_value
    .group_segment_fixed_size: 0
    .kernarg_segment_align: 8
    .kernarg_segment_size: 68
    .language:       OpenCL C
    .language_version:
      - 2
      - 0
    .max_flat_workgroup_size: 1024
    .name:           _Z49per_token_group_quant_8bit_packed_register_kernelIN3c104HalfENS0_13Float8_e4m3fnELi128ELi4ELi4EEvPKT_PvPjiiiiilfff
    .private_segment_fixed_size: 0
    .sgpr_count:     18
    .sgpr_spill_count: 0
    .symbol:         _Z49per_token_group_quant_8bit_packed_register_kernelIN3c104HalfENS0_13Float8_e4m3fnELi128ELi4ELi4EEvPKT_PvPjiiiiilfff.kd
    .uniform_work_group_size: 1
    .uses_dynamic_stack: false
    .vgpr_count:     40
    .vgpr_spill_count: 0
    .wavefront_size: 32
    .workgroup_processor_mode: 1
  - .args:
      - .actual_access:  read_only
        .address_space:  global
        .offset:         0
        .size:           8
        .value_kind:     global_buffer
      - .actual_access:  write_only
        .address_space:  global
        .offset:         8
        .size:           8
        .value_kind:     global_buffer
      - .actual_access:  write_only
        .address_space:  global
        .offset:         16
        .size:           8
        .value_kind:     global_buffer
      - .offset:         24
        .size:           4
        .value_kind:     by_value
      - .offset:         28
        .size:           4
        .value_kind:     by_value
      - .offset:         32
        .size:           4
        .value_kind:     by_value
      - .offset:         36
        .size:           4
        .value_kind:     by_value
      - .offset:         40
        .size:           4
        .value_kind:     by_value
      - .offset:         48
        .size:           8
        .value_kind:     by_value
      - .offset:         56
        .size:           4
        .value_kind:     by_value
      - .offset:         60
        .size:           4
        .value_kind:     by_value
      - .offset:         64
        .size:           4
        .value_kind:     by_value
    .group_segment_fixed_size: 0
    .kernarg_segment_align: 8
    .kernarg_segment_size: 68
    .language:       OpenCL C
    .language_version:
      - 2
      - 0
    .max_flat_workgroup_size: 1024
    .name:           _Z49per_token_group_quant_8bit_packed_register_kernelIN3c104HalfENS0_15Float8_e4m3fnuzELi128ELi16ELi1EEvPKT_PvPjiiiiilfff
    .private_segment_fixed_size: 0
    .sgpr_count:     18
    .sgpr_spill_count: 0
    .symbol:         _Z49per_token_group_quant_8bit_packed_register_kernelIN3c104HalfENS0_15Float8_e4m3fnuzELi128ELi16ELi1EEvPKT_PvPjiiiiilfff.kd
    .uniform_work_group_size: 1
    .uses_dynamic_stack: false
    .vgpr_count:     27
    .vgpr_spill_count: 0
    .wavefront_size: 32
    .workgroup_processor_mode: 1
  - .args:
      - .actual_access:  read_only
        .address_space:  global
        .offset:         0
        .size:           8
        .value_kind:     global_buffer
      - .actual_access:  write_only
        .address_space:  global
        .offset:         8
        .size:           8
        .value_kind:     global_buffer
      - .actual_access:  write_only
        .address_space:  global
        .offset:         16
        .size:           8
        .value_kind:     global_buffer
      - .offset:         24
        .size:           4
        .value_kind:     by_value
      - .offset:         28
        .size:           4
        .value_kind:     by_value
      - .offset:         32
        .size:           4
        .value_kind:     by_value
      - .offset:         36
        .size:           4
        .value_kind:     by_value
      - .offset:         40
        .size:           4
        .value_kind:     by_value
      - .offset:         48
        .size:           8
        .value_kind:     by_value
      - .offset:         56
        .size:           4
        .value_kind:     by_value
      - .offset:         60
        .size:           4
        .value_kind:     by_value
      - .offset:         64
        .size:           4
        .value_kind:     by_value
    .group_segment_fixed_size: 0
    .kernarg_segment_align: 8
    .kernarg_segment_size: 68
    .language:       OpenCL C
    .language_version:
      - 2
      - 0
    .max_flat_workgroup_size: 1024
    .name:           _Z49per_token_group_quant_8bit_packed_register_kernelIN3c104HalfENS0_15Float8_e4m3fnuzELi128ELi8ELi2EEvPKT_PvPjiiiiilfff
    .private_segment_fixed_size: 0
    .sgpr_count:     18
    .sgpr_spill_count: 0
    .symbol:         _Z49per_token_group_quant_8bit_packed_register_kernelIN3c104HalfENS0_15Float8_e4m3fnuzELi128ELi8ELi2EEvPKT_PvPjiiiiilfff.kd
    .uniform_work_group_size: 1
    .uses_dynamic_stack: false
    .vgpr_count:     27
    .vgpr_spill_count: 0
    .wavefront_size: 32
    .workgroup_processor_mode: 1
  - .args:
      - .actual_access:  read_only
        .address_space:  global
        .offset:         0
        .size:           8
        .value_kind:     global_buffer
      - .actual_access:  write_only
        .address_space:  global
        .offset:         8
        .size:           8
        .value_kind:     global_buffer
      - .actual_access:  write_only
        .address_space:  global
        .offset:         16
        .size:           8
        .value_kind:     global_buffer
      - .offset:         24
        .size:           4
        .value_kind:     by_value
      - .offset:         28
        .size:           4
        .value_kind:     by_value
      - .offset:         32
        .size:           4
        .value_kind:     by_value
      - .offset:         36
        .size:           4
        .value_kind:     by_value
      - .offset:         40
        .size:           4
        .value_kind:     by_value
      - .offset:         48
        .size:           8
        .value_kind:     by_value
      - .offset:         56
        .size:           4
        .value_kind:     by_value
      - .offset:         60
        .size:           4
        .value_kind:     by_value
      - .offset:         64
        .size:           4
        .value_kind:     by_value
    .group_segment_fixed_size: 0
    .kernarg_segment_align: 8
    .kernarg_segment_size: 68
    .language:       OpenCL C
    .language_version:
      - 2
      - 0
    .max_flat_workgroup_size: 1024
    .name:           _Z49per_token_group_quant_8bit_packed_register_kernelIN3c104HalfENS0_15Float8_e4m3fnuzELi128ELi4ELi4EEvPKT_PvPjiiiiilfff
    .private_segment_fixed_size: 0
    .sgpr_count:     18
    .sgpr_spill_count: 0
    .symbol:         _Z49per_token_group_quant_8bit_packed_register_kernelIN3c104HalfENS0_15Float8_e4m3fnuzELi128ELi4ELi4EEvPKT_PvPjiiiiilfff.kd
    .uniform_work_group_size: 1
    .uses_dynamic_stack: false
    .vgpr_count:     27
    .vgpr_spill_count: 0
    .wavefront_size: 32
    .workgroup_processor_mode: 1
  - .args:
      - .actual_access:  read_only
        .address_space:  global
        .offset:         0
        .size:           8
        .value_kind:     global_buffer
      - .actual_access:  write_only
        .address_space:  global
        .offset:         8
        .size:           8
        .value_kind:     global_buffer
      - .actual_access:  write_only
        .address_space:  global
        .offset:         16
        .size:           8
        .value_kind:     global_buffer
      - .offset:         24
        .size:           4
        .value_kind:     by_value
      - .offset:         28
        .size:           4
        .value_kind:     by_value
      - .offset:         32
        .size:           4
        .value_kind:     by_value
      - .offset:         36
        .size:           4
        .value_kind:     by_value
      - .offset:         40
        .size:           4
        .value_kind:     by_value
      - .offset:         48
        .size:           8
        .value_kind:     by_value
      - .offset:         56
        .size:           4
        .value_kind:     by_value
      - .offset:         60
        .size:           4
        .value_kind:     by_value
      - .offset:         64
        .size:           4
        .value_kind:     by_value
    .group_segment_fixed_size: 0
    .kernarg_segment_align: 8
    .kernarg_segment_size: 68
    .language:       OpenCL C
    .language_version:
      - 2
      - 0
    .max_flat_workgroup_size: 1024
    .name:           _Z49per_token_group_quant_8bit_packed_register_kernelIN3c108BFloat16EaLi128ELi16ELi1EEvPKT_PvPjiiiiilfff
    .private_segment_fixed_size: 0
    .sgpr_count:     18
    .sgpr_spill_count: 0
    .symbol:         _Z49per_token_group_quant_8bit_packed_register_kernelIN3c108BFloat16EaLi128ELi16ELi1EEvPKT_PvPjiiiiilfff.kd
    .uniform_work_group_size: 1
    .uses_dynamic_stack: false
    .vgpr_count:     28
    .vgpr_spill_count: 0
    .wavefront_size: 32
    .workgroup_processor_mode: 1
  - .args:
      - .actual_access:  read_only
        .address_space:  global
        .offset:         0
        .size:           8
        .value_kind:     global_buffer
      - .actual_access:  write_only
        .address_space:  global
        .offset:         8
        .size:           8
        .value_kind:     global_buffer
      - .actual_access:  write_only
        .address_space:  global
        .offset:         16
        .size:           8
        .value_kind:     global_buffer
      - .offset:         24
        .size:           4
        .value_kind:     by_value
      - .offset:         28
        .size:           4
        .value_kind:     by_value
      - .offset:         32
        .size:           4
        .value_kind:     by_value
      - .offset:         36
        .size:           4
        .value_kind:     by_value
      - .offset:         40
        .size:           4
        .value_kind:     by_value
      - .offset:         48
        .size:           8
        .value_kind:     by_value
      - .offset:         56
        .size:           4
        .value_kind:     by_value
      - .offset:         60
        .size:           4
        .value_kind:     by_value
      - .offset:         64
        .size:           4
        .value_kind:     by_value
    .group_segment_fixed_size: 0
    .kernarg_segment_align: 8
    .kernarg_segment_size: 68
    .language:       OpenCL C
    .language_version:
      - 2
      - 0
    .max_flat_workgroup_size: 1024
    .name:           _Z49per_token_group_quant_8bit_packed_register_kernelIN3c108BFloat16EaLi128ELi8ELi2EEvPKT_PvPjiiiiilfff
    .private_segment_fixed_size: 0
    .sgpr_count:     18
    .sgpr_spill_count: 0
    .symbol:         _Z49per_token_group_quant_8bit_packed_register_kernelIN3c108BFloat16EaLi128ELi8ELi2EEvPKT_PvPjiiiiilfff.kd
    .uniform_work_group_size: 1
    .uses_dynamic_stack: false
    .vgpr_count:     28
    .vgpr_spill_count: 0
    .wavefront_size: 32
    .workgroup_processor_mode: 1
  - .args:
      - .actual_access:  read_only
        .address_space:  global
        .offset:         0
        .size:           8
        .value_kind:     global_buffer
      - .actual_access:  write_only
        .address_space:  global
        .offset:         8
        .size:           8
        .value_kind:     global_buffer
      - .actual_access:  write_only
        .address_space:  global
        .offset:         16
        .size:           8
        .value_kind:     global_buffer
      - .offset:         24
        .size:           4
        .value_kind:     by_value
      - .offset:         28
        .size:           4
        .value_kind:     by_value
      - .offset:         32
        .size:           4
        .value_kind:     by_value
      - .offset:         36
        .size:           4
        .value_kind:     by_value
      - .offset:         40
        .size:           4
        .value_kind:     by_value
      - .offset:         48
        .size:           8
        .value_kind:     by_value
      - .offset:         56
        .size:           4
        .value_kind:     by_value
      - .offset:         60
        .size:           4
        .value_kind:     by_value
      - .offset:         64
        .size:           4
        .value_kind:     by_value
    .group_segment_fixed_size: 0
    .kernarg_segment_align: 8
    .kernarg_segment_size: 68
    .language:       OpenCL C
    .language_version:
      - 2
      - 0
    .max_flat_workgroup_size: 1024
    .name:           _Z49per_token_group_quant_8bit_packed_register_kernelIN3c108BFloat16EaLi128ELi4ELi4EEvPKT_PvPjiiiiilfff
    .private_segment_fixed_size: 0
    .sgpr_count:     18
    .sgpr_spill_count: 0
    .symbol:         _Z49per_token_group_quant_8bit_packed_register_kernelIN3c108BFloat16EaLi128ELi4ELi4EEvPKT_PvPjiiiiilfff.kd
    .uniform_work_group_size: 1
    .uses_dynamic_stack: false
    .vgpr_count:     28
    .vgpr_spill_count: 0
    .wavefront_size: 32
    .workgroup_processor_mode: 1
  - .args:
      - .actual_access:  read_only
        .address_space:  global
        .offset:         0
        .size:           8
        .value_kind:     global_buffer
      - .actual_access:  write_only
        .address_space:  global
        .offset:         8
        .size:           8
        .value_kind:     global_buffer
      - .actual_access:  write_only
        .address_space:  global
        .offset:         16
        .size:           8
        .value_kind:     global_buffer
      - .offset:         24
        .size:           4
        .value_kind:     by_value
      - .offset:         28
        .size:           4
        .value_kind:     by_value
      - .offset:         32
        .size:           4
        .value_kind:     by_value
      - .offset:         36
        .size:           4
        .value_kind:     by_value
      - .offset:         40
        .size:           4
        .value_kind:     by_value
      - .offset:         48
        .size:           8
        .value_kind:     by_value
      - .offset:         56
        .size:           4
        .value_kind:     by_value
      - .offset:         60
        .size:           4
        .value_kind:     by_value
      - .offset:         64
        .size:           4
        .value_kind:     by_value
    .group_segment_fixed_size: 0
    .kernarg_segment_align: 8
    .kernarg_segment_size: 68
    .language:       OpenCL C
    .language_version:
      - 2
      - 0
    .max_flat_workgroup_size: 1024
    .name:           _Z49per_token_group_quant_8bit_packed_register_kernelIN3c108BFloat16ENS0_13Float8_e4m3fnELi128ELi16ELi1EEvPKT_PvPjiiiiilfff
    .private_segment_fixed_size: 0
    .sgpr_count:     18
    .sgpr_spill_count: 0
    .symbol:         _Z49per_token_group_quant_8bit_packed_register_kernelIN3c108BFloat16ENS0_13Float8_e4m3fnELi128ELi16ELi1EEvPKT_PvPjiiiiilfff.kd
    .uniform_work_group_size: 1
    .uses_dynamic_stack: false
    .vgpr_count:     40
    .vgpr_spill_count: 0
    .wavefront_size: 32
    .workgroup_processor_mode: 1
  - .args:
      - .actual_access:  read_only
        .address_space:  global
        .offset:         0
        .size:           8
        .value_kind:     global_buffer
      - .actual_access:  write_only
        .address_space:  global
        .offset:         8
        .size:           8
        .value_kind:     global_buffer
      - .actual_access:  write_only
        .address_space:  global
        .offset:         16
        .size:           8
        .value_kind:     global_buffer
      - .offset:         24
        .size:           4
        .value_kind:     by_value
      - .offset:         28
        .size:           4
        .value_kind:     by_value
      - .offset:         32
        .size:           4
        .value_kind:     by_value
      - .offset:         36
        .size:           4
        .value_kind:     by_value
      - .offset:         40
        .size:           4
        .value_kind:     by_value
      - .offset:         48
        .size:           8
        .value_kind:     by_value
      - .offset:         56
        .size:           4
        .value_kind:     by_value
      - .offset:         60
        .size:           4
        .value_kind:     by_value
      - .offset:         64
        .size:           4
        .value_kind:     by_value
    .group_segment_fixed_size: 0
    .kernarg_segment_align: 8
    .kernarg_segment_size: 68
    .language:       OpenCL C
    .language_version:
      - 2
      - 0
    .max_flat_workgroup_size: 1024
    .name:           _Z49per_token_group_quant_8bit_packed_register_kernelIN3c108BFloat16ENS0_13Float8_e4m3fnELi128ELi8ELi2EEvPKT_PvPjiiiiilfff
    .private_segment_fixed_size: 0
    .sgpr_count:     18
    .sgpr_spill_count: 0
    .symbol:         _Z49per_token_group_quant_8bit_packed_register_kernelIN3c108BFloat16ENS0_13Float8_e4m3fnELi128ELi8ELi2EEvPKT_PvPjiiiiilfff.kd
    .uniform_work_group_size: 1
    .uses_dynamic_stack: false
    .vgpr_count:     40
    .vgpr_spill_count: 0
    .wavefront_size: 32
    .workgroup_processor_mode: 1
  - .args:
      - .actual_access:  read_only
        .address_space:  global
        .offset:         0
        .size:           8
        .value_kind:     global_buffer
      - .actual_access:  write_only
        .address_space:  global
        .offset:         8
        .size:           8
        .value_kind:     global_buffer
      - .actual_access:  write_only
        .address_space:  global
        .offset:         16
        .size:           8
        .value_kind:     global_buffer
      - .offset:         24
        .size:           4
        .value_kind:     by_value
      - .offset:         28
        .size:           4
        .value_kind:     by_value
      - .offset:         32
        .size:           4
        .value_kind:     by_value
      - .offset:         36
        .size:           4
        .value_kind:     by_value
      - .offset:         40
        .size:           4
        .value_kind:     by_value
      - .offset:         48
        .size:           8
        .value_kind:     by_value
      - .offset:         56
        .size:           4
        .value_kind:     by_value
      - .offset:         60
        .size:           4
        .value_kind:     by_value
      - .offset:         64
        .size:           4
        .value_kind:     by_value
    .group_segment_fixed_size: 0
    .kernarg_segment_align: 8
    .kernarg_segment_size: 68
    .language:       OpenCL C
    .language_version:
      - 2
      - 0
    .max_flat_workgroup_size: 1024
    .name:           _Z49per_token_group_quant_8bit_packed_register_kernelIN3c108BFloat16ENS0_13Float8_e4m3fnELi128ELi4ELi4EEvPKT_PvPjiiiiilfff
    .private_segment_fixed_size: 0
    .sgpr_count:     18
    .sgpr_spill_count: 0
    .symbol:         _Z49per_token_group_quant_8bit_packed_register_kernelIN3c108BFloat16ENS0_13Float8_e4m3fnELi128ELi4ELi4EEvPKT_PvPjiiiiilfff.kd
    .uniform_work_group_size: 1
    .uses_dynamic_stack: false
    .vgpr_count:     40
    .vgpr_spill_count: 0
    .wavefront_size: 32
    .workgroup_processor_mode: 1
  - .args:
      - .actual_access:  read_only
        .address_space:  global
        .offset:         0
        .size:           8
        .value_kind:     global_buffer
      - .actual_access:  write_only
        .address_space:  global
        .offset:         8
        .size:           8
        .value_kind:     global_buffer
      - .actual_access:  write_only
        .address_space:  global
        .offset:         16
        .size:           8
        .value_kind:     global_buffer
      - .offset:         24
        .size:           4
        .value_kind:     by_value
      - .offset:         28
        .size:           4
        .value_kind:     by_value
      - .offset:         32
        .size:           4
        .value_kind:     by_value
      - .offset:         36
        .size:           4
        .value_kind:     by_value
      - .offset:         40
        .size:           4
        .value_kind:     by_value
      - .offset:         48
        .size:           8
        .value_kind:     by_value
      - .offset:         56
        .size:           4
        .value_kind:     by_value
      - .offset:         60
        .size:           4
        .value_kind:     by_value
      - .offset:         64
        .size:           4
        .value_kind:     by_value
    .group_segment_fixed_size: 0
    .kernarg_segment_align: 8
    .kernarg_segment_size: 68
    .language:       OpenCL C
    .language_version:
      - 2
      - 0
    .max_flat_workgroup_size: 1024
    .name:           _Z49per_token_group_quant_8bit_packed_register_kernelIN3c108BFloat16ENS0_15Float8_e4m3fnuzELi128ELi16ELi1EEvPKT_PvPjiiiiilfff
    .private_segment_fixed_size: 0
    .sgpr_count:     18
    .sgpr_spill_count: 0
    .symbol:         _Z49per_token_group_quant_8bit_packed_register_kernelIN3c108BFloat16ENS0_15Float8_e4m3fnuzELi128ELi16ELi1EEvPKT_PvPjiiiiilfff.kd
    .uniform_work_group_size: 1
    .uses_dynamic_stack: false
    .vgpr_count:     27
    .vgpr_spill_count: 0
    .wavefront_size: 32
    .workgroup_processor_mode: 1
  - .args:
      - .actual_access:  read_only
        .address_space:  global
        .offset:         0
        .size:           8
        .value_kind:     global_buffer
      - .actual_access:  write_only
        .address_space:  global
        .offset:         8
        .size:           8
        .value_kind:     global_buffer
      - .actual_access:  write_only
        .address_space:  global
        .offset:         16
        .size:           8
        .value_kind:     global_buffer
      - .offset:         24
        .size:           4
        .value_kind:     by_value
      - .offset:         28
        .size:           4
        .value_kind:     by_value
      - .offset:         32
        .size:           4
        .value_kind:     by_value
      - .offset:         36
        .size:           4
        .value_kind:     by_value
      - .offset:         40
        .size:           4
        .value_kind:     by_value
      - .offset:         48
        .size:           8
        .value_kind:     by_value
      - .offset:         56
        .size:           4
        .value_kind:     by_value
      - .offset:         60
        .size:           4
        .value_kind:     by_value
      - .offset:         64
        .size:           4
        .value_kind:     by_value
    .group_segment_fixed_size: 0
    .kernarg_segment_align: 8
    .kernarg_segment_size: 68
    .language:       OpenCL C
    .language_version:
      - 2
      - 0
    .max_flat_workgroup_size: 1024
    .name:           _Z49per_token_group_quant_8bit_packed_register_kernelIN3c108BFloat16ENS0_15Float8_e4m3fnuzELi128ELi8ELi2EEvPKT_PvPjiiiiilfff
    .private_segment_fixed_size: 0
    .sgpr_count:     18
    .sgpr_spill_count: 0
    .symbol:         _Z49per_token_group_quant_8bit_packed_register_kernelIN3c108BFloat16ENS0_15Float8_e4m3fnuzELi128ELi8ELi2EEvPKT_PvPjiiiiilfff.kd
    .uniform_work_group_size: 1
    .uses_dynamic_stack: false
    .vgpr_count:     27
    .vgpr_spill_count: 0
    .wavefront_size: 32
    .workgroup_processor_mode: 1
  - .args:
      - .actual_access:  read_only
        .address_space:  global
        .offset:         0
        .size:           8
        .value_kind:     global_buffer
      - .actual_access:  write_only
        .address_space:  global
        .offset:         8
        .size:           8
        .value_kind:     global_buffer
      - .actual_access:  write_only
        .address_space:  global
        .offset:         16
        .size:           8
        .value_kind:     global_buffer
      - .offset:         24
        .size:           4
        .value_kind:     by_value
      - .offset:         28
        .size:           4
        .value_kind:     by_value
      - .offset:         32
        .size:           4
        .value_kind:     by_value
      - .offset:         36
        .size:           4
        .value_kind:     by_value
      - .offset:         40
        .size:           4
        .value_kind:     by_value
      - .offset:         48
        .size:           8
        .value_kind:     by_value
      - .offset:         56
        .size:           4
        .value_kind:     by_value
      - .offset:         60
        .size:           4
        .value_kind:     by_value
      - .offset:         64
        .size:           4
        .value_kind:     by_value
    .group_segment_fixed_size: 0
    .kernarg_segment_align: 8
    .kernarg_segment_size: 68
    .language:       OpenCL C
    .language_version:
      - 2
      - 0
    .max_flat_workgroup_size: 1024
    .name:           _Z49per_token_group_quant_8bit_packed_register_kernelIN3c108BFloat16ENS0_15Float8_e4m3fnuzELi128ELi4ELi4EEvPKT_PvPjiiiiilfff
    .private_segment_fixed_size: 0
    .sgpr_count:     18
    .sgpr_spill_count: 0
    .symbol:         _Z49per_token_group_quant_8bit_packed_register_kernelIN3c108BFloat16ENS0_15Float8_e4m3fnuzELi128ELi4ELi4EEvPKT_PvPjiiiiilfff.kd
    .uniform_work_group_size: 1
    .uses_dynamic_stack: false
    .vgpr_count:     27
    .vgpr_spill_count: 0
    .wavefront_size: 32
    .workgroup_processor_mode: 1
amdhsa.target:   amdgcn-amd-amdhsa--gfx1100
amdhsa.version:
  - 1
  - 2
...

	.end_amdgpu_metadata
